;; amdgpu-corpus repo=ROCm/aiter kind=compiled arch=gfx90a opt=O3
	.text
	.amdgcn_target "amdgcn-amd-amdhsa--gfx90a"
	.amdhsa_code_object_version 6
	.section	.text._ZN7ck_tileL11flush_cacheEv,"axG",@progbits,_ZN7ck_tileL11flush_cacheEv,comdat
	.globl	_ZN7ck_tileL11flush_cacheEv     ; -- Begin function _ZN7ck_tileL11flush_cacheEv
	.p2align	8
	.type	_ZN7ck_tileL11flush_cacheEv,@function
_ZN7ck_tileL11flush_cacheEv:            ; @_ZN7ck_tileL11flush_cacheEv
; %bb.0:
	;;#ASMSTART
	s_icache_inv 
	s_nop 0 
	s_nop 0 
	;; [unrolled: 1-line block ×16, first 2 shown]
	
	;;#ASMEND
	s_endpgm
	.section	.rodata,"a",@progbits
	.p2align	6, 0x0
	.amdhsa_kernel _ZN7ck_tileL11flush_cacheEv
		.amdhsa_group_segment_fixed_size 0
		.amdhsa_private_segment_fixed_size 0
		.amdhsa_kernarg_size 0
		.amdhsa_user_sgpr_count 4
		.amdhsa_user_sgpr_private_segment_buffer 1
		.amdhsa_user_sgpr_dispatch_ptr 0
		.amdhsa_user_sgpr_queue_ptr 0
		.amdhsa_user_sgpr_kernarg_segment_ptr 0
		.amdhsa_user_sgpr_dispatch_id 0
		.amdhsa_user_sgpr_flat_scratch_init 0
		.amdhsa_user_sgpr_kernarg_preload_length 0
		.amdhsa_user_sgpr_kernarg_preload_offset 0
		.amdhsa_user_sgpr_private_segment_size 0
		.amdhsa_uses_dynamic_stack 0
		.amdhsa_system_sgpr_private_segment_wavefront_offset 0
		.amdhsa_system_sgpr_workgroup_id_x 1
		.amdhsa_system_sgpr_workgroup_id_y 0
		.amdhsa_system_sgpr_workgroup_id_z 0
		.amdhsa_system_sgpr_workgroup_info 0
		.amdhsa_system_vgpr_workitem_id 0
		.amdhsa_next_free_vgpr 1
		.amdhsa_next_free_sgpr 0
		.amdhsa_accum_offset 4
		.amdhsa_reserve_vcc 0
		.amdhsa_reserve_flat_scratch 0
		.amdhsa_float_round_mode_32 0
		.amdhsa_float_round_mode_16_64 0
		.amdhsa_float_denorm_mode_32 3
		.amdhsa_float_denorm_mode_16_64 3
		.amdhsa_dx10_clamp 1
		.amdhsa_ieee_mode 1
		.amdhsa_fp16_overflow 0
		.amdhsa_tg_split 0
		.amdhsa_exception_fp_ieee_invalid_op 0
		.amdhsa_exception_fp_denorm_src 0
		.amdhsa_exception_fp_ieee_div_zero 0
		.amdhsa_exception_fp_ieee_overflow 0
		.amdhsa_exception_fp_ieee_underflow 0
		.amdhsa_exception_fp_ieee_inexact 0
		.amdhsa_exception_int_div_zero 0
	.end_amdhsa_kernel
	.section	.text._ZN7ck_tileL11flush_cacheEv,"axG",@progbits,_ZN7ck_tileL11flush_cacheEv,comdat
.Lfunc_end0:
	.size	_ZN7ck_tileL11flush_cacheEv, .Lfunc_end0-_ZN7ck_tileL11flush_cacheEv
                                        ; -- End function
	.section	.AMDGPU.csdata,"",@progbits
; Kernel info:
; codeLenInByte = 140
; NumSgprs: 4
; NumVgprs: 0
; NumAgprs: 0
; TotalNumVgprs: 0
; ScratchSize: 0
; MemoryBound: 0
; FloatMode: 240
; IeeeMode: 1
; LDSByteSize: 0 bytes/workgroup (compile time only)
; SGPRBlocks: 0
; VGPRBlocks: 0
; NumSGPRsForWavesPerEU: 4
; NumVGPRsForWavesPerEU: 1
; AccumOffset: 4
; Occupancy: 8
; WaveLimiterHint : 0
; COMPUTE_PGM_RSRC2:SCRATCH_EN: 0
; COMPUTE_PGM_RSRC2:USER_SGPR: 4
; COMPUTE_PGM_RSRC2:TRAP_HANDLER: 0
; COMPUTE_PGM_RSRC2:TGID_X_EN: 1
; COMPUTE_PGM_RSRC2:TGID_Y_EN: 0
; COMPUTE_PGM_RSRC2:TGID_Z_EN: 0
; COMPUTE_PGM_RSRC2:TIDIG_COMP_CNT: 0
; COMPUTE_PGM_RSRC3_GFX90A:ACCUM_OFFSET: 0
; COMPUTE_PGM_RSRC3_GFX90A:TG_SPLIT: 0
	.section	.text._ZN5aiter24add_rmsnorm_quant_kernelIDF16_DB8_Li64ELi8ELb1ELb1ELb1ELi1EEEvPT0_PT_PfS5_S5_S5_diiiiiiib,"axG",@progbits,_ZN5aiter24add_rmsnorm_quant_kernelIDF16_DB8_Li64ELi8ELb1ELb1ELb1ELi1EEEvPT0_PT_PfS5_S5_S5_diiiiiiib,comdat
	.protected	_ZN5aiter24add_rmsnorm_quant_kernelIDF16_DB8_Li64ELi8ELb1ELb1ELb1ELi1EEEvPT0_PT_PfS5_S5_S5_diiiiiiib ; -- Begin function _ZN5aiter24add_rmsnorm_quant_kernelIDF16_DB8_Li64ELi8ELb1ELb1ELb1ELi1EEEvPT0_PT_PfS5_S5_S5_diiiiiiib
	.globl	_ZN5aiter24add_rmsnorm_quant_kernelIDF16_DB8_Li64ELi8ELb1ELb1ELb1ELi1EEEvPT0_PT_PfS5_S5_S5_diiiiiiib
	.p2align	8
	.type	_ZN5aiter24add_rmsnorm_quant_kernelIDF16_DB8_Li64ELi8ELb1ELb1ELb1ELi1EEEvPT0_PT_PfS5_S5_S5_diiiiiiib,@function
_ZN5aiter24add_rmsnorm_quant_kernelIDF16_DB8_Li64ELi8ELb1ELb1ELb1ELi1EEEvPT0_PT_PfS5_S5_S5_diiiiiiib: ; @_ZN5aiter24add_rmsnorm_quant_kernelIDF16_DB8_Li64ELi8ELb1ELb1ELb1ELi1EEEvPT0_PT_PfS5_S5_S5_diiiiiiib
; %bb.0:
	s_load_dwordx8 s[8:15], s[4:5], 0x38
	s_mov_b32 s7, 0
	s_waitcnt lgkmcnt(0)
	s_ashr_i32 s0, s8, 31
	v_mov_b32_e32 v2, s8
	v_mov_b32_e32 v3, s0
	v_cmp_ge_i64_e32 vcc, s[6:7], v[2:3]
	s_cbranch_vccnz .LBB1_45
; %bb.1:
	s_load_dwordx8 s[16:23], s[4:5], 0x0
	s_load_dwordx8 s[24:31], s[4:5], 0x20
	s_ashr_i32 s0, s10, 31
	s_mul_hi_u32 s1, s10, s6
	s_mul_i32 s0, s0, s6
	s_add_i32 s1, s1, s0
	s_mul_i32 s0, s10, s6
	s_lshl_b64 s[0:1], s[0:1], 1
	s_waitcnt lgkmcnt(0)
	s_add_u32 s0, s22, s0
	s_addc_u32 s1, s23, s1
	s_add_i32 s2, s9, 1
	s_lshr_b32 s3, s2, 31
	s_add_i32 s2, s2, s3
	s_lshl_b32 s2, s2, 1
	s_and_b32 s2, s2, -4
	s_and_b32 s1, s1, 0xffff
	s_mov_b32 s3, 0x20000
	v_lshlrev_b32_e32 v15, 4, v0
	buffer_load_dwordx4 v[2:5], v15, s[0:3], 0 offen glc slc
	s_ashr_i32 s0, s11, 31
	s_mul_hi_u32 s1, s11, s6
	s_mul_i32 s0, s0, s6
	s_add_i32 s1, s1, s0
	s_mul_i32 s0, s11, s6
	s_and_b32 s37, s27, 0xffff
	s_lshl_b64 s[0:1], s[0:1], 1
	s_add_u32 s0, s24, s0
	s_addc_u32 s1, s25, s1
	s_and_b32 s1, s1, 0xffff
	buffer_load_dwordx4 v[6:9], v15, s[0:3], 0 offen glc slc
	s_mov_b32 s36, s26
	s_mov_b32 s38, s2
	;; [unrolled: 1-line block ×3, first 2 shown]
	buffer_load_dwordx4 v[10:13], v15, s[36:39], 0 offen
	v_mbcnt_lo_u32_b32 v14, -1, 0
	v_mbcnt_hi_u32_b32 v14, -1, v14
	v_lshlrev_b32_e32 v16, 2, v14
	v_or_b32_e32 v14, 0xfc, v16
	v_cvt_f32_i32_e32 v17, s9
	s_ashr_i32 s4, s12, 31
	s_mul_hi_u32 s1, s12, s6
	s_mul_i32 s4, s4, s6
	s_add_i32 s1, s1, s4
	s_mov_b32 s10, 0x800000
	s_mul_i32 s0, s12, s6
	s_lshl_b64 s[0:1], s[0:1], 1
	s_add_u32 s0, s18, s0
	s_addc_u32 s1, s19, s1
	s_and_b32 s1, s1, 0xffff
	v_mov_b32_e32 v30, 0x2edbe6ff
	v_lshlrev_b32_e32 v1, 3, v0
	s_cmp_lg_u32 s14, 0
	s_waitcnt vmcnt(2)
	v_cvt_f32_f16_e32 v18, v2
	v_cvt_f32_f16_sdwa v19, v2 dst_sel:DWORD dst_unused:UNUSED_PAD src0_sel:WORD_1
	v_cvt_f32_f16_e32 v2, v3
	v_cvt_f32_f16_sdwa v3, v3 dst_sel:DWORD dst_unused:UNUSED_PAD src0_sel:WORD_1
	;; [unrolled: 2-line block ×4, first 2 shown]
	s_waitcnt vmcnt(1)
	v_cvt_f32_f16_e32 v26, v6
	v_cvt_f32_f16_sdwa v27, v6 dst_sel:DWORD dst_unused:UNUSED_PAD src0_sel:WORD_1
	v_cvt_f32_f16_e32 v6, v7
	v_cvt_f32_f16_sdwa v7, v7 dst_sel:DWORD dst_unused:UNUSED_PAD src0_sel:WORD_1
	;; [unrolled: 2-line block ×4, first 2 shown]
	v_pk_add_f32 v[18:19], v[18:19], v[26:27]
	v_pk_add_f32 v[6:7], v[2:3], v[6:7]
	v_pk_mul_f32 v[2:3], v[18:19], v[18:19]
	v_pk_add_f32 v[8:9], v[4:5], v[8:9]
	v_pk_mul_f32 v[4:5], v[6:7], v[6:7]
	v_add_f32_e32 v2, v2, v3
	v_pk_add_f32 v[20:21], v[20:21], v[28:29]
	v_add_f32_e32 v2, v4, v2
	v_pk_mul_f32 v[26:27], v[20:21], v[20:21]
	v_add_f32_e32 v2, v5, v2
	v_add_f32_e32 v2, v26, v2
	v_pk_mul_f32 v[28:29], v[8:9], v[8:9]
	v_add_f32_e32 v2, v27, v2
	v_add_f32_e32 v2, v28, v2
	;; [unrolled: 1-line block ×3, first 2 shown]
	v_cvt_f16_f32_e32 v33, v7
	v_cvt_f16_f32_e32 v31, v19
	v_mov_b32_dpp v3, v2 quad_perm:[1,0,3,2] row_mask:0xf bank_mask:0xf
	v_add_f32_e32 v2, v2, v3
	v_cvt_f16_f32_e32 v32, v18
	v_cvt_f16_f32_e32 v34, v21
	v_mov_b32_dpp v3, v2 quad_perm:[2,3,0,1] row_mask:0xf bank_mask:0xf
	v_add_f32_e32 v2, v2, v3
	v_cvt_f16_f32_e32 v35, v20
	v_cvt_f16_f32_e32 v36, v9
	v_mov_b32_dpp v3, v2 row_half_mirror row_mask:0xf bank_mask:0xf
	v_add_f32_e32 v2, v2, v3
	v_cvt_f16_f32_e32 v37, v8
	v_pack_b32_f16 v4, v35, v34
	v_mov_b32_dpp v3, v2 row_mirror row_mask:0xf bank_mask:0xf
	v_add_f32_e32 v2, v2, v3
	v_pack_b32_f16 v5, v37, v36
	s_waitcnt vmcnt(0)
	v_cvt_f32_f16_e32 v22, v10
	v_mov_b32_dpp v3, v2 row_bcast:15 row_mask:0xf bank_mask:0xf
	v_add_f32_e32 v2, v2, v3
	v_cvt_f32_f16_sdwa v23, v10 dst_sel:DWORD dst_unused:UNUSED_PAD src0_sel:WORD_1
	v_cvt_f32_f16_e32 v10, v11
	v_mov_b32_dpp v3, v2 row_bcast:31 row_mask:0xf bank_mask:0xf
	v_add_f32_e32 v2, v2, v3
	ds_bpermute_b32 v2, v14, v2
	v_cvt_f16_f32_e32 v3, v6
	v_cvt_f32_f16_sdwa v11, v11 dst_sel:DWORD dst_unused:UNUSED_PAD src0_sel:WORD_1
	v_cvt_f32_f16_e32 v24, v12
	v_cvt_f32_f16_sdwa v25, v12 dst_sel:DWORD dst_unused:UNUSED_PAD src0_sel:WORD_1
	s_waitcnt lgkmcnt(0)
	v_div_scale_f32 v26, s[4:5], v17, v17, v2
	v_rcp_f32_e32 v27, v26
	v_div_scale_f32 v28, vcc, v2, v17, v2
	v_pack_b32_f16 v3, v3, v33
	v_fma_f32 v29, -v26, v27, 1.0
	v_fmac_f32_e32 v27, v29, v27
	v_mul_f32_e32 v29, v28, v27
	v_fma_f32 v33, -v26, v29, v28
	v_fmac_f32_e32 v29, v33, v27
	v_fma_f32 v26, -v26, v29, v28
	v_div_fmas_f32 v26, v26, v27, v29
	v_div_fixup_f32 v2, v26, v17, v2
	v_cvt_f64_f32_e32 v[26:27], v2
	v_add_f64 v[26:27], v[26:27], s[28:29]
	v_cvt_f32_f64_e32 v2, v[26:27]
	v_mul_f32_e32 v17, 0x4b800000, v2
	v_cmp_gt_f32_e32 vcc, s10, v2
	v_cndmask_b32_e32 v2, v2, v17, vcc
	v_rsq_f32_e32 v17, v2
	v_pack_b32_f16 v2, v32, v31
	buffer_store_dwordx4 v[2:5], v15, s[0:3], 0 offen glc slc
	;;#ASMSTART
	s_nop 0
	;;#ASMEND
	v_cvt_f32_f16_e32 v12, v13
	v_mul_f32_e32 v2, 0x45800000, v17
	v_cndmask_b32_e32 v2, v17, v2, vcc
	v_mov_b32_e32 v3, v2
	;;#ASMSTART
	v_pk_mul_f32 v[4:5], v[18:19], v[2:3]
	;;#ASMEND
	;;#ASMSTART
	v_pk_mul_f32 v[6:7], v[6:7], v[2:3]
	;;#ASMEND
	;;#ASMSTART
	v_pk_mul_f32 v[18:19], v[20:21], v[2:3]
	;;#ASMEND
	;;#ASMSTART
	v_pk_mul_f32 v[2:3], v[8:9], v[2:3]
	;;#ASMEND
	;;#ASMSTART
	v_pk_mul_f32 v[8:9], v[4:5], v[22:23]
	;;#ASMEND
	;;#ASMSTART
	v_pk_mul_f32 v[6:7], v[6:7], v[10:11]
	;;#ASMEND
	v_and_b32_e32 v10, 0x7fffffff, v8
	v_cvt_f32_f16_sdwa v13, v13 dst_sel:DWORD dst_unused:UNUSED_PAD src0_sel:WORD_1
	;;#ASMSTART
	v_pk_mul_f32 v[4:5], v[18:19], v[24:25]
	;;#ASMEND
	;;#ASMSTART
	v_pk_mul_f32 v[2:3], v[2:3], v[12:13]
	;;#ASMEND
	v_and_b32_e32 v11, 0x7fffffff, v9
	v_and_b32_e32 v12, 0x7fffffff, v6
	;;#ASMSTART
	v_max3_f32 v10, v30, v10, v11

	;;#ASMEND
	v_and_b32_e32 v11, 0x7fffffff, v7
	;;#ASMSTART
	v_max3_f32 v10, v10, v12, v11

	;;#ASMEND
	v_and_b32_e32 v12, 0x7fffffff, v5
	v_and_b32_e32 v11, 0x7fffffff, v4
	;;#ASMSTART
	v_max3_f32 v10, v10, v11, v12

	;;#ASMEND
	v_and_b32_e32 v12, 0x7fffffff, v3
	v_and_b32_e32 v11, 0x7fffffff, v2
	;;#ASMSTART
	v_max3_f32 v12, v10, v11, v12

	;;#ASMEND
	s_cbranch_scc0 .LBB1_8
; %bb.2:
	s_ashr_i32 s12, s14, 31
	s_lshr_b32 s0, s12, 29
	s_add_i32 s0, s14, s0
	s_ashr_i32 s4, s0, 3
	s_cmp_lt_i32 s4, 16
	s_cbranch_scc1 .LBB1_9
; %bb.3:
	s_cmp_lt_i32 s4, 32
	s_cbranch_scc1 .LBB1_10
; %bb.4:
	;; [unrolled: 3-line block ×3, first 2 shown]
	s_cmp_eq_u32 s4, 64
	v_mov_b32_e32 v10, v12
	s_cbranch_scc0 .LBB1_7
; %bb.6:
	s_nop 0
	v_mov_b32_dpp v10, v12 quad_perm:[1,0,3,2] row_mask:0xf bank_mask:0xf
	v_cmp_gt_f32_e32 vcc, v12, v10
	v_cndmask_b32_e32 v10, v10, v12, vcc
	s_nop 1
	v_mov_b32_dpp v11, v10 quad_perm:[2,3,0,1] row_mask:0xf bank_mask:0xf
	v_cmp_gt_f32_e32 vcc, v10, v11
	v_cndmask_b32_e32 v10, v11, v10, vcc
	s_nop 1
	v_mov_b32_dpp v11, v10 row_ror:4 row_mask:0xf bank_mask:0xf
	v_cmp_gt_f32_e32 vcc, v10, v11
	v_cndmask_b32_e32 v10, v11, v10, vcc
	s_nop 1
	v_mov_b32_dpp v11, v10 row_ror:8 row_mask:0xf bank_mask:0xf
	v_cmp_gt_f32_e32 vcc, v10, v11
	v_cndmask_b32_e32 v10, v11, v10, vcc
	s_nop 1
	v_mov_b32_dpp v11, v10 row_bcast:15 row_mask:0xf bank_mask:0xf
	v_cmp_gt_f32_e32 vcc, v10, v11
	v_cndmask_b32_e32 v10, v11, v10, vcc
	s_nop 1
	v_mov_b32_dpp v11, v10 row_bcast:31 row_mask:0xf bank_mask:0xf
	v_cmp_gt_f32_e32 vcc, v10, v11
	v_cndmask_b32_e32 v10, v11, v10, vcc
	ds_bpermute_b32 v10, v14, v10
.LBB1_7:
	s_mov_b64 s[0:1], 0
	s_branch .LBB1_12
.LBB1_8:
	s_mov_b64 s[0:1], 0
                                        ; implicit-def: $vgpr13
                                        ; implicit-def: $vgpr10_vgpr11
	s_cbranch_execnz .LBB1_41
	s_branch .LBB1_42
.LBB1_9:
                                        ; implicit-def: $vgpr10
	s_branch .LBB1_19
.LBB1_10:
                                        ; implicit-def: $vgpr10
	s_branch .LBB1_16
.LBB1_11:
	s_mov_b64 s[0:1], -1
                                        ; implicit-def: $vgpr10
.LBB1_12:
	s_andn2_b64 vcc, exec, s[0:1]
	s_cbranch_vccnz .LBB1_15
; %bb.13:
	s_cmp_eq_u32 s4, 32
	s_waitcnt lgkmcnt(0)
	v_mov_b32_e32 v10, v12
	s_cbranch_scc0 .LBB1_15
; %bb.14:
	s_nop 0
	v_mov_b32_dpp v10, v12 quad_perm:[1,0,3,2] row_mask:0xf bank_mask:0xf
	v_cmp_gt_f32_e32 vcc, v12, v10
	v_cndmask_b32_e32 v10, v10, v12, vcc
	s_nop 1
	v_mov_b32_dpp v11, v10 quad_perm:[2,3,0,1] row_mask:0xf bank_mask:0xf
	v_cmp_gt_f32_e32 vcc, v10, v11
	v_cndmask_b32_e32 v10, v11, v10, vcc
	s_nop 1
	v_mov_b32_dpp v11, v10 row_half_mirror row_mask:0xf bank_mask:0xf
	v_cmp_gt_f32_e32 vcc, v10, v11
	v_cndmask_b32_e32 v10, v11, v10, vcc
	s_nop 1
	v_mov_b32_dpp v11, v10 row_mirror row_mask:0xf bank_mask:0xf
	v_cmp_gt_f32_e32 vcc, v10, v11
	v_cndmask_b32_e32 v10, v11, v10, vcc
	s_nop 1
	v_mov_b32_dpp v11, v10 row_bcast:15 row_mask:0xa bank_mask:0xf
	v_cmp_gt_f32_e32 vcc, v10, v11
	v_cndmask_b32_e32 v10, v11, v10, vcc
	v_or_b32_e32 v11, 0x7c, v16
	ds_bpermute_b32 v10, v11, v10
.LBB1_15:
	s_cbranch_execnz .LBB1_18
.LBB1_16:
	s_cmp_eq_u32 s4, 16
	s_waitcnt lgkmcnt(0)
	v_mov_b32_e32 v10, v12
	s_cbranch_scc0 .LBB1_18
; %bb.17:
	s_nop 0
	v_mov_b32_dpp v10, v12 quad_perm:[1,0,3,2] row_mask:0xf bank_mask:0xf
	v_cmp_gt_f32_e32 vcc, v12, v10
	v_cndmask_b32_e32 v10, v10, v12, vcc
	s_nop 1
	v_mov_b32_dpp v11, v10 quad_perm:[2,3,0,1] row_mask:0xf bank_mask:0xf
	v_cmp_gt_f32_e32 vcc, v10, v11
	v_cndmask_b32_e32 v10, v11, v10, vcc
	s_nop 1
	v_mov_b32_dpp v11, v10 row_half_mirror row_mask:0xf bank_mask:0xf
	v_cmp_gt_f32_e32 vcc, v10, v11
	v_cndmask_b32_e32 v10, v11, v10, vcc
	s_nop 1
	v_mov_b32_dpp v11, v10 row_mirror row_mask:0xf bank_mask:0xf
	v_cmp_gt_f32_e32 vcc, v10, v11
	v_cndmask_b32_e32 v10, v11, v10, vcc
.LBB1_18:
	s_cbranch_execnz .LBB1_31
.LBB1_19:
	s_cmp_lt_i32 s4, 4
	s_cbranch_scc1 .LBB1_23
; %bb.20:
	s_cmp_lt_i32 s4, 8
	s_cbranch_scc1 .LBB1_24
; %bb.21:
	s_cmp_eq_u32 s4, 8
	s_waitcnt lgkmcnt(0)
	v_mov_b32_e32 v10, v12
	s_cbranch_scc0 .LBB1_25
; %bb.22:
	s_nop 0
	v_mov_b32_dpp v10, v12 quad_perm:[1,0,3,2] row_mask:0xf bank_mask:0xf
	v_cmp_gt_f32_e32 vcc, v12, v10
	v_cndmask_b32_e32 v10, v10, v12, vcc
	s_nop 1
	v_mov_b32_dpp v11, v10 quad_perm:[2,3,0,1] row_mask:0xf bank_mask:0xf
	v_cmp_gt_f32_e32 vcc, v10, v11
	v_cndmask_b32_e32 v10, v11, v10, vcc
	s_nop 1
	v_mov_b32_dpp v11, v10 row_half_mirror row_mask:0xf bank_mask:0xf
	v_cmp_gt_f32_e32 vcc, v10, v11
	v_cndmask_b32_e32 v10, v11, v10, vcc
	s_cbranch_execz .LBB1_26
	s_branch .LBB1_28
.LBB1_23:
                                        ; implicit-def: $vgpr10
	s_branch .LBB1_29
.LBB1_24:
                                        ; implicit-def: $vgpr10
	s_branch .LBB1_26
.LBB1_25:
	s_cbranch_execnz .LBB1_28
.LBB1_26:
	s_cmp_eq_u32 s4, 4
	s_waitcnt lgkmcnt(0)
	v_mov_b32_e32 v10, v12
	s_cbranch_scc0 .LBB1_28
; %bb.27:
	s_nop 0
	v_mov_b32_dpp v10, v12 quad_perm:[1,0,3,2] row_mask:0xf bank_mask:0xf
	v_cmp_gt_f32_e32 vcc, v12, v10
	v_cndmask_b32_e32 v10, v10, v12, vcc
	s_nop 1
	v_mov_b32_dpp v11, v10 quad_perm:[2,3,0,1] row_mask:0xf bank_mask:0xf
	v_cmp_gt_f32_e32 vcc, v10, v11
	v_cndmask_b32_e32 v10, v11, v10, vcc
.LBB1_28:
	s_cbranch_execnz .LBB1_31
.LBB1_29:
	s_cmp_lg_u32 s4, 2
	s_waitcnt lgkmcnt(0)
	v_mov_b32_e32 v10, v12
	s_cbranch_scc1 .LBB1_31
; %bb.30:
	s_nop 0
	v_mov_b32_dpp v10, v12 quad_perm:[1,0,3,2] row_mask:0xf bank_mask:0xf
	v_cmp_gt_f32_e32 vcc, v12, v10
	v_cndmask_b32_e32 v10, v10, v12, vcc
.LBB1_31:
	v_cvt_f32_u32_e32 v11, s4
	s_waitcnt lgkmcnt(0)
	v_mul_f32_e32 v13, 0x3b124925, v10
	s_sub_i32 s0, 0, s4
	v_cmp_gt_u32_e32 vcc, s9, v1
	v_rcp_iflag_f32_e32 v11, v11
	s_mov_b64 s[2:3], 0
	v_mul_f32_e32 v10, 0x4f7ffffe, v11
	v_cvt_u32_f32_e32 v10, v10
	v_mul_lo_u32 v11, s0, v10
	v_mul_hi_u32 v11, v10, v11
	v_add_u32_e32 v10, v10, v11
	v_mul_hi_u32 v10, v0, v10
	v_mul_lo_u32 v11, v10, s4
	v_sub_u32_e32 v11, v0, v11
	v_add_u32_e32 v15, 1, v10
	v_cmp_le_u32_e64 s[0:1], s4, v11
	v_cndmask_b32_e64 v10, v10, v15, s[0:1]
	v_subrev_u32_e32 v15, s4, v11
	v_cndmask_b32_e64 v11, v11, v15, s[0:1]
	v_add_u32_e32 v15, 1, v10
	v_cmp_le_u32_e64 s[0:1], s4, v11
	v_cndmask_b32_e64 v15, v10, v15, s[0:1]
	v_mul_lo_u32 v10, v15, s4
	v_sub_u32_e32 v10, v0, v10
	v_cmp_eq_u32_e64 s[0:1], 0, v10
	s_and_b64 s[4:5], s[0:1], vcc
	s_mov_b64 s[0:1], 0
                                        ; implicit-def: $vgpr10_vgpr11
	s_and_saveexec_b64 s[10:11], s[4:5]
	s_xor_b64 s[4:5], exec, s[10:11]
	s_cbranch_execz .LBB1_40
; %bb.32:
	s_bitcmp0_b32 s15, 0
	s_cbranch_scc0 .LBB1_37
; %bb.33:
	s_ashr_i32 s0, s9, 31
	s_mul_hi_u32 s1, s9, s6
	s_mul_i32 s0, s0, s6
	s_add_i32 s11, s1, s0
	s_mul_i32 s10, s9, s6
	s_mov_b32 s15, s12
	s_or_b64 s[0:1], s[10:11], s[14:15]
	s_mov_b32 s0, 0
	s_cmp_lg_u64 s[0:1], 0
	s_cbranch_scc0 .LBB1_46
; %bb.34:
	s_add_u32 s0, s14, s15
	s_mov_b32 s22, s15
	s_mov_b32 s23, s15
	s_addc_u32 s1, s15, s15
	s_xor_b64 s[24:25], s[0:1], s[22:23]
	v_cvt_f32_u32_e32 v10, s24
	v_cvt_f32_u32_e32 v11, s25
	s_sub_u32 s0, 0, s24
	s_subb_u32 s1, 0, s25
	v_madmk_f32 v10, v11, 0x4f800000, v10
	v_rcp_f32_e32 v10, v10
	v_mul_f32_e32 v10, 0x5f7ffffc, v10
	v_mul_f32_e32 v11, 0x2f800000, v10
	v_trunc_f32_e32 v11, v11
	v_madmk_f32 v10, v11, 0xcf800000, v10
	v_cvt_u32_f32_e32 v11, v11
	v_cvt_u32_f32_e32 v10, v10
	v_readfirstlane_b32 s12, v11
	v_readfirstlane_b32 s15, v10
	s_mul_i32 s26, s0, s12
	s_mul_hi_u32 s28, s0, s15
	s_mul_i32 s27, s1, s15
	s_add_i32 s26, s28, s26
	s_add_i32 s26, s26, s27
	s_mul_i32 s29, s0, s15
	s_mul_hi_u32 s27, s15, s26
	s_mul_i32 s28, s15, s26
	s_mul_hi_u32 s15, s15, s29
	s_add_u32 s15, s15, s28
	s_addc_u32 s27, 0, s27
	s_mul_hi_u32 s30, s12, s29
	s_mul_i32 s29, s12, s29
	s_add_u32 s15, s15, s29
	s_mul_hi_u32 s28, s12, s26
	s_addc_u32 s15, s27, s30
	s_addc_u32 s27, s28, 0
	s_mul_i32 s26, s12, s26
	s_add_u32 s15, s15, s26
	s_addc_u32 s26, 0, s27
	v_add_co_u32_e32 v10, vcc, s15, v10
	s_cmp_lg_u64 vcc, 0
	s_addc_u32 s12, s12, s26
	v_readfirstlane_b32 s26, v10
	s_mul_i32 s15, s0, s12
	s_mul_hi_u32 s27, s0, s26
	s_add_i32 s15, s27, s15
	s_mul_i32 s1, s1, s26
	s_add_i32 s15, s15, s1
	s_mul_i32 s0, s0, s26
	s_mul_hi_u32 s27, s12, s0
	s_mul_i32 s28, s12, s0
	s_mul_i32 s30, s26, s15
	s_mul_hi_u32 s0, s26, s0
	s_mul_hi_u32 s29, s26, s15
	s_add_u32 s0, s0, s30
	s_addc_u32 s26, 0, s29
	s_add_u32 s0, s0, s28
	s_mul_hi_u32 s1, s12, s15
	s_addc_u32 s0, s26, s27
	s_addc_u32 s1, s1, 0
	s_mul_i32 s15, s12, s15
	s_add_u32 s0, s0, s15
	s_addc_u32 s1, 0, s1
	v_add_co_u32_e32 v10, vcc, s0, v10
	s_cmp_lg_u64 vcc, 0
	s_addc_u32 s12, s12, s1
	s_ashr_i32 s26, s11, 31
	s_add_u32 s0, s10, s26
	s_mov_b32 s27, s26
	s_addc_u32 s1, s11, s26
	s_xor_b64 s[28:29], s[0:1], s[26:27]
	v_readfirstlane_b32 s11, v10
	s_mul_i32 s1, s28, s12
	s_mul_hi_u32 s15, s28, s11
	s_mul_hi_u32 s0, s28, s12
	s_add_u32 s1, s15, s1
	s_addc_u32 s0, 0, s0
	s_mul_hi_u32 s30, s29, s11
	s_mul_i32 s11, s29, s11
	s_add_u32 s1, s1, s11
	s_mul_hi_u32 s15, s29, s12
	s_addc_u32 s0, s0, s30
	s_addc_u32 s1, s15, 0
	s_mul_i32 s11, s29, s12
	s_add_u32 s11, s0, s11
	s_addc_u32 s12, 0, s1
	s_mul_i32 s0, s24, s12
	s_mul_hi_u32 s1, s24, s11
	s_add_i32 s0, s1, s0
	s_mul_i32 s1, s25, s11
	s_add_i32 s15, s0, s1
	s_mul_i32 s1, s24, s11
	v_mov_b32_e32 v10, s1
	s_sub_i32 s0, s29, s15
	v_sub_co_u32_e32 v10, vcc, s28, v10
	s_cmp_lg_u64 vcc, 0
	s_subb_u32 s28, s0, s25
	v_subrev_co_u32_e64 v11, s[0:1], s24, v10
	s_cmp_lg_u64 s[0:1], 0
	s_subb_u32 s28, s28, 0
	s_cmp_ge_u32 s28, s25
	s_cselect_b32 s30, -1, 0
	v_cmp_le_u32_e64 s[0:1], s24, v11
	s_cmp_eq_u32 s28, s25
	v_cndmask_b32_e64 v11, 0, -1, s[0:1]
	v_mov_b32_e32 v16, s30
	s_cselect_b64 s[0:1], -1, 0
	v_cndmask_b32_e64 v11, v16, v11, s[0:1]
	s_add_u32 s0, s11, 1
	s_addc_u32 s28, s12, 0
	s_add_u32 s1, s11, 2
	s_addc_u32 s30, s12, 0
	v_mov_b32_e32 v16, s0
	v_mov_b32_e32 v17, s1
	v_cmp_ne_u32_e64 s[0:1], 0, v11
	v_cndmask_b32_e64 v11, v16, v17, s[0:1]
	v_mov_b32_e32 v16, s28
	v_mov_b32_e32 v17, s30
	s_cmp_lg_u64 vcc, 0
	v_cndmask_b32_e64 v16, v16, v17, s[0:1]
	s_subb_u32 s0, s29, s15
	s_cmp_ge_u32 s0, s25
	s_cselect_b32 s1, -1, 0
	v_cmp_le_u32_e32 vcc, s24, v10
	s_cmp_eq_u32 s0, s25
	v_cndmask_b32_e64 v10, 0, -1, vcc
	v_mov_b32_e32 v17, s1
	s_cselect_b64 vcc, -1, 0
	v_cndmask_b32_e32 v10, v17, v10, vcc
	v_mov_b32_e32 v17, s12
	v_cmp_ne_u32_e32 vcc, 0, v10
	v_cndmask_b32_e32 v10, v17, v16, vcc
	v_mov_b32_e32 v16, s11
	v_cndmask_b32_e32 v11, v16, v11, vcc
	s_xor_b64 s[0:1], s[26:27], s[22:23]
	v_xor_b32_e32 v11, s0, v11
	v_xor_b32_e32 v16, s1, v10
	v_mov_b32_e32 v17, s1
	v_subrev_co_u32_e32 v10, vcc, s0, v11
	v_subb_co_u32_e32 v11, vcc, v16, v17, vcc
	s_cbranch_execnz .LBB1_36
.LBB1_35:
	v_cvt_f32_u32_e32 v10, s14
	s_sub_i32 s0, 0, s14
	s_mov_b32 s1, 0
	v_rcp_iflag_f32_e32 v10, v10
	v_mul_f32_e32 v10, 0x4f7ffffe, v10
	v_cvt_u32_f32_e32 v10, v10
	v_readfirstlane_b32 s11, v10
	s_mul_i32 s0, s0, s11
	s_mul_hi_u32 s0, s11, s0
	s_add_i32 s11, s11, s0
	s_mul_hi_u32 s0, s10, s11
	s_mul_i32 s12, s0, s14
	s_sub_i32 s10, s10, s12
	s_add_i32 s11, s0, 1
	s_sub_i32 s12, s10, s14
	s_cmp_ge_u32 s10, s14
	s_cselect_b32 s0, s11, s0
	s_cselect_b32 s10, s12, s10
	s_add_i32 s11, s0, 1
	s_cmp_ge_u32 s10, s14
	s_cselect_b32 s0, s11, s0
	v_pk_mov_b32 v[10:11], s[0:1], s[0:1] op_sel:[0,1]
.LBB1_36:
	v_add_co_u32_e32 v10, vcc, v10, v15
	v_addc_co_u32_e32 v11, vcc, 0, v11, vcc
	s_branch .LBB1_39
.LBB1_37:
                                        ; implicit-def: $vgpr10_vgpr11
	s_cbranch_execz .LBB1_39
; %bb.38:
	v_mul_lo_u32 v10, v15, s8
	v_ashrrev_i32_e32 v11, 31, v10
	v_mov_b32_e32 v15, s7
	v_add_co_u32_e32 v10, vcc, s6, v10
	v_addc_co_u32_e32 v11, vcc, v11, v15, vcc
.LBB1_39:
	s_mov_b64 s[0:1], exec
.LBB1_40:
	s_or_b64 exec, exec, s[4:5]
	s_and_b64 vcc, exec, s[2:3]
	s_cbranch_vccz .LBB1_42
.LBB1_41:
	v_mov_b32_dpp v10, v12 quad_perm:[1,0,3,2] row_mask:0xf bank_mask:0xf
	v_cmp_gt_f32_e32 vcc, v12, v10
	v_cndmask_b32_e32 v10, v10, v12, vcc
	s_andn2_b64 s[0:1], s[0:1], exec
	s_nop 0
	v_mov_b32_dpp v11, v10 quad_perm:[2,3,0,1] row_mask:0xf bank_mask:0xf
	v_cmp_gt_f32_e32 vcc, v10, v11
	v_cndmask_b32_e32 v10, v11, v10, vcc
	s_nop 1
	v_mov_b32_dpp v11, v10 row_half_mirror row_mask:0xf bank_mask:0xf
	v_cmp_gt_f32_e32 vcc, v10, v11
	v_cndmask_b32_e32 v10, v11, v10, vcc
	s_nop 1
	v_mov_b32_dpp v11, v10 row_mirror row_mask:0xf bank_mask:0xf
	v_cmp_gt_f32_e32 vcc, v10, v11
	v_cndmask_b32_e32 v10, v11, v10, vcc
	s_nop 1
	v_mov_b32_dpp v11, v10 row_bcast:15 row_mask:0xf bank_mask:0xf
	v_cmp_gt_f32_e32 vcc, v10, v11
	v_cndmask_b32_e32 v10, v11, v10, vcc
	s_nop 1
	v_mov_b32_dpp v11, v10 row_bcast:31 row_mask:0xf bank_mask:0xf
	v_cmp_gt_f32_e32 vcc, v10, v11
	v_cndmask_b32_e32 v10, v11, v10, vcc
	ds_bpermute_b32 v10, v14, v10
	v_cmp_eq_u32_e32 vcc, 0, v0
	s_and_b64 s[2:3], vcc, exec
	s_or_b64 s[0:1], s[0:1], s[2:3]
	s_waitcnt lgkmcnt(0)
	v_mul_f32_e32 v13, 0x3b124925, v10
	v_pk_mov_b32 v[10:11], s[6:7], s[6:7] op_sel:[0,1]
.LBB1_42:
	s_and_saveexec_b64 s[2:3], s[0:1]
	s_cbranch_execz .LBB1_44
; %bb.43:
	v_lshlrev_b64 v[10:11], 2, v[10:11]
	v_mov_b32_e32 v0, s21
	v_add_co_u32_e32 v10, vcc, s20, v10
	v_addc_co_u32_e32 v11, vcc, v0, v11, vcc
	global_store_dword v[10:11], v13, off
.LBB1_44:
	s_or_b64 exec, exec, s[2:3]
	s_add_i32 s0, s9, 3
	;;#ASMSTART
	v_rcp_f32 v10, v13
	;;#ASMEND
	v_mov_b32_e32 v11, v10
	;;#ASMSTART
	v_pk_mul_f32 v[8:9], v[8:9], v[10:11]
	;;#ASMEND
	s_ashr_i32 s1, s0, 31
	v_mov_b32_e32 v0, 0xc3e00000
	v_mov_b32_e32 v12, 0x43e00000
	;;#ASMSTART
	v_med3_f32 v8, v8, v0, v12
v_med3_f32 v9, v9, v0, v12
v_cvt_pk_fp8_f32 v13, v8, v9
	;;#ASMEND
	;;#ASMSTART
	v_pk_mul_f32 v[6:7], v[6:7], v[10:11]
	;;#ASMEND
	s_lshr_b32 s1, s1, 30
	;;#ASMSTART
	v_med3_f32 v6, v6, v0, v12
v_med3_f32 v7, v7, v0, v12
v_cvt_pk_fp8_f32 v8, v6, v7
	;;#ASMEND
	s_mov_b32 s5, 0x5040100
	s_add_i32 s0, s0, s1
	v_perm_b32 v7, v8, v13, s5
	s_movk_i32 s5, 0xff
	s_and_b32 s2, s0, -4
	s_ashr_i32 s0, s13, 31
	v_and_b32_e32 v6, 0xffffff00, v8
	v_and_b32_sdwa v8, v7, s5 dst_sel:DWORD dst_unused:UNUSED_PAD src0_sel:WORD_1 src1_sel:DWORD
	s_mul_hi_u32 s1, s13, s6
	s_mul_i32 s0, s0, s6
	s_mov_b32 s4, 0xffff
	v_or_b32_sdwa v6, v8, v6 dst_sel:WORD_1 dst_unused:UNUSED_PAD src0_sel:DWORD src1_sel:DWORD
	;;#ASMSTART
	v_pk_mul_f32 v[4:5], v[4:5], v[10:11]
	;;#ASMEND
	s_add_i32 s1, s1, s0
	s_mul_i32 s0, s13, s6
	v_and_or_b32 v6, v7, s4, v6
	;;#ASMSTART
	v_med3_f32 v4, v4, v0, v12
v_med3_f32 v5, v5, v0, v12
v_cvt_pk_fp8_f32 v7, v4, v5
	;;#ASMEND
	;;#ASMSTART
	v_pk_mul_f32 v[2:3], v[2:3], v[10:11]
	;;#ASMEND
	s_add_u32 s0, s16, s0
	;;#ASMSTART
	v_med3_f32 v2, v2, v0, v12
v_med3_f32 v3, v3, v0, v12
v_cvt_pk_fp8_f32 v0, v2, v3
	;;#ASMEND
	s_addc_u32 s1, s17, s1
	v_lshlrev_b32_e32 v0, 16, v0
	s_and_b32 s1, s1, 0xffff
	s_mov_b32 s3, 0x20000
	v_and_or_b32 v7, v7, s4, v0
	buffer_store_dwordx2 v[6:7], v1, s[0:3], 0 offen
	;;#ASMSTART
	s_nop 0
	;;#ASMEND
.LBB1_45:
	s_endpgm
.LBB1_46:
                                        ; implicit-def: $vgpr10_vgpr11
	s_branch .LBB1_35
	.section	.rodata,"a",@progbits
	.p2align	6, 0x0
	.amdhsa_kernel _ZN5aiter24add_rmsnorm_quant_kernelIDF16_DB8_Li64ELi8ELb1ELb1ELb1ELi1EEEvPT0_PT_PfS5_S5_S5_diiiiiiib
		.amdhsa_group_segment_fixed_size 0
		.amdhsa_private_segment_fixed_size 0
		.amdhsa_kernarg_size 88
		.amdhsa_user_sgpr_count 6
		.amdhsa_user_sgpr_private_segment_buffer 1
		.amdhsa_user_sgpr_dispatch_ptr 0
		.amdhsa_user_sgpr_queue_ptr 0
		.amdhsa_user_sgpr_kernarg_segment_ptr 1
		.amdhsa_user_sgpr_dispatch_id 0
		.amdhsa_user_sgpr_flat_scratch_init 0
		.amdhsa_user_sgpr_kernarg_preload_length 0
		.amdhsa_user_sgpr_kernarg_preload_offset 0
		.amdhsa_user_sgpr_private_segment_size 0
		.amdhsa_uses_dynamic_stack 0
		.amdhsa_system_sgpr_private_segment_wavefront_offset 0
		.amdhsa_system_sgpr_workgroup_id_x 1
		.amdhsa_system_sgpr_workgroup_id_y 0
		.amdhsa_system_sgpr_workgroup_id_z 0
		.amdhsa_system_sgpr_workgroup_info 0
		.amdhsa_system_vgpr_workitem_id 0
		.amdhsa_next_free_vgpr 38
		.amdhsa_next_free_sgpr 40
		.amdhsa_accum_offset 40
		.amdhsa_reserve_vcc 1
		.amdhsa_reserve_flat_scratch 0
		.amdhsa_float_round_mode_32 0
		.amdhsa_float_round_mode_16_64 0
		.amdhsa_float_denorm_mode_32 3
		.amdhsa_float_denorm_mode_16_64 3
		.amdhsa_dx10_clamp 1
		.amdhsa_ieee_mode 1
		.amdhsa_fp16_overflow 0
		.amdhsa_tg_split 0
		.amdhsa_exception_fp_ieee_invalid_op 0
		.amdhsa_exception_fp_denorm_src 0
		.amdhsa_exception_fp_ieee_div_zero 0
		.amdhsa_exception_fp_ieee_overflow 0
		.amdhsa_exception_fp_ieee_underflow 0
		.amdhsa_exception_fp_ieee_inexact 0
		.amdhsa_exception_int_div_zero 0
	.end_amdhsa_kernel
	.section	.text._ZN5aiter24add_rmsnorm_quant_kernelIDF16_DB8_Li64ELi8ELb1ELb1ELb1ELi1EEEvPT0_PT_PfS5_S5_S5_diiiiiiib,"axG",@progbits,_ZN5aiter24add_rmsnorm_quant_kernelIDF16_DB8_Li64ELi8ELb1ELb1ELb1ELi1EEEvPT0_PT_PfS5_S5_S5_diiiiiiib,comdat
.Lfunc_end1:
	.size	_ZN5aiter24add_rmsnorm_quant_kernelIDF16_DB8_Li64ELi8ELb1ELb1ELb1ELi1EEEvPT0_PT_PfS5_S5_S5_diiiiiiib, .Lfunc_end1-_ZN5aiter24add_rmsnorm_quant_kernelIDF16_DB8_Li64ELi8ELb1ELb1ELb1ELi1EEEvPT0_PT_PfS5_S5_S5_diiiiiiib
                                        ; -- End function
	.section	.AMDGPU.csdata,"",@progbits
; Kernel info:
; codeLenInByte = 3184
; NumSgprs: 44
; NumVgprs: 38
; NumAgprs: 0
; TotalNumVgprs: 38
; ScratchSize: 0
; MemoryBound: 0
; FloatMode: 240
; IeeeMode: 1
; LDSByteSize: 0 bytes/workgroup (compile time only)
; SGPRBlocks: 5
; VGPRBlocks: 4
; NumSGPRsForWavesPerEU: 44
; NumVGPRsForWavesPerEU: 38
; AccumOffset: 40
; Occupancy: 8
; WaveLimiterHint : 0
; COMPUTE_PGM_RSRC2:SCRATCH_EN: 0
; COMPUTE_PGM_RSRC2:USER_SGPR: 6
; COMPUTE_PGM_RSRC2:TRAP_HANDLER: 0
; COMPUTE_PGM_RSRC2:TGID_X_EN: 1
; COMPUTE_PGM_RSRC2:TGID_Y_EN: 0
; COMPUTE_PGM_RSRC2:TGID_Z_EN: 0
; COMPUTE_PGM_RSRC2:TIDIG_COMP_CNT: 0
; COMPUTE_PGM_RSRC3_GFX90A:ACCUM_OFFSET: 9
; COMPUTE_PGM_RSRC3_GFX90A:TG_SPLIT: 0
	.section	.text._ZN5aiter24add_rmsnorm_quant_kernelItDB8_Li64ELi8ELb1ELb1ELb1ELi1EEEvPT0_PT_PfS5_S5_S5_diiiiiiib,"axG",@progbits,_ZN5aiter24add_rmsnorm_quant_kernelItDB8_Li64ELi8ELb1ELb1ELb1ELi1EEEvPT0_PT_PfS5_S5_S5_diiiiiiib,comdat
	.protected	_ZN5aiter24add_rmsnorm_quant_kernelItDB8_Li64ELi8ELb1ELb1ELb1ELi1EEEvPT0_PT_PfS5_S5_S5_diiiiiiib ; -- Begin function _ZN5aiter24add_rmsnorm_quant_kernelItDB8_Li64ELi8ELb1ELb1ELb1ELi1EEEvPT0_PT_PfS5_S5_S5_diiiiiiib
	.globl	_ZN5aiter24add_rmsnorm_quant_kernelItDB8_Li64ELi8ELb1ELb1ELb1ELi1EEEvPT0_PT_PfS5_S5_S5_diiiiiiib
	.p2align	8
	.type	_ZN5aiter24add_rmsnorm_quant_kernelItDB8_Li64ELi8ELb1ELb1ELb1ELi1EEEvPT0_PT_PfS5_S5_S5_diiiiiiib,@function
_ZN5aiter24add_rmsnorm_quant_kernelItDB8_Li64ELi8ELb1ELb1ELb1ELi1EEEvPT0_PT_PfS5_S5_S5_diiiiiiib: ; @_ZN5aiter24add_rmsnorm_quant_kernelItDB8_Li64ELi8ELb1ELb1ELb1ELi1EEEvPT0_PT_PfS5_S5_S5_diiiiiiib
; %bb.0:
	s_load_dwordx8 s[8:15], s[4:5], 0x38
	s_mov_b32 s7, 0
	s_waitcnt lgkmcnt(0)
	s_ashr_i32 s0, s8, 31
	v_mov_b32_e32 v2, s8
	v_mov_b32_e32 v3, s0
	v_cmp_ge_i64_e32 vcc, s[6:7], v[2:3]
	s_cbranch_vccnz .LBB2_45
; %bb.1:
	s_load_dwordx8 s[16:23], s[4:5], 0x0
	s_load_dwordx8 s[24:31], s[4:5], 0x20
	s_ashr_i32 s0, s10, 31
	s_mul_hi_u32 s1, s10, s6
	s_mul_i32 s0, s0, s6
	s_add_i32 s1, s1, s0
	s_mul_i32 s0, s10, s6
	s_lshl_b64 s[0:1], s[0:1], 1
	s_waitcnt lgkmcnt(0)
	s_add_u32 s0, s22, s0
	s_addc_u32 s1, s23, s1
	s_add_i32 s2, s9, 1
	s_lshr_b32 s3, s2, 31
	s_add_i32 s2, s2, s3
	s_lshl_b32 s2, s2, 1
	s_and_b32 s2, s2, -4
	s_and_b32 s1, s1, 0xffff
	s_mov_b32 s3, 0x20000
	v_lshlrev_b32_e32 v15, 4, v0
	buffer_load_dwordx4 v[6:9], v15, s[0:3], 0 offen glc slc
	s_ashr_i32 s0, s11, 31
	s_mul_hi_u32 s1, s11, s6
	s_mul_i32 s0, s0, s6
	s_add_i32 s1, s1, s0
	s_mul_i32 s0, s11, s6
	s_and_b32 s37, s27, 0xffff
	s_lshl_b64 s[0:1], s[0:1], 1
	s_add_u32 s0, s24, s0
	s_addc_u32 s1, s25, s1
	s_mov_b32 s36, s26
	s_mov_b32 s38, s2
	;; [unrolled: 1-line block ×3, first 2 shown]
	s_and_b32 s1, s1, 0xffff
	buffer_load_dwordx4 v[2:5], v15, s[36:39], 0 offen
	buffer_load_dwordx4 v[10:13], v15, s[0:3], 0 offen glc slc
	v_mbcnt_lo_u32_b32 v14, -1, 0
	v_mbcnt_hi_u32_b32 v14, -1, v14
	v_lshlrev_b32_e32 v16, 2, v14
	v_or_b32_e32 v14, 0xfc, v16
	v_cvt_f32_i32_e32 v17, s9
	s_ashr_i32 s4, s12, 31
	s_mul_hi_u32 s1, s12, s6
	s_mul_i32 s4, s4, s6
	s_add_i32 s1, s1, s4
	s_mov_b32 s11, 0x800000
	s_mul_i32 s0, s12, s6
	s_lshl_b64 s[0:1], s[0:1], 1
	s_add_u32 s0, s18, s0
	s_mov_b32 s10, 0x7060302
	s_addc_u32 s1, s19, s1
	s_and_b32 s1, s1, 0xffff
	v_mov_b32_e32 v34, 0x2edbe6ff
	v_lshlrev_b32_e32 v1, 3, v0
	s_cmp_lg_u32 s14, 0
	s_waitcnt vmcnt(2)
	v_cvt_f32_u32_sdwa v19, v6 dst_sel:DWORD dst_unused:UNUSED_PAD src0_sel:WORD_1
	v_cvt_f32_u32_sdwa v18, v6 dst_sel:DWORD dst_unused:UNUSED_PAD src0_sel:WORD_0
	v_cvt_f32_u32_sdwa v21, v7 dst_sel:DWORD dst_unused:UNUSED_PAD src0_sel:WORD_1
	v_cvt_f32_u32_sdwa v20, v7 dst_sel:DWORD dst_unused:UNUSED_PAD src0_sel:WORD_0
	;; [unrolled: 2-line block ×4, first 2 shown]
	s_waitcnt vmcnt(1)
	v_cvt_f32_u32_sdwa v9, v2 dst_sel:DWORD dst_unused:UNUSED_PAD src0_sel:WORD_1
	v_cvt_f32_u32_sdwa v8, v2 dst_sel:DWORD dst_unused:UNUSED_PAD src0_sel:WORD_0
	v_cvt_f32_u32_sdwa v25, v3 dst_sel:DWORD dst_unused:UNUSED_PAD src0_sel:WORD_1
	v_cvt_f32_u32_sdwa v24, v3 dst_sel:DWORD dst_unused:UNUSED_PAD src0_sel:WORD_0
	s_waitcnt vmcnt(0)
	v_cvt_f32_u32_sdwa v3, v10 dst_sel:DWORD dst_unused:UNUSED_PAD src0_sel:WORD_1
	v_cvt_f32_u32_sdwa v2, v10 dst_sel:DWORD dst_unused:UNUSED_PAD src0_sel:WORD_0
	v_cvt_f32_u32_sdwa v31, v11 dst_sel:DWORD dst_unused:UNUSED_PAD src0_sel:WORD_1
	v_cvt_f32_u32_sdwa v30, v11 dst_sel:DWORD dst_unused:UNUSED_PAD src0_sel:WORD_0
	;; [unrolled: 2-line block ×4, first 2 shown]
	v_pk_add_f32 v[12:13], v[18:19], v[2:3]
	v_pk_add_f32 v[18:19], v[20:21], v[30:31]
	v_pk_mul_f32 v[2:3], v[12:13], v[12:13]
	v_pk_mul_f32 v[20:21], v[18:19], v[18:19]
	v_add_f32_e32 v2, v2, v3
	v_pk_add_f32 v[6:7], v[6:7], v[10:11]
	v_add_f32_e32 v2, v20, v2
	v_pk_add_f32 v[10:11], v[22:23], v[32:33]
	v_pk_mul_f32 v[22:23], v[6:7], v[6:7]
	v_add_f32_e32 v2, v21, v2
	v_add_f32_e32 v2, v22, v2
	v_pk_mul_f32 v[30:31], v[10:11], v[10:11]
	v_add_f32_e32 v2, v23, v2
	v_add_f32_e32 v2, v30, v2
	;; [unrolled: 1-line block ×3, first 2 shown]
	v_cvt_f32_u32_sdwa v27, v4 dst_sel:DWORD dst_unused:UNUSED_PAD src0_sel:WORD_1
	v_cvt_f32_u32_sdwa v26, v4 dst_sel:DWORD dst_unused:UNUSED_PAD src0_sel:WORD_0
	v_mov_b32_dpp v3, v2 quad_perm:[1,0,3,2] row_mask:0xf bank_mask:0xf
	v_add_f32_e32 v2, v2, v3
	v_cvt_f32_u32_sdwa v29, v5 dst_sel:DWORD dst_unused:UNUSED_PAD src0_sel:WORD_1
	v_cvt_f32_u32_sdwa v28, v5 dst_sel:DWORD dst_unused:UNUSED_PAD src0_sel:WORD_0
	v_mov_b32_dpp v3, v2 quad_perm:[2,3,0,1] row_mask:0xf bank_mask:0xf
	v_add_f32_e32 v2, v2, v3
	v_perm_b32 v5, v11, v10, s10
	v_perm_b32 v4, v7, v6, s10
	v_mov_b32_dpp v3, v2 row_half_mirror row_mask:0xf bank_mask:0xf
	v_add_f32_e32 v2, v2, v3
	s_nop 1
	v_mov_b32_dpp v3, v2 row_mirror row_mask:0xf bank_mask:0xf
	v_add_f32_e32 v2, v2, v3
	s_nop 1
	v_mov_b32_dpp v3, v2 row_bcast:15 row_mask:0xf bank_mask:0xf
	v_add_f32_e32 v2, v2, v3
	s_nop 1
	v_mov_b32_dpp v3, v2 row_bcast:31 row_mask:0xf bank_mask:0xf
	v_add_f32_e32 v2, v2, v3
	ds_bpermute_b32 v2, v14, v2
	v_perm_b32 v3, v19, v18, s10
	s_waitcnt lgkmcnt(0)
	v_div_scale_f32 v20, s[4:5], v17, v17, v2
	v_rcp_f32_e32 v21, v20
	v_div_scale_f32 v22, vcc, v2, v17, v2
	v_fma_f32 v23, -v20, v21, 1.0
	v_fmac_f32_e32 v21, v23, v21
	v_mul_f32_e32 v23, v22, v21
	v_fma_f32 v30, -v20, v23, v22
	v_fmac_f32_e32 v23, v30, v21
	v_fma_f32 v20, -v20, v23, v22
	v_div_fmas_f32 v20, v20, v21, v23
	v_div_fixup_f32 v2, v20, v17, v2
	v_cvt_f64_f32_e32 v[20:21], v2
	v_add_f64 v[20:21], v[20:21], s[28:29]
	v_cvt_f32_f64_e32 v2, v[20:21]
	v_mul_f32_e32 v17, 0x4b800000, v2
	v_cmp_gt_f32_e32 vcc, s11, v2
	v_cndmask_b32_e32 v2, v2, v17, vcc
	v_rsq_f32_e32 v17, v2
	v_perm_b32 v2, v13, v12, s10
	buffer_store_dwordx4 v[2:5], v15, s[0:3], 0 offen glc slc
	;;#ASMSTART
	s_nop 0
	;;#ASMEND
	s_nop 0
	v_mul_f32_e32 v2, 0x45800000, v17
	v_cndmask_b32_e32 v2, v17, v2, vcc
	v_mov_b32_e32 v3, v2
	;;#ASMSTART
	v_pk_mul_f32 v[4:5], v[12:13], v[2:3]
	;;#ASMEND
	;;#ASMSTART
	v_pk_mul_f32 v[12:13], v[18:19], v[2:3]
	;;#ASMEND
	;; [unrolled: 3-line block ×5, first 2 shown]
	v_and_b32_e32 v10, 0x7fffffff, v8
	;;#ASMSTART
	v_pk_mul_f32 v[6:7], v[12:13], v[24:25]
	;;#ASMEND
	;;#ASMSTART
	v_pk_mul_f32 v[4:5], v[18:19], v[26:27]
	;;#ASMEND
	;; [unrolled: 3-line block ×3, first 2 shown]
	v_and_b32_e32 v11, 0x7fffffff, v9
	;;#ASMSTART
	v_max3_f32 v10, v34, v10, v11

	;;#ASMEND
	v_and_b32_e32 v12, 0x7fffffff, v6
	v_and_b32_e32 v13, 0x7fffffff, v7
	;;#ASMSTART
	v_max3_f32 v10, v10, v12, v13

	;;#ASMEND
	v_and_b32_e32 v15, 0x7fffffff, v4
	v_and_b32_e32 v17, 0x7fffffff, v5
	;; [unrolled: 1-line block ×4, first 2 shown]
	;;#ASMSTART
	v_max3_f32 v10, v10, v15, v17

	;;#ASMEND
	;;#ASMSTART
	v_max3_f32 v12, v10, v18, v19

	;;#ASMEND
	s_cbranch_scc0 .LBB2_8
; %bb.2:
	s_ashr_i32 s12, s14, 31
	s_lshr_b32 s0, s12, 29
	s_add_i32 s0, s14, s0
	s_ashr_i32 s4, s0, 3
	s_cmp_lt_i32 s4, 16
	s_cbranch_scc1 .LBB2_9
; %bb.3:
	s_cmp_lt_i32 s4, 32
	s_cbranch_scc1 .LBB2_10
; %bb.4:
	;; [unrolled: 3-line block ×3, first 2 shown]
	s_cmp_eq_u32 s4, 64
	v_mov_b32_e32 v10, v12
	s_cbranch_scc0 .LBB2_7
; %bb.6:
	s_nop 0
	v_mov_b32_dpp v10, v12 quad_perm:[1,0,3,2] row_mask:0xf bank_mask:0xf
	v_cmp_gt_f32_e32 vcc, v12, v10
	v_cndmask_b32_e32 v10, v10, v12, vcc
	s_nop 1
	v_mov_b32_dpp v11, v10 quad_perm:[2,3,0,1] row_mask:0xf bank_mask:0xf
	v_cmp_gt_f32_e32 vcc, v10, v11
	v_cndmask_b32_e32 v10, v11, v10, vcc
	s_nop 1
	v_mov_b32_dpp v11, v10 row_ror:4 row_mask:0xf bank_mask:0xf
	v_cmp_gt_f32_e32 vcc, v10, v11
	v_cndmask_b32_e32 v10, v11, v10, vcc
	s_nop 1
	v_mov_b32_dpp v11, v10 row_ror:8 row_mask:0xf bank_mask:0xf
	v_cmp_gt_f32_e32 vcc, v10, v11
	v_cndmask_b32_e32 v10, v11, v10, vcc
	s_nop 1
	v_mov_b32_dpp v11, v10 row_bcast:15 row_mask:0xf bank_mask:0xf
	v_cmp_gt_f32_e32 vcc, v10, v11
	v_cndmask_b32_e32 v10, v11, v10, vcc
	s_nop 1
	v_mov_b32_dpp v11, v10 row_bcast:31 row_mask:0xf bank_mask:0xf
	v_cmp_gt_f32_e32 vcc, v10, v11
	v_cndmask_b32_e32 v10, v11, v10, vcc
	ds_bpermute_b32 v10, v14, v10
.LBB2_7:
	s_mov_b64 s[0:1], 0
	s_branch .LBB2_12
.LBB2_8:
	s_mov_b64 s[0:1], 0
                                        ; implicit-def: $vgpr13
                                        ; implicit-def: $vgpr10_vgpr11
	s_cbranch_execnz .LBB2_41
	s_branch .LBB2_42
.LBB2_9:
                                        ; implicit-def: $vgpr10
	s_branch .LBB2_19
.LBB2_10:
                                        ; implicit-def: $vgpr10
	s_branch .LBB2_16
.LBB2_11:
	s_mov_b64 s[0:1], -1
                                        ; implicit-def: $vgpr10
.LBB2_12:
	s_andn2_b64 vcc, exec, s[0:1]
	s_cbranch_vccnz .LBB2_15
; %bb.13:
	s_cmp_eq_u32 s4, 32
	s_waitcnt lgkmcnt(0)
	v_mov_b32_e32 v10, v12
	s_cbranch_scc0 .LBB2_15
; %bb.14:
	s_nop 0
	v_mov_b32_dpp v10, v12 quad_perm:[1,0,3,2] row_mask:0xf bank_mask:0xf
	v_cmp_gt_f32_e32 vcc, v12, v10
	v_cndmask_b32_e32 v10, v10, v12, vcc
	s_nop 1
	v_mov_b32_dpp v11, v10 quad_perm:[2,3,0,1] row_mask:0xf bank_mask:0xf
	v_cmp_gt_f32_e32 vcc, v10, v11
	v_cndmask_b32_e32 v10, v11, v10, vcc
	s_nop 1
	v_mov_b32_dpp v11, v10 row_half_mirror row_mask:0xf bank_mask:0xf
	v_cmp_gt_f32_e32 vcc, v10, v11
	v_cndmask_b32_e32 v10, v11, v10, vcc
	s_nop 1
	v_mov_b32_dpp v11, v10 row_mirror row_mask:0xf bank_mask:0xf
	v_cmp_gt_f32_e32 vcc, v10, v11
	v_cndmask_b32_e32 v10, v11, v10, vcc
	s_nop 1
	v_mov_b32_dpp v11, v10 row_bcast:15 row_mask:0xa bank_mask:0xf
	v_cmp_gt_f32_e32 vcc, v10, v11
	v_cndmask_b32_e32 v10, v11, v10, vcc
	v_or_b32_e32 v11, 0x7c, v16
	ds_bpermute_b32 v10, v11, v10
.LBB2_15:
	s_cbranch_execnz .LBB2_18
.LBB2_16:
	s_cmp_eq_u32 s4, 16
	s_waitcnt lgkmcnt(0)
	v_mov_b32_e32 v10, v12
	s_cbranch_scc0 .LBB2_18
; %bb.17:
	s_nop 0
	v_mov_b32_dpp v10, v12 quad_perm:[1,0,3,2] row_mask:0xf bank_mask:0xf
	v_cmp_gt_f32_e32 vcc, v12, v10
	v_cndmask_b32_e32 v10, v10, v12, vcc
	s_nop 1
	v_mov_b32_dpp v11, v10 quad_perm:[2,3,0,1] row_mask:0xf bank_mask:0xf
	v_cmp_gt_f32_e32 vcc, v10, v11
	v_cndmask_b32_e32 v10, v11, v10, vcc
	s_nop 1
	v_mov_b32_dpp v11, v10 row_half_mirror row_mask:0xf bank_mask:0xf
	v_cmp_gt_f32_e32 vcc, v10, v11
	v_cndmask_b32_e32 v10, v11, v10, vcc
	s_nop 1
	v_mov_b32_dpp v11, v10 row_mirror row_mask:0xf bank_mask:0xf
	v_cmp_gt_f32_e32 vcc, v10, v11
	v_cndmask_b32_e32 v10, v11, v10, vcc
.LBB2_18:
	s_cbranch_execnz .LBB2_31
.LBB2_19:
	s_cmp_lt_i32 s4, 4
	s_cbranch_scc1 .LBB2_23
; %bb.20:
	s_cmp_lt_i32 s4, 8
	s_cbranch_scc1 .LBB2_24
; %bb.21:
	s_cmp_eq_u32 s4, 8
	s_waitcnt lgkmcnt(0)
	v_mov_b32_e32 v10, v12
	s_cbranch_scc0 .LBB2_25
; %bb.22:
	s_nop 0
	v_mov_b32_dpp v10, v12 quad_perm:[1,0,3,2] row_mask:0xf bank_mask:0xf
	v_cmp_gt_f32_e32 vcc, v12, v10
	v_cndmask_b32_e32 v10, v10, v12, vcc
	s_nop 1
	v_mov_b32_dpp v11, v10 quad_perm:[2,3,0,1] row_mask:0xf bank_mask:0xf
	v_cmp_gt_f32_e32 vcc, v10, v11
	v_cndmask_b32_e32 v10, v11, v10, vcc
	s_nop 1
	v_mov_b32_dpp v11, v10 row_half_mirror row_mask:0xf bank_mask:0xf
	v_cmp_gt_f32_e32 vcc, v10, v11
	v_cndmask_b32_e32 v10, v11, v10, vcc
	s_cbranch_execz .LBB2_26
	s_branch .LBB2_28
.LBB2_23:
                                        ; implicit-def: $vgpr10
	s_branch .LBB2_29
.LBB2_24:
                                        ; implicit-def: $vgpr10
	s_branch .LBB2_26
.LBB2_25:
	s_cbranch_execnz .LBB2_28
.LBB2_26:
	s_cmp_eq_u32 s4, 4
	s_waitcnt lgkmcnt(0)
	v_mov_b32_e32 v10, v12
	s_cbranch_scc0 .LBB2_28
; %bb.27:
	s_nop 0
	v_mov_b32_dpp v10, v12 quad_perm:[1,0,3,2] row_mask:0xf bank_mask:0xf
	v_cmp_gt_f32_e32 vcc, v12, v10
	v_cndmask_b32_e32 v10, v10, v12, vcc
	s_nop 1
	v_mov_b32_dpp v11, v10 quad_perm:[2,3,0,1] row_mask:0xf bank_mask:0xf
	v_cmp_gt_f32_e32 vcc, v10, v11
	v_cndmask_b32_e32 v10, v11, v10, vcc
.LBB2_28:
	s_cbranch_execnz .LBB2_31
.LBB2_29:
	s_cmp_lg_u32 s4, 2
	s_waitcnt lgkmcnt(0)
	v_mov_b32_e32 v10, v12
	s_cbranch_scc1 .LBB2_31
; %bb.30:
	s_nop 0
	v_mov_b32_dpp v10, v12 quad_perm:[1,0,3,2] row_mask:0xf bank_mask:0xf
	v_cmp_gt_f32_e32 vcc, v12, v10
	v_cndmask_b32_e32 v10, v10, v12, vcc
.LBB2_31:
	v_cvt_f32_u32_e32 v11, s4
	s_waitcnt lgkmcnt(0)
	v_mul_f32_e32 v13, 0x3b124925, v10
	s_sub_i32 s0, 0, s4
	v_cmp_gt_u32_e32 vcc, s9, v1
	v_rcp_iflag_f32_e32 v11, v11
	s_mov_b64 s[2:3], 0
	v_mul_f32_e32 v10, 0x4f7ffffe, v11
	v_cvt_u32_f32_e32 v10, v10
	v_mul_lo_u32 v11, s0, v10
	v_mul_hi_u32 v11, v10, v11
	v_add_u32_e32 v10, v10, v11
	v_mul_hi_u32 v10, v0, v10
	v_mul_lo_u32 v11, v10, s4
	v_sub_u32_e32 v11, v0, v11
	v_add_u32_e32 v15, 1, v10
	v_cmp_le_u32_e64 s[0:1], s4, v11
	v_cndmask_b32_e64 v10, v10, v15, s[0:1]
	v_subrev_u32_e32 v15, s4, v11
	v_cndmask_b32_e64 v11, v11, v15, s[0:1]
	v_add_u32_e32 v15, 1, v10
	v_cmp_le_u32_e64 s[0:1], s4, v11
	v_cndmask_b32_e64 v15, v10, v15, s[0:1]
	v_mul_lo_u32 v10, v15, s4
	v_sub_u32_e32 v10, v0, v10
	v_cmp_eq_u32_e64 s[0:1], 0, v10
	s_and_b64 s[4:5], s[0:1], vcc
	s_mov_b64 s[0:1], 0
                                        ; implicit-def: $vgpr10_vgpr11
	s_and_saveexec_b64 s[10:11], s[4:5]
	s_xor_b64 s[4:5], exec, s[10:11]
	s_cbranch_execz .LBB2_40
; %bb.32:
	s_bitcmp0_b32 s15, 0
	s_cbranch_scc0 .LBB2_37
; %bb.33:
	s_ashr_i32 s0, s9, 31
	s_mul_hi_u32 s1, s9, s6
	s_mul_i32 s0, s0, s6
	s_add_i32 s11, s1, s0
	s_mul_i32 s10, s9, s6
	s_mov_b32 s15, s12
	s_or_b64 s[0:1], s[10:11], s[14:15]
	s_mov_b32 s0, 0
	s_cmp_lg_u64 s[0:1], 0
	s_cbranch_scc0 .LBB2_46
; %bb.34:
	s_add_u32 s0, s14, s15
	s_mov_b32 s22, s15
	s_mov_b32 s23, s15
	s_addc_u32 s1, s15, s15
	s_xor_b64 s[24:25], s[0:1], s[22:23]
	v_cvt_f32_u32_e32 v10, s24
	v_cvt_f32_u32_e32 v11, s25
	s_sub_u32 s0, 0, s24
	s_subb_u32 s1, 0, s25
	v_madmk_f32 v10, v11, 0x4f800000, v10
	v_rcp_f32_e32 v10, v10
	v_mul_f32_e32 v10, 0x5f7ffffc, v10
	v_mul_f32_e32 v11, 0x2f800000, v10
	v_trunc_f32_e32 v11, v11
	v_madmk_f32 v10, v11, 0xcf800000, v10
	v_cvt_u32_f32_e32 v11, v11
	v_cvt_u32_f32_e32 v10, v10
	v_readfirstlane_b32 s12, v11
	v_readfirstlane_b32 s15, v10
	s_mul_i32 s26, s0, s12
	s_mul_hi_u32 s28, s0, s15
	s_mul_i32 s27, s1, s15
	s_add_i32 s26, s28, s26
	s_add_i32 s26, s26, s27
	s_mul_i32 s29, s0, s15
	s_mul_hi_u32 s27, s15, s26
	s_mul_i32 s28, s15, s26
	s_mul_hi_u32 s15, s15, s29
	s_add_u32 s15, s15, s28
	s_addc_u32 s27, 0, s27
	s_mul_hi_u32 s30, s12, s29
	s_mul_i32 s29, s12, s29
	s_add_u32 s15, s15, s29
	s_mul_hi_u32 s28, s12, s26
	s_addc_u32 s15, s27, s30
	s_addc_u32 s27, s28, 0
	s_mul_i32 s26, s12, s26
	s_add_u32 s15, s15, s26
	s_addc_u32 s26, 0, s27
	v_add_co_u32_e32 v10, vcc, s15, v10
	s_cmp_lg_u64 vcc, 0
	s_addc_u32 s12, s12, s26
	v_readfirstlane_b32 s26, v10
	s_mul_i32 s15, s0, s12
	s_mul_hi_u32 s27, s0, s26
	s_add_i32 s15, s27, s15
	s_mul_i32 s1, s1, s26
	s_add_i32 s15, s15, s1
	s_mul_i32 s0, s0, s26
	s_mul_hi_u32 s27, s12, s0
	s_mul_i32 s28, s12, s0
	s_mul_i32 s30, s26, s15
	s_mul_hi_u32 s0, s26, s0
	s_mul_hi_u32 s29, s26, s15
	s_add_u32 s0, s0, s30
	s_addc_u32 s26, 0, s29
	s_add_u32 s0, s0, s28
	s_mul_hi_u32 s1, s12, s15
	s_addc_u32 s0, s26, s27
	s_addc_u32 s1, s1, 0
	s_mul_i32 s15, s12, s15
	s_add_u32 s0, s0, s15
	s_addc_u32 s1, 0, s1
	v_add_co_u32_e32 v10, vcc, s0, v10
	s_cmp_lg_u64 vcc, 0
	s_addc_u32 s12, s12, s1
	s_ashr_i32 s26, s11, 31
	s_add_u32 s0, s10, s26
	s_mov_b32 s27, s26
	s_addc_u32 s1, s11, s26
	s_xor_b64 s[28:29], s[0:1], s[26:27]
	v_readfirstlane_b32 s11, v10
	s_mul_i32 s1, s28, s12
	s_mul_hi_u32 s15, s28, s11
	s_mul_hi_u32 s0, s28, s12
	s_add_u32 s1, s15, s1
	s_addc_u32 s0, 0, s0
	s_mul_hi_u32 s30, s29, s11
	s_mul_i32 s11, s29, s11
	s_add_u32 s1, s1, s11
	s_mul_hi_u32 s15, s29, s12
	s_addc_u32 s0, s0, s30
	s_addc_u32 s1, s15, 0
	s_mul_i32 s11, s29, s12
	s_add_u32 s11, s0, s11
	s_addc_u32 s12, 0, s1
	s_mul_i32 s0, s24, s12
	s_mul_hi_u32 s1, s24, s11
	s_add_i32 s0, s1, s0
	s_mul_i32 s1, s25, s11
	s_add_i32 s15, s0, s1
	s_mul_i32 s1, s24, s11
	v_mov_b32_e32 v10, s1
	s_sub_i32 s0, s29, s15
	v_sub_co_u32_e32 v10, vcc, s28, v10
	s_cmp_lg_u64 vcc, 0
	s_subb_u32 s28, s0, s25
	v_subrev_co_u32_e64 v11, s[0:1], s24, v10
	s_cmp_lg_u64 s[0:1], 0
	s_subb_u32 s28, s28, 0
	s_cmp_ge_u32 s28, s25
	s_cselect_b32 s30, -1, 0
	v_cmp_le_u32_e64 s[0:1], s24, v11
	s_cmp_eq_u32 s28, s25
	v_cndmask_b32_e64 v11, 0, -1, s[0:1]
	v_mov_b32_e32 v16, s30
	s_cselect_b64 s[0:1], -1, 0
	v_cndmask_b32_e64 v11, v16, v11, s[0:1]
	s_add_u32 s0, s11, 1
	s_addc_u32 s28, s12, 0
	s_add_u32 s1, s11, 2
	s_addc_u32 s30, s12, 0
	v_mov_b32_e32 v16, s0
	v_mov_b32_e32 v17, s1
	v_cmp_ne_u32_e64 s[0:1], 0, v11
	v_cndmask_b32_e64 v11, v16, v17, s[0:1]
	v_mov_b32_e32 v16, s28
	v_mov_b32_e32 v17, s30
	s_cmp_lg_u64 vcc, 0
	v_cndmask_b32_e64 v16, v16, v17, s[0:1]
	s_subb_u32 s0, s29, s15
	s_cmp_ge_u32 s0, s25
	s_cselect_b32 s1, -1, 0
	v_cmp_le_u32_e32 vcc, s24, v10
	s_cmp_eq_u32 s0, s25
	v_cndmask_b32_e64 v10, 0, -1, vcc
	v_mov_b32_e32 v17, s1
	s_cselect_b64 vcc, -1, 0
	v_cndmask_b32_e32 v10, v17, v10, vcc
	v_mov_b32_e32 v17, s12
	v_cmp_ne_u32_e32 vcc, 0, v10
	v_cndmask_b32_e32 v10, v17, v16, vcc
	v_mov_b32_e32 v16, s11
	v_cndmask_b32_e32 v11, v16, v11, vcc
	s_xor_b64 s[0:1], s[26:27], s[22:23]
	v_xor_b32_e32 v11, s0, v11
	v_xor_b32_e32 v16, s1, v10
	v_mov_b32_e32 v17, s1
	v_subrev_co_u32_e32 v10, vcc, s0, v11
	v_subb_co_u32_e32 v11, vcc, v16, v17, vcc
	s_cbranch_execnz .LBB2_36
.LBB2_35:
	v_cvt_f32_u32_e32 v10, s14
	s_sub_i32 s0, 0, s14
	s_mov_b32 s1, 0
	v_rcp_iflag_f32_e32 v10, v10
	v_mul_f32_e32 v10, 0x4f7ffffe, v10
	v_cvt_u32_f32_e32 v10, v10
	v_readfirstlane_b32 s11, v10
	s_mul_i32 s0, s0, s11
	s_mul_hi_u32 s0, s11, s0
	s_add_i32 s11, s11, s0
	s_mul_hi_u32 s0, s10, s11
	s_mul_i32 s12, s0, s14
	s_sub_i32 s10, s10, s12
	s_add_i32 s11, s0, 1
	s_sub_i32 s12, s10, s14
	s_cmp_ge_u32 s10, s14
	s_cselect_b32 s0, s11, s0
	s_cselect_b32 s10, s12, s10
	s_add_i32 s11, s0, 1
	s_cmp_ge_u32 s10, s14
	s_cselect_b32 s0, s11, s0
	v_pk_mov_b32 v[10:11], s[0:1], s[0:1] op_sel:[0,1]
.LBB2_36:
	v_add_co_u32_e32 v10, vcc, v10, v15
	v_addc_co_u32_e32 v11, vcc, 0, v11, vcc
	s_branch .LBB2_39
.LBB2_37:
                                        ; implicit-def: $vgpr10_vgpr11
	s_cbranch_execz .LBB2_39
; %bb.38:
	v_mul_lo_u32 v10, v15, s8
	v_ashrrev_i32_e32 v11, 31, v10
	v_mov_b32_e32 v15, s7
	v_add_co_u32_e32 v10, vcc, s6, v10
	v_addc_co_u32_e32 v11, vcc, v11, v15, vcc
.LBB2_39:
	s_mov_b64 s[0:1], exec
.LBB2_40:
	s_or_b64 exec, exec, s[4:5]
	s_and_b64 vcc, exec, s[2:3]
	s_cbranch_vccz .LBB2_42
.LBB2_41:
	v_mov_b32_dpp v10, v12 quad_perm:[1,0,3,2] row_mask:0xf bank_mask:0xf
	v_cmp_gt_f32_e32 vcc, v12, v10
	v_cndmask_b32_e32 v10, v10, v12, vcc
	s_andn2_b64 s[0:1], s[0:1], exec
	s_nop 0
	v_mov_b32_dpp v11, v10 quad_perm:[2,3,0,1] row_mask:0xf bank_mask:0xf
	v_cmp_gt_f32_e32 vcc, v10, v11
	v_cndmask_b32_e32 v10, v11, v10, vcc
	s_nop 1
	v_mov_b32_dpp v11, v10 row_half_mirror row_mask:0xf bank_mask:0xf
	v_cmp_gt_f32_e32 vcc, v10, v11
	v_cndmask_b32_e32 v10, v11, v10, vcc
	s_nop 1
	v_mov_b32_dpp v11, v10 row_mirror row_mask:0xf bank_mask:0xf
	v_cmp_gt_f32_e32 vcc, v10, v11
	v_cndmask_b32_e32 v10, v11, v10, vcc
	s_nop 1
	v_mov_b32_dpp v11, v10 row_bcast:15 row_mask:0xf bank_mask:0xf
	v_cmp_gt_f32_e32 vcc, v10, v11
	v_cndmask_b32_e32 v10, v11, v10, vcc
	s_nop 1
	v_mov_b32_dpp v11, v10 row_bcast:31 row_mask:0xf bank_mask:0xf
	v_cmp_gt_f32_e32 vcc, v10, v11
	v_cndmask_b32_e32 v10, v11, v10, vcc
	ds_bpermute_b32 v10, v14, v10
	v_cmp_eq_u32_e32 vcc, 0, v0
	s_and_b64 s[2:3], vcc, exec
	s_or_b64 s[0:1], s[0:1], s[2:3]
	s_waitcnt lgkmcnt(0)
	v_mul_f32_e32 v13, 0x3b124925, v10
	v_pk_mov_b32 v[10:11], s[6:7], s[6:7] op_sel:[0,1]
.LBB2_42:
	s_and_saveexec_b64 s[2:3], s[0:1]
	s_cbranch_execz .LBB2_44
; %bb.43:
	v_lshlrev_b64 v[10:11], 2, v[10:11]
	v_mov_b32_e32 v0, s21
	v_add_co_u32_e32 v10, vcc, s20, v10
	v_addc_co_u32_e32 v11, vcc, v0, v11, vcc
	global_store_dword v[10:11], v13, off
.LBB2_44:
	s_or_b64 exec, exec, s[2:3]
	s_add_i32 s0, s9, 3
	;;#ASMSTART
	v_rcp_f32 v10, v13
	;;#ASMEND
	v_mov_b32_e32 v11, v10
	;;#ASMSTART
	v_pk_mul_f32 v[8:9], v[8:9], v[10:11]
	;;#ASMEND
	s_ashr_i32 s1, s0, 31
	v_mov_b32_e32 v0, 0xc3e00000
	v_mov_b32_e32 v12, 0x43e00000
	;;#ASMSTART
	v_med3_f32 v8, v8, v0, v12
v_med3_f32 v9, v9, v0, v12
v_cvt_pk_fp8_f32 v13, v8, v9
	;;#ASMEND
	;;#ASMSTART
	v_pk_mul_f32 v[6:7], v[6:7], v[10:11]
	;;#ASMEND
	s_lshr_b32 s1, s1, 30
	;;#ASMSTART
	v_med3_f32 v6, v6, v0, v12
v_med3_f32 v7, v7, v0, v12
v_cvt_pk_fp8_f32 v8, v6, v7
	;;#ASMEND
	s_mov_b32 s5, 0x5040100
	s_add_i32 s0, s0, s1
	v_perm_b32 v7, v8, v13, s5
	s_movk_i32 s5, 0xff
	s_and_b32 s2, s0, -4
	s_ashr_i32 s0, s13, 31
	v_and_b32_e32 v6, 0xffffff00, v8
	v_and_b32_sdwa v8, v7, s5 dst_sel:DWORD dst_unused:UNUSED_PAD src0_sel:WORD_1 src1_sel:DWORD
	s_mul_hi_u32 s1, s13, s6
	s_mul_i32 s0, s0, s6
	s_mov_b32 s4, 0xffff
	v_or_b32_sdwa v6, v8, v6 dst_sel:WORD_1 dst_unused:UNUSED_PAD src0_sel:DWORD src1_sel:DWORD
	;;#ASMSTART
	v_pk_mul_f32 v[4:5], v[4:5], v[10:11]
	;;#ASMEND
	s_add_i32 s1, s1, s0
	s_mul_i32 s0, s13, s6
	v_and_or_b32 v6, v7, s4, v6
	;;#ASMSTART
	v_med3_f32 v4, v4, v0, v12
v_med3_f32 v5, v5, v0, v12
v_cvt_pk_fp8_f32 v7, v4, v5
	;;#ASMEND
	;;#ASMSTART
	v_pk_mul_f32 v[2:3], v[2:3], v[10:11]
	;;#ASMEND
	s_add_u32 s0, s16, s0
	;;#ASMSTART
	v_med3_f32 v2, v2, v0, v12
v_med3_f32 v3, v3, v0, v12
v_cvt_pk_fp8_f32 v0, v2, v3
	;;#ASMEND
	s_addc_u32 s1, s17, s1
	v_lshlrev_b32_e32 v0, 16, v0
	s_and_b32 s1, s1, 0xffff
	s_mov_b32 s3, 0x20000
	v_and_or_b32 v7, v7, s4, v0
	buffer_store_dwordx2 v[6:7], v1, s[0:3], 0 offen
	;;#ASMSTART
	s_nop 0
	;;#ASMEND
.LBB2_45:
	s_endpgm
.LBB2_46:
                                        ; implicit-def: $vgpr10_vgpr11
	s_branch .LBB2_35
	.section	.rodata,"a",@progbits
	.p2align	6, 0x0
	.amdhsa_kernel _ZN5aiter24add_rmsnorm_quant_kernelItDB8_Li64ELi8ELb1ELb1ELb1ELi1EEEvPT0_PT_PfS5_S5_S5_diiiiiiib
		.amdhsa_group_segment_fixed_size 0
		.amdhsa_private_segment_fixed_size 0
		.amdhsa_kernarg_size 88
		.amdhsa_user_sgpr_count 6
		.amdhsa_user_sgpr_private_segment_buffer 1
		.amdhsa_user_sgpr_dispatch_ptr 0
		.amdhsa_user_sgpr_queue_ptr 0
		.amdhsa_user_sgpr_kernarg_segment_ptr 1
		.amdhsa_user_sgpr_dispatch_id 0
		.amdhsa_user_sgpr_flat_scratch_init 0
		.amdhsa_user_sgpr_kernarg_preload_length 0
		.amdhsa_user_sgpr_kernarg_preload_offset 0
		.amdhsa_user_sgpr_private_segment_size 0
		.amdhsa_uses_dynamic_stack 0
		.amdhsa_system_sgpr_private_segment_wavefront_offset 0
		.amdhsa_system_sgpr_workgroup_id_x 1
		.amdhsa_system_sgpr_workgroup_id_y 0
		.amdhsa_system_sgpr_workgroup_id_z 0
		.amdhsa_system_sgpr_workgroup_info 0
		.amdhsa_system_vgpr_workitem_id 0
		.amdhsa_next_free_vgpr 35
		.amdhsa_next_free_sgpr 40
		.amdhsa_accum_offset 36
		.amdhsa_reserve_vcc 1
		.amdhsa_reserve_flat_scratch 0
		.amdhsa_float_round_mode_32 0
		.amdhsa_float_round_mode_16_64 0
		.amdhsa_float_denorm_mode_32 3
		.amdhsa_float_denorm_mode_16_64 3
		.amdhsa_dx10_clamp 1
		.amdhsa_ieee_mode 1
		.amdhsa_fp16_overflow 0
		.amdhsa_tg_split 0
		.amdhsa_exception_fp_ieee_invalid_op 0
		.amdhsa_exception_fp_denorm_src 0
		.amdhsa_exception_fp_ieee_div_zero 0
		.amdhsa_exception_fp_ieee_overflow 0
		.amdhsa_exception_fp_ieee_underflow 0
		.amdhsa_exception_fp_ieee_inexact 0
		.amdhsa_exception_int_div_zero 0
	.end_amdhsa_kernel
	.section	.text._ZN5aiter24add_rmsnorm_quant_kernelItDB8_Li64ELi8ELb1ELb1ELb1ELi1EEEvPT0_PT_PfS5_S5_S5_diiiiiiib,"axG",@progbits,_ZN5aiter24add_rmsnorm_quant_kernelItDB8_Li64ELi8ELb1ELb1ELb1ELi1EEEvPT0_PT_PfS5_S5_S5_diiiiiiib,comdat
.Lfunc_end2:
	.size	_ZN5aiter24add_rmsnorm_quant_kernelItDB8_Li64ELi8ELb1ELb1ELb1ELi1EEEvPT0_PT_PfS5_S5_S5_diiiiiiib, .Lfunc_end2-_ZN5aiter24add_rmsnorm_quant_kernelItDB8_Li64ELi8ELb1ELb1ELb1ELi1EEEvPT0_PT_PfS5_S5_S5_diiiiiiib
                                        ; -- End function
	.section	.AMDGPU.csdata,"",@progbits
; Kernel info:
; codeLenInByte = 3224
; NumSgprs: 44
; NumVgprs: 35
; NumAgprs: 0
; TotalNumVgprs: 35
; ScratchSize: 0
; MemoryBound: 0
; FloatMode: 240
; IeeeMode: 1
; LDSByteSize: 0 bytes/workgroup (compile time only)
; SGPRBlocks: 5
; VGPRBlocks: 4
; NumSGPRsForWavesPerEU: 44
; NumVGPRsForWavesPerEU: 35
; AccumOffset: 36
; Occupancy: 8
; WaveLimiterHint : 0
; COMPUTE_PGM_RSRC2:SCRATCH_EN: 0
; COMPUTE_PGM_RSRC2:USER_SGPR: 6
; COMPUTE_PGM_RSRC2:TRAP_HANDLER: 0
; COMPUTE_PGM_RSRC2:TGID_X_EN: 1
; COMPUTE_PGM_RSRC2:TGID_Y_EN: 0
; COMPUTE_PGM_RSRC2:TGID_Z_EN: 0
; COMPUTE_PGM_RSRC2:TIDIG_COMP_CNT: 0
; COMPUTE_PGM_RSRC3_GFX90A:ACCUM_OFFSET: 8
; COMPUTE_PGM_RSRC3_GFX90A:TG_SPLIT: 0
	.section	.text._ZN5aiter24add_rmsnorm_quant_kernelIDF16_DB8_Li64ELi8ELb1ELb1ELb0ELi1EEEvPT0_PT_PfS5_S5_S5_diiiiiiib,"axG",@progbits,_ZN5aiter24add_rmsnorm_quant_kernelIDF16_DB8_Li64ELi8ELb1ELb1ELb0ELi1EEEvPT0_PT_PfS5_S5_S5_diiiiiiib,comdat
	.protected	_ZN5aiter24add_rmsnorm_quant_kernelIDF16_DB8_Li64ELi8ELb1ELb1ELb0ELi1EEEvPT0_PT_PfS5_S5_S5_diiiiiiib ; -- Begin function _ZN5aiter24add_rmsnorm_quant_kernelIDF16_DB8_Li64ELi8ELb1ELb1ELb0ELi1EEEvPT0_PT_PfS5_S5_S5_diiiiiiib
	.globl	_ZN5aiter24add_rmsnorm_quant_kernelIDF16_DB8_Li64ELi8ELb1ELb1ELb0ELi1EEEvPT0_PT_PfS5_S5_S5_diiiiiiib
	.p2align	8
	.type	_ZN5aiter24add_rmsnorm_quant_kernelIDF16_DB8_Li64ELi8ELb1ELb1ELb0ELi1EEEvPT0_PT_PfS5_S5_S5_diiiiiiib,@function
_ZN5aiter24add_rmsnorm_quant_kernelIDF16_DB8_Li64ELi8ELb1ELb1ELb0ELi1EEEvPT0_PT_PfS5_S5_S5_diiiiiiib: ; @_ZN5aiter24add_rmsnorm_quant_kernelIDF16_DB8_Li64ELi8ELb1ELb1ELb0ELi1EEEvPT0_PT_PfS5_S5_S5_diiiiiiib
; %bb.0:
	s_load_dwordx8 s[8:15], s[4:5], 0x38
	s_mov_b32 s7, 0
	s_waitcnt lgkmcnt(0)
	s_ashr_i32 s0, s8, 31
	v_mov_b32_e32 v2, s8
	v_mov_b32_e32 v3, s0
	v_cmp_ge_i64_e32 vcc, s[6:7], v[2:3]
	s_cbranch_vccnz .LBB3_45
; %bb.1:
	s_load_dwordx8 s[16:23], s[4:5], 0x0
	s_load_dwordx8 s[24:31], s[4:5], 0x20
	s_ashr_i32 s0, s10, 31
	s_mul_hi_u32 s1, s10, s6
	s_mul_i32 s0, s0, s6
	s_add_i32 s1, s1, s0
	s_mul_i32 s0, s10, s6
	s_lshl_b64 s[0:1], s[0:1], 1
	s_waitcnt lgkmcnt(0)
	s_add_u32 s0, s22, s0
	s_addc_u32 s1, s23, s1
	s_add_i32 s2, s9, 1
	s_lshr_b32 s3, s2, 31
	s_add_i32 s2, s2, s3
	s_lshl_b32 s2, s2, 1
	s_and_b32 s2, s2, -4
	s_and_b32 s1, s1, 0xffff
	s_mov_b32 s3, 0x20000
	v_lshlrev_b32_e32 v15, 4, v0
	buffer_load_dwordx4 v[2:5], v15, s[0:3], 0 offen glc slc
	s_ashr_i32 s0, s11, 31
	s_mul_hi_u32 s1, s11, s6
	s_mul_i32 s0, s0, s6
	s_add_i32 s1, s1, s0
	s_mul_i32 s0, s11, s6
	s_and_b32 s37, s27, 0xffff
	s_lshl_b64 s[0:1], s[0:1], 1
	s_add_u32 s0, s24, s0
	s_addc_u32 s1, s25, s1
	s_and_b32 s1, s1, 0xffff
	buffer_load_dwordx4 v[6:9], v15, s[0:3], 0 offen glc slc
	s_mov_b32 s36, s26
	s_mov_b32 s38, s2
	;; [unrolled: 1-line block ×3, first 2 shown]
	buffer_load_dwordx4 v[10:13], v15, s[36:39], 0 offen
	v_mbcnt_lo_u32_b32 v14, -1, 0
	v_mbcnt_hi_u32_b32 v14, -1, v14
	v_lshlrev_b32_e32 v16, 2, v14
	v_or_b32_e32 v14, 0xfc, v16
	v_cvt_f32_i32_e32 v17, s9
	s_ashr_i32 s4, s12, 31
	s_mul_hi_u32 s1, s12, s6
	s_mul_i32 s4, s4, s6
	s_add_i32 s1, s1, s4
	s_mov_b32 s10, 0x800000
	s_mul_i32 s0, s12, s6
	s_lshl_b64 s[0:1], s[0:1], 1
	s_add_u32 s0, s18, s0
	s_addc_u32 s1, s19, s1
	s_and_b32 s1, s1, 0xffff
	v_mov_b32_e32 v30, 0x2edbe6ff
	v_lshlrev_b32_e32 v1, 3, v0
	s_cmp_lg_u32 s14, 0
	s_waitcnt vmcnt(2)
	v_cvt_f32_f16_e32 v18, v2
	v_cvt_f32_f16_sdwa v19, v2 dst_sel:DWORD dst_unused:UNUSED_PAD src0_sel:WORD_1
	v_cvt_f32_f16_e32 v2, v3
	v_cvt_f32_f16_sdwa v3, v3 dst_sel:DWORD dst_unused:UNUSED_PAD src0_sel:WORD_1
	;; [unrolled: 2-line block ×4, first 2 shown]
	s_waitcnt vmcnt(1)
	v_cvt_f32_f16_e32 v26, v6
	v_cvt_f32_f16_sdwa v27, v6 dst_sel:DWORD dst_unused:UNUSED_PAD src0_sel:WORD_1
	v_cvt_f32_f16_e32 v6, v7
	v_cvt_f32_f16_sdwa v7, v7 dst_sel:DWORD dst_unused:UNUSED_PAD src0_sel:WORD_1
	;; [unrolled: 2-line block ×4, first 2 shown]
	v_pk_add_f32 v[18:19], v[18:19], v[26:27]
	v_pk_add_f32 v[6:7], v[2:3], v[6:7]
	v_pk_mul_f32 v[2:3], v[18:19], v[18:19]
	v_pk_add_f32 v[8:9], v[4:5], v[8:9]
	v_pk_mul_f32 v[4:5], v[6:7], v[6:7]
	v_add_f32_e32 v2, v2, v3
	v_pk_add_f32 v[20:21], v[20:21], v[28:29]
	v_add_f32_e32 v2, v4, v2
	v_pk_mul_f32 v[26:27], v[20:21], v[20:21]
	v_add_f32_e32 v2, v5, v2
	v_add_f32_e32 v2, v26, v2
	v_pk_mul_f32 v[28:29], v[8:9], v[8:9]
	v_add_f32_e32 v2, v27, v2
	v_add_f32_e32 v2, v28, v2
	v_add_f32_e32 v2, v29, v2
	v_cvt_f16_f32_e32 v33, v7
	v_cvt_f16_f32_e32 v31, v19
	v_mov_b32_dpp v3, v2 quad_perm:[1,0,3,2] row_mask:0xf bank_mask:0xf
	v_add_f32_e32 v2, v2, v3
	v_cvt_f16_f32_e32 v32, v18
	v_cvt_f16_f32_e32 v34, v21
	v_mov_b32_dpp v3, v2 quad_perm:[2,3,0,1] row_mask:0xf bank_mask:0xf
	v_add_f32_e32 v2, v2, v3
	v_cvt_f16_f32_e32 v35, v20
	v_cvt_f16_f32_e32 v36, v9
	v_mov_b32_dpp v3, v2 row_half_mirror row_mask:0xf bank_mask:0xf
	v_add_f32_e32 v2, v2, v3
	v_cvt_f16_f32_e32 v37, v8
	v_pack_b32_f16 v4, v35, v34
	v_mov_b32_dpp v3, v2 row_mirror row_mask:0xf bank_mask:0xf
	v_add_f32_e32 v2, v2, v3
	v_pack_b32_f16 v5, v37, v36
	s_waitcnt vmcnt(0)
	v_cvt_f32_f16_e32 v22, v10
	v_mov_b32_dpp v3, v2 row_bcast:15 row_mask:0xf bank_mask:0xf
	v_add_f32_e32 v2, v2, v3
	v_cvt_f32_f16_sdwa v23, v10 dst_sel:DWORD dst_unused:UNUSED_PAD src0_sel:WORD_1
	v_cvt_f32_f16_e32 v10, v11
	v_mov_b32_dpp v3, v2 row_bcast:31 row_mask:0xf bank_mask:0xf
	v_add_f32_e32 v2, v2, v3
	ds_bpermute_b32 v2, v14, v2
	v_cvt_f16_f32_e32 v3, v6
	v_cvt_f32_f16_sdwa v11, v11 dst_sel:DWORD dst_unused:UNUSED_PAD src0_sel:WORD_1
	v_cvt_f32_f16_e32 v24, v12
	v_cvt_f32_f16_sdwa v25, v12 dst_sel:DWORD dst_unused:UNUSED_PAD src0_sel:WORD_1
	s_waitcnt lgkmcnt(0)
	v_div_scale_f32 v26, s[4:5], v17, v17, v2
	v_rcp_f32_e32 v27, v26
	v_div_scale_f32 v28, vcc, v2, v17, v2
	v_pack_b32_f16 v3, v3, v33
	v_fma_f32 v29, -v26, v27, 1.0
	v_fmac_f32_e32 v27, v29, v27
	v_mul_f32_e32 v29, v28, v27
	v_fma_f32 v33, -v26, v29, v28
	v_fmac_f32_e32 v29, v33, v27
	v_fma_f32 v26, -v26, v29, v28
	v_div_fmas_f32 v26, v26, v27, v29
	v_div_fixup_f32 v2, v26, v17, v2
	v_cvt_f64_f32_e32 v[26:27], v2
	v_add_f64 v[26:27], v[26:27], s[28:29]
	v_cvt_f32_f64_e32 v2, v[26:27]
	v_mul_f32_e32 v17, 0x4b800000, v2
	v_cmp_gt_f32_e32 vcc, s10, v2
	v_cndmask_b32_e32 v2, v2, v17, vcc
	v_rsq_f32_e32 v17, v2
	v_pack_b32_f16 v2, v32, v31
	buffer_store_dwordx4 v[2:5], v15, s[0:3], 0 offen glc slc
	;;#ASMSTART
	s_nop 0
	;;#ASMEND
	v_cvt_f32_f16_e32 v12, v13
	v_mul_f32_e32 v2, 0x45800000, v17
	v_cndmask_b32_e32 v2, v17, v2, vcc
	v_mov_b32_e32 v3, v2
	;;#ASMSTART
	v_pk_mul_f32 v[4:5], v[18:19], v[2:3]
	;;#ASMEND
	;;#ASMSTART
	v_pk_mul_f32 v[6:7], v[6:7], v[2:3]
	;;#ASMEND
	;; [unrolled: 3-line block ×6, first 2 shown]
	v_and_b32_e32 v10, 0x7fffffff, v8
	v_cvt_f32_f16_sdwa v13, v13 dst_sel:DWORD dst_unused:UNUSED_PAD src0_sel:WORD_1
	;;#ASMSTART
	v_pk_mul_f32 v[4:5], v[18:19], v[24:25]
	;;#ASMEND
	;;#ASMSTART
	v_pk_mul_f32 v[2:3], v[2:3], v[12:13]
	;;#ASMEND
	v_and_b32_e32 v11, 0x7fffffff, v9
	v_and_b32_e32 v12, 0x7fffffff, v6
	;;#ASMSTART
	v_max3_f32 v10, v30, v10, v11

	;;#ASMEND
	v_and_b32_e32 v11, 0x7fffffff, v7
	;;#ASMSTART
	v_max3_f32 v10, v10, v12, v11

	;;#ASMEND
	v_and_b32_e32 v12, 0x7fffffff, v5
	v_and_b32_e32 v11, 0x7fffffff, v4
	;;#ASMSTART
	v_max3_f32 v10, v10, v11, v12

	;;#ASMEND
	v_and_b32_e32 v12, 0x7fffffff, v3
	v_and_b32_e32 v11, 0x7fffffff, v2
	;;#ASMSTART
	v_max3_f32 v12, v10, v11, v12

	;;#ASMEND
	s_cbranch_scc0 .LBB3_8
; %bb.2:
	s_ashr_i32 s12, s14, 31
	s_lshr_b32 s0, s12, 29
	s_add_i32 s0, s14, s0
	s_ashr_i32 s4, s0, 3
	s_cmp_lt_i32 s4, 16
	s_cbranch_scc1 .LBB3_9
; %bb.3:
	s_cmp_lt_i32 s4, 32
	s_cbranch_scc1 .LBB3_10
; %bb.4:
	;; [unrolled: 3-line block ×3, first 2 shown]
	s_cmp_eq_u32 s4, 64
	v_mov_b32_e32 v10, v12
	s_cbranch_scc0 .LBB3_7
; %bb.6:
	s_nop 0
	v_mov_b32_dpp v10, v12 quad_perm:[1,0,3,2] row_mask:0xf bank_mask:0xf
	v_cmp_gt_f32_e32 vcc, v12, v10
	v_cndmask_b32_e32 v10, v10, v12, vcc
	s_nop 1
	v_mov_b32_dpp v11, v10 quad_perm:[2,3,0,1] row_mask:0xf bank_mask:0xf
	v_cmp_gt_f32_e32 vcc, v10, v11
	v_cndmask_b32_e32 v10, v11, v10, vcc
	s_nop 1
	v_mov_b32_dpp v11, v10 row_ror:4 row_mask:0xf bank_mask:0xf
	v_cmp_gt_f32_e32 vcc, v10, v11
	v_cndmask_b32_e32 v10, v11, v10, vcc
	s_nop 1
	v_mov_b32_dpp v11, v10 row_ror:8 row_mask:0xf bank_mask:0xf
	v_cmp_gt_f32_e32 vcc, v10, v11
	v_cndmask_b32_e32 v10, v11, v10, vcc
	s_nop 1
	v_mov_b32_dpp v11, v10 row_bcast:15 row_mask:0xf bank_mask:0xf
	v_cmp_gt_f32_e32 vcc, v10, v11
	v_cndmask_b32_e32 v10, v11, v10, vcc
	s_nop 1
	v_mov_b32_dpp v11, v10 row_bcast:31 row_mask:0xf bank_mask:0xf
	v_cmp_gt_f32_e32 vcc, v10, v11
	v_cndmask_b32_e32 v10, v11, v10, vcc
	ds_bpermute_b32 v10, v14, v10
.LBB3_7:
	s_mov_b64 s[0:1], 0
	s_branch .LBB3_12
.LBB3_8:
	s_mov_b64 s[0:1], 0
                                        ; implicit-def: $vgpr13
                                        ; implicit-def: $vgpr10_vgpr11
	s_cbranch_execnz .LBB3_41
	s_branch .LBB3_42
.LBB3_9:
                                        ; implicit-def: $vgpr10
	s_branch .LBB3_19
.LBB3_10:
                                        ; implicit-def: $vgpr10
	s_branch .LBB3_16
.LBB3_11:
	s_mov_b64 s[0:1], -1
                                        ; implicit-def: $vgpr10
.LBB3_12:
	s_andn2_b64 vcc, exec, s[0:1]
	s_cbranch_vccnz .LBB3_15
; %bb.13:
	s_cmp_eq_u32 s4, 32
	s_waitcnt lgkmcnt(0)
	v_mov_b32_e32 v10, v12
	s_cbranch_scc0 .LBB3_15
; %bb.14:
	s_nop 0
	v_mov_b32_dpp v10, v12 quad_perm:[1,0,3,2] row_mask:0xf bank_mask:0xf
	v_cmp_gt_f32_e32 vcc, v12, v10
	v_cndmask_b32_e32 v10, v10, v12, vcc
	s_nop 1
	v_mov_b32_dpp v11, v10 quad_perm:[2,3,0,1] row_mask:0xf bank_mask:0xf
	v_cmp_gt_f32_e32 vcc, v10, v11
	v_cndmask_b32_e32 v10, v11, v10, vcc
	s_nop 1
	v_mov_b32_dpp v11, v10 row_half_mirror row_mask:0xf bank_mask:0xf
	v_cmp_gt_f32_e32 vcc, v10, v11
	v_cndmask_b32_e32 v10, v11, v10, vcc
	s_nop 1
	v_mov_b32_dpp v11, v10 row_mirror row_mask:0xf bank_mask:0xf
	v_cmp_gt_f32_e32 vcc, v10, v11
	v_cndmask_b32_e32 v10, v11, v10, vcc
	s_nop 1
	v_mov_b32_dpp v11, v10 row_bcast:15 row_mask:0xa bank_mask:0xf
	v_cmp_gt_f32_e32 vcc, v10, v11
	v_cndmask_b32_e32 v10, v11, v10, vcc
	v_or_b32_e32 v11, 0x7c, v16
	ds_bpermute_b32 v10, v11, v10
.LBB3_15:
	s_cbranch_execnz .LBB3_18
.LBB3_16:
	s_cmp_eq_u32 s4, 16
	s_waitcnt lgkmcnt(0)
	v_mov_b32_e32 v10, v12
	s_cbranch_scc0 .LBB3_18
; %bb.17:
	s_nop 0
	v_mov_b32_dpp v10, v12 quad_perm:[1,0,3,2] row_mask:0xf bank_mask:0xf
	v_cmp_gt_f32_e32 vcc, v12, v10
	v_cndmask_b32_e32 v10, v10, v12, vcc
	s_nop 1
	v_mov_b32_dpp v11, v10 quad_perm:[2,3,0,1] row_mask:0xf bank_mask:0xf
	v_cmp_gt_f32_e32 vcc, v10, v11
	v_cndmask_b32_e32 v10, v11, v10, vcc
	s_nop 1
	v_mov_b32_dpp v11, v10 row_half_mirror row_mask:0xf bank_mask:0xf
	v_cmp_gt_f32_e32 vcc, v10, v11
	v_cndmask_b32_e32 v10, v11, v10, vcc
	s_nop 1
	v_mov_b32_dpp v11, v10 row_mirror row_mask:0xf bank_mask:0xf
	v_cmp_gt_f32_e32 vcc, v10, v11
	v_cndmask_b32_e32 v10, v11, v10, vcc
.LBB3_18:
	s_cbranch_execnz .LBB3_31
.LBB3_19:
	s_cmp_lt_i32 s4, 4
	s_cbranch_scc1 .LBB3_23
; %bb.20:
	s_cmp_lt_i32 s4, 8
	s_cbranch_scc1 .LBB3_24
; %bb.21:
	s_cmp_eq_u32 s4, 8
	s_waitcnt lgkmcnt(0)
	v_mov_b32_e32 v10, v12
	s_cbranch_scc0 .LBB3_25
; %bb.22:
	s_nop 0
	v_mov_b32_dpp v10, v12 quad_perm:[1,0,3,2] row_mask:0xf bank_mask:0xf
	v_cmp_gt_f32_e32 vcc, v12, v10
	v_cndmask_b32_e32 v10, v10, v12, vcc
	s_nop 1
	v_mov_b32_dpp v11, v10 quad_perm:[2,3,0,1] row_mask:0xf bank_mask:0xf
	v_cmp_gt_f32_e32 vcc, v10, v11
	v_cndmask_b32_e32 v10, v11, v10, vcc
	s_nop 1
	v_mov_b32_dpp v11, v10 row_half_mirror row_mask:0xf bank_mask:0xf
	v_cmp_gt_f32_e32 vcc, v10, v11
	v_cndmask_b32_e32 v10, v11, v10, vcc
	s_cbranch_execz .LBB3_26
	s_branch .LBB3_28
.LBB3_23:
                                        ; implicit-def: $vgpr10
	s_branch .LBB3_29
.LBB3_24:
                                        ; implicit-def: $vgpr10
	s_branch .LBB3_26
.LBB3_25:
	s_cbranch_execnz .LBB3_28
.LBB3_26:
	s_cmp_eq_u32 s4, 4
	s_waitcnt lgkmcnt(0)
	v_mov_b32_e32 v10, v12
	s_cbranch_scc0 .LBB3_28
; %bb.27:
	s_nop 0
	v_mov_b32_dpp v10, v12 quad_perm:[1,0,3,2] row_mask:0xf bank_mask:0xf
	v_cmp_gt_f32_e32 vcc, v12, v10
	v_cndmask_b32_e32 v10, v10, v12, vcc
	s_nop 1
	v_mov_b32_dpp v11, v10 quad_perm:[2,3,0,1] row_mask:0xf bank_mask:0xf
	v_cmp_gt_f32_e32 vcc, v10, v11
	v_cndmask_b32_e32 v10, v11, v10, vcc
.LBB3_28:
	s_cbranch_execnz .LBB3_31
.LBB3_29:
	s_cmp_lg_u32 s4, 2
	s_waitcnt lgkmcnt(0)
	v_mov_b32_e32 v10, v12
	s_cbranch_scc1 .LBB3_31
; %bb.30:
	s_nop 0
	v_mov_b32_dpp v10, v12 quad_perm:[1,0,3,2] row_mask:0xf bank_mask:0xf
	v_cmp_gt_f32_e32 vcc, v12, v10
	v_cndmask_b32_e32 v10, v10, v12, vcc
.LBB3_31:
	v_cvt_f32_u32_e32 v11, s4
	s_waitcnt lgkmcnt(0)
	v_mul_f32_e32 v13, 0x3b124925, v10
	s_sub_i32 s0, 0, s4
	v_cmp_gt_u32_e32 vcc, s9, v1
	v_rcp_iflag_f32_e32 v11, v11
	s_mov_b64 s[2:3], 0
	v_mul_f32_e32 v10, 0x4f7ffffe, v11
	v_cvt_u32_f32_e32 v10, v10
	v_mul_lo_u32 v11, s0, v10
	v_mul_hi_u32 v11, v10, v11
	v_add_u32_e32 v10, v10, v11
	v_mul_hi_u32 v10, v0, v10
	v_mul_lo_u32 v11, v10, s4
	v_sub_u32_e32 v11, v0, v11
	v_add_u32_e32 v15, 1, v10
	v_cmp_le_u32_e64 s[0:1], s4, v11
	v_cndmask_b32_e64 v10, v10, v15, s[0:1]
	v_subrev_u32_e32 v15, s4, v11
	v_cndmask_b32_e64 v11, v11, v15, s[0:1]
	v_add_u32_e32 v15, 1, v10
	v_cmp_le_u32_e64 s[0:1], s4, v11
	v_cndmask_b32_e64 v15, v10, v15, s[0:1]
	v_mul_lo_u32 v10, v15, s4
	v_sub_u32_e32 v10, v0, v10
	v_cmp_eq_u32_e64 s[0:1], 0, v10
	s_and_b64 s[4:5], s[0:1], vcc
	s_mov_b64 s[0:1], 0
                                        ; implicit-def: $vgpr10_vgpr11
	s_and_saveexec_b64 s[10:11], s[4:5]
	s_xor_b64 s[4:5], exec, s[10:11]
	s_cbranch_execz .LBB3_40
; %bb.32:
	s_bitcmp0_b32 s15, 0
	s_cbranch_scc0 .LBB3_37
; %bb.33:
	s_ashr_i32 s0, s9, 31
	s_mul_hi_u32 s1, s9, s6
	s_mul_i32 s0, s0, s6
	s_add_i32 s11, s1, s0
	s_mul_i32 s10, s9, s6
	s_mov_b32 s15, s12
	s_or_b64 s[0:1], s[10:11], s[14:15]
	s_mov_b32 s0, 0
	s_cmp_lg_u64 s[0:1], 0
	s_cbranch_scc0 .LBB3_46
; %bb.34:
	s_add_u32 s0, s14, s15
	s_mov_b32 s22, s15
	s_mov_b32 s23, s15
	s_addc_u32 s1, s15, s15
	s_xor_b64 s[24:25], s[0:1], s[22:23]
	v_cvt_f32_u32_e32 v10, s24
	v_cvt_f32_u32_e32 v11, s25
	s_sub_u32 s0, 0, s24
	s_subb_u32 s1, 0, s25
	v_madmk_f32 v10, v11, 0x4f800000, v10
	v_rcp_f32_e32 v10, v10
	v_mul_f32_e32 v10, 0x5f7ffffc, v10
	v_mul_f32_e32 v11, 0x2f800000, v10
	v_trunc_f32_e32 v11, v11
	v_madmk_f32 v10, v11, 0xcf800000, v10
	v_cvt_u32_f32_e32 v11, v11
	v_cvt_u32_f32_e32 v10, v10
	v_readfirstlane_b32 s12, v11
	v_readfirstlane_b32 s15, v10
	s_mul_i32 s26, s0, s12
	s_mul_hi_u32 s28, s0, s15
	s_mul_i32 s27, s1, s15
	s_add_i32 s26, s28, s26
	s_add_i32 s26, s26, s27
	s_mul_i32 s29, s0, s15
	s_mul_hi_u32 s27, s15, s26
	s_mul_i32 s28, s15, s26
	s_mul_hi_u32 s15, s15, s29
	s_add_u32 s15, s15, s28
	s_addc_u32 s27, 0, s27
	s_mul_hi_u32 s30, s12, s29
	s_mul_i32 s29, s12, s29
	s_add_u32 s15, s15, s29
	s_mul_hi_u32 s28, s12, s26
	s_addc_u32 s15, s27, s30
	s_addc_u32 s27, s28, 0
	s_mul_i32 s26, s12, s26
	s_add_u32 s15, s15, s26
	s_addc_u32 s26, 0, s27
	v_add_co_u32_e32 v10, vcc, s15, v10
	s_cmp_lg_u64 vcc, 0
	s_addc_u32 s12, s12, s26
	v_readfirstlane_b32 s26, v10
	s_mul_i32 s15, s0, s12
	s_mul_hi_u32 s27, s0, s26
	s_add_i32 s15, s27, s15
	s_mul_i32 s1, s1, s26
	s_add_i32 s15, s15, s1
	s_mul_i32 s0, s0, s26
	s_mul_hi_u32 s27, s12, s0
	s_mul_i32 s28, s12, s0
	s_mul_i32 s30, s26, s15
	s_mul_hi_u32 s0, s26, s0
	s_mul_hi_u32 s29, s26, s15
	s_add_u32 s0, s0, s30
	s_addc_u32 s26, 0, s29
	s_add_u32 s0, s0, s28
	s_mul_hi_u32 s1, s12, s15
	s_addc_u32 s0, s26, s27
	s_addc_u32 s1, s1, 0
	s_mul_i32 s15, s12, s15
	s_add_u32 s0, s0, s15
	s_addc_u32 s1, 0, s1
	v_add_co_u32_e32 v10, vcc, s0, v10
	s_cmp_lg_u64 vcc, 0
	s_addc_u32 s12, s12, s1
	s_ashr_i32 s26, s11, 31
	s_add_u32 s0, s10, s26
	s_mov_b32 s27, s26
	s_addc_u32 s1, s11, s26
	s_xor_b64 s[28:29], s[0:1], s[26:27]
	v_readfirstlane_b32 s11, v10
	s_mul_i32 s1, s28, s12
	s_mul_hi_u32 s15, s28, s11
	s_mul_hi_u32 s0, s28, s12
	s_add_u32 s1, s15, s1
	s_addc_u32 s0, 0, s0
	s_mul_hi_u32 s30, s29, s11
	s_mul_i32 s11, s29, s11
	s_add_u32 s1, s1, s11
	s_mul_hi_u32 s15, s29, s12
	s_addc_u32 s0, s0, s30
	s_addc_u32 s1, s15, 0
	s_mul_i32 s11, s29, s12
	s_add_u32 s11, s0, s11
	s_addc_u32 s12, 0, s1
	s_mul_i32 s0, s24, s12
	s_mul_hi_u32 s1, s24, s11
	s_add_i32 s0, s1, s0
	s_mul_i32 s1, s25, s11
	s_add_i32 s15, s0, s1
	s_mul_i32 s1, s24, s11
	v_mov_b32_e32 v10, s1
	s_sub_i32 s0, s29, s15
	v_sub_co_u32_e32 v10, vcc, s28, v10
	s_cmp_lg_u64 vcc, 0
	s_subb_u32 s28, s0, s25
	v_subrev_co_u32_e64 v11, s[0:1], s24, v10
	s_cmp_lg_u64 s[0:1], 0
	s_subb_u32 s28, s28, 0
	s_cmp_ge_u32 s28, s25
	s_cselect_b32 s30, -1, 0
	v_cmp_le_u32_e64 s[0:1], s24, v11
	s_cmp_eq_u32 s28, s25
	v_cndmask_b32_e64 v11, 0, -1, s[0:1]
	v_mov_b32_e32 v16, s30
	s_cselect_b64 s[0:1], -1, 0
	v_cndmask_b32_e64 v11, v16, v11, s[0:1]
	s_add_u32 s0, s11, 1
	s_addc_u32 s28, s12, 0
	s_add_u32 s1, s11, 2
	s_addc_u32 s30, s12, 0
	v_mov_b32_e32 v16, s0
	v_mov_b32_e32 v17, s1
	v_cmp_ne_u32_e64 s[0:1], 0, v11
	v_cndmask_b32_e64 v11, v16, v17, s[0:1]
	v_mov_b32_e32 v16, s28
	v_mov_b32_e32 v17, s30
	s_cmp_lg_u64 vcc, 0
	v_cndmask_b32_e64 v16, v16, v17, s[0:1]
	s_subb_u32 s0, s29, s15
	s_cmp_ge_u32 s0, s25
	s_cselect_b32 s1, -1, 0
	v_cmp_le_u32_e32 vcc, s24, v10
	s_cmp_eq_u32 s0, s25
	v_cndmask_b32_e64 v10, 0, -1, vcc
	v_mov_b32_e32 v17, s1
	s_cselect_b64 vcc, -1, 0
	v_cndmask_b32_e32 v10, v17, v10, vcc
	v_mov_b32_e32 v17, s12
	v_cmp_ne_u32_e32 vcc, 0, v10
	v_cndmask_b32_e32 v10, v17, v16, vcc
	v_mov_b32_e32 v16, s11
	v_cndmask_b32_e32 v11, v16, v11, vcc
	s_xor_b64 s[0:1], s[26:27], s[22:23]
	v_xor_b32_e32 v11, s0, v11
	v_xor_b32_e32 v16, s1, v10
	v_mov_b32_e32 v17, s1
	v_subrev_co_u32_e32 v10, vcc, s0, v11
	v_subb_co_u32_e32 v11, vcc, v16, v17, vcc
	s_cbranch_execnz .LBB3_36
.LBB3_35:
	v_cvt_f32_u32_e32 v10, s14
	s_sub_i32 s0, 0, s14
	s_mov_b32 s1, 0
	v_rcp_iflag_f32_e32 v10, v10
	v_mul_f32_e32 v10, 0x4f7ffffe, v10
	v_cvt_u32_f32_e32 v10, v10
	v_readfirstlane_b32 s11, v10
	s_mul_i32 s0, s0, s11
	s_mul_hi_u32 s0, s11, s0
	s_add_i32 s11, s11, s0
	s_mul_hi_u32 s0, s10, s11
	s_mul_i32 s12, s0, s14
	s_sub_i32 s10, s10, s12
	s_add_i32 s11, s0, 1
	s_sub_i32 s12, s10, s14
	s_cmp_ge_u32 s10, s14
	s_cselect_b32 s0, s11, s0
	s_cselect_b32 s10, s12, s10
	s_add_i32 s11, s0, 1
	s_cmp_ge_u32 s10, s14
	s_cselect_b32 s0, s11, s0
	v_pk_mov_b32 v[10:11], s[0:1], s[0:1] op_sel:[0,1]
.LBB3_36:
	v_add_co_u32_e32 v10, vcc, v10, v15
	v_addc_co_u32_e32 v11, vcc, 0, v11, vcc
	s_branch .LBB3_39
.LBB3_37:
                                        ; implicit-def: $vgpr10_vgpr11
	s_cbranch_execz .LBB3_39
; %bb.38:
	v_mul_lo_u32 v10, v15, s8
	v_ashrrev_i32_e32 v11, 31, v10
	v_mov_b32_e32 v15, s7
	v_add_co_u32_e32 v10, vcc, s6, v10
	v_addc_co_u32_e32 v11, vcc, v11, v15, vcc
.LBB3_39:
	s_mov_b64 s[0:1], exec
.LBB3_40:
	s_or_b64 exec, exec, s[4:5]
	s_and_b64 vcc, exec, s[2:3]
	s_cbranch_vccz .LBB3_42
.LBB3_41:
	v_mov_b32_dpp v10, v12 quad_perm:[1,0,3,2] row_mask:0xf bank_mask:0xf
	v_cmp_gt_f32_e32 vcc, v12, v10
	v_cndmask_b32_e32 v10, v10, v12, vcc
	s_andn2_b64 s[0:1], s[0:1], exec
	s_nop 0
	v_mov_b32_dpp v11, v10 quad_perm:[2,3,0,1] row_mask:0xf bank_mask:0xf
	v_cmp_gt_f32_e32 vcc, v10, v11
	v_cndmask_b32_e32 v10, v11, v10, vcc
	s_nop 1
	v_mov_b32_dpp v11, v10 row_half_mirror row_mask:0xf bank_mask:0xf
	v_cmp_gt_f32_e32 vcc, v10, v11
	v_cndmask_b32_e32 v10, v11, v10, vcc
	s_nop 1
	v_mov_b32_dpp v11, v10 row_mirror row_mask:0xf bank_mask:0xf
	v_cmp_gt_f32_e32 vcc, v10, v11
	v_cndmask_b32_e32 v10, v11, v10, vcc
	s_nop 1
	v_mov_b32_dpp v11, v10 row_bcast:15 row_mask:0xf bank_mask:0xf
	v_cmp_gt_f32_e32 vcc, v10, v11
	v_cndmask_b32_e32 v10, v11, v10, vcc
	s_nop 1
	v_mov_b32_dpp v11, v10 row_bcast:31 row_mask:0xf bank_mask:0xf
	v_cmp_gt_f32_e32 vcc, v10, v11
	v_cndmask_b32_e32 v10, v11, v10, vcc
	ds_bpermute_b32 v10, v14, v10
	v_cmp_eq_u32_e32 vcc, 0, v0
	s_and_b64 s[2:3], vcc, exec
	s_or_b64 s[0:1], s[0:1], s[2:3]
	s_waitcnt lgkmcnt(0)
	v_mul_f32_e32 v13, 0x3b124925, v10
	v_pk_mov_b32 v[10:11], s[6:7], s[6:7] op_sel:[0,1]
.LBB3_42:
	s_and_saveexec_b64 s[2:3], s[0:1]
	s_cbranch_execz .LBB3_44
; %bb.43:
	v_lshlrev_b64 v[10:11], 2, v[10:11]
	v_mov_b32_e32 v0, s21
	v_add_co_u32_e32 v10, vcc, s20, v10
	v_addc_co_u32_e32 v11, vcc, v0, v11, vcc
	global_store_dword v[10:11], v13, off
.LBB3_44:
	s_or_b64 exec, exec, s[2:3]
	s_add_i32 s0, s9, 3
	;;#ASMSTART
	v_rcp_f32 v10, v13
	;;#ASMEND
	v_mov_b32_e32 v11, v10
	;;#ASMSTART
	v_pk_mul_f32 v[8:9], v[8:9], v[10:11]
	;;#ASMEND
	s_ashr_i32 s1, s0, 31
	v_mov_b32_e32 v0, 0xc3e00000
	v_mov_b32_e32 v12, 0x43e00000
	;;#ASMSTART
	v_med3_f32 v8, v8, v0, v12
v_med3_f32 v9, v9, v0, v12
v_cvt_pk_fp8_f32 v13, v8, v9
	;;#ASMEND
	;;#ASMSTART
	v_pk_mul_f32 v[6:7], v[6:7], v[10:11]
	;;#ASMEND
	s_lshr_b32 s1, s1, 30
	;;#ASMSTART
	v_med3_f32 v6, v6, v0, v12
v_med3_f32 v7, v7, v0, v12
v_cvt_pk_fp8_f32 v8, v6, v7
	;;#ASMEND
	s_mov_b32 s5, 0x5040100
	s_add_i32 s0, s0, s1
	v_perm_b32 v7, v8, v13, s5
	s_movk_i32 s5, 0xff
	s_and_b32 s2, s0, -4
	s_ashr_i32 s0, s13, 31
	v_and_b32_e32 v6, 0xffffff00, v8
	v_and_b32_sdwa v8, v7, s5 dst_sel:DWORD dst_unused:UNUSED_PAD src0_sel:WORD_1 src1_sel:DWORD
	s_mul_hi_u32 s1, s13, s6
	s_mul_i32 s0, s0, s6
	s_mov_b32 s4, 0xffff
	v_or_b32_sdwa v6, v8, v6 dst_sel:WORD_1 dst_unused:UNUSED_PAD src0_sel:DWORD src1_sel:DWORD
	;;#ASMSTART
	v_pk_mul_f32 v[4:5], v[4:5], v[10:11]
	;;#ASMEND
	s_add_i32 s1, s1, s0
	s_mul_i32 s0, s13, s6
	v_and_or_b32 v6, v7, s4, v6
	;;#ASMSTART
	v_med3_f32 v4, v4, v0, v12
v_med3_f32 v5, v5, v0, v12
v_cvt_pk_fp8_f32 v7, v4, v5
	;;#ASMEND
	;;#ASMSTART
	v_pk_mul_f32 v[2:3], v[2:3], v[10:11]
	;;#ASMEND
	s_add_u32 s0, s16, s0
	;;#ASMSTART
	v_med3_f32 v2, v2, v0, v12
v_med3_f32 v3, v3, v0, v12
v_cvt_pk_fp8_f32 v0, v2, v3
	;;#ASMEND
	s_addc_u32 s1, s17, s1
	v_lshlrev_b32_e32 v0, 16, v0
	s_and_b32 s1, s1, 0xffff
	s_mov_b32 s3, 0x20000
	v_and_or_b32 v7, v7, s4, v0
	buffer_store_dwordx2 v[6:7], v1, s[0:3], 0 offen
	;;#ASMSTART
	s_nop 0
	;;#ASMEND
.LBB3_45:
	s_endpgm
.LBB3_46:
                                        ; implicit-def: $vgpr10_vgpr11
	s_branch .LBB3_35
	.section	.rodata,"a",@progbits
	.p2align	6, 0x0
	.amdhsa_kernel _ZN5aiter24add_rmsnorm_quant_kernelIDF16_DB8_Li64ELi8ELb1ELb1ELb0ELi1EEEvPT0_PT_PfS5_S5_S5_diiiiiiib
		.amdhsa_group_segment_fixed_size 0
		.amdhsa_private_segment_fixed_size 0
		.amdhsa_kernarg_size 88
		.amdhsa_user_sgpr_count 6
		.amdhsa_user_sgpr_private_segment_buffer 1
		.amdhsa_user_sgpr_dispatch_ptr 0
		.amdhsa_user_sgpr_queue_ptr 0
		.amdhsa_user_sgpr_kernarg_segment_ptr 1
		.amdhsa_user_sgpr_dispatch_id 0
		.amdhsa_user_sgpr_flat_scratch_init 0
		.amdhsa_user_sgpr_kernarg_preload_length 0
		.amdhsa_user_sgpr_kernarg_preload_offset 0
		.amdhsa_user_sgpr_private_segment_size 0
		.amdhsa_uses_dynamic_stack 0
		.amdhsa_system_sgpr_private_segment_wavefront_offset 0
		.amdhsa_system_sgpr_workgroup_id_x 1
		.amdhsa_system_sgpr_workgroup_id_y 0
		.amdhsa_system_sgpr_workgroup_id_z 0
		.amdhsa_system_sgpr_workgroup_info 0
		.amdhsa_system_vgpr_workitem_id 0
		.amdhsa_next_free_vgpr 38
		.amdhsa_next_free_sgpr 40
		.amdhsa_accum_offset 40
		.amdhsa_reserve_vcc 1
		.amdhsa_reserve_flat_scratch 0
		.amdhsa_float_round_mode_32 0
		.amdhsa_float_round_mode_16_64 0
		.amdhsa_float_denorm_mode_32 3
		.amdhsa_float_denorm_mode_16_64 3
		.amdhsa_dx10_clamp 1
		.amdhsa_ieee_mode 1
		.amdhsa_fp16_overflow 0
		.amdhsa_tg_split 0
		.amdhsa_exception_fp_ieee_invalid_op 0
		.amdhsa_exception_fp_denorm_src 0
		.amdhsa_exception_fp_ieee_div_zero 0
		.amdhsa_exception_fp_ieee_overflow 0
		.amdhsa_exception_fp_ieee_underflow 0
		.amdhsa_exception_fp_ieee_inexact 0
		.amdhsa_exception_int_div_zero 0
	.end_amdhsa_kernel
	.section	.text._ZN5aiter24add_rmsnorm_quant_kernelIDF16_DB8_Li64ELi8ELb1ELb1ELb0ELi1EEEvPT0_PT_PfS5_S5_S5_diiiiiiib,"axG",@progbits,_ZN5aiter24add_rmsnorm_quant_kernelIDF16_DB8_Li64ELi8ELb1ELb1ELb0ELi1EEEvPT0_PT_PfS5_S5_S5_diiiiiiib,comdat
.Lfunc_end3:
	.size	_ZN5aiter24add_rmsnorm_quant_kernelIDF16_DB8_Li64ELi8ELb1ELb1ELb0ELi1EEEvPT0_PT_PfS5_S5_S5_diiiiiiib, .Lfunc_end3-_ZN5aiter24add_rmsnorm_quant_kernelIDF16_DB8_Li64ELi8ELb1ELb1ELb0ELi1EEEvPT0_PT_PfS5_S5_S5_diiiiiiib
                                        ; -- End function
	.section	.AMDGPU.csdata,"",@progbits
; Kernel info:
; codeLenInByte = 3184
; NumSgprs: 44
; NumVgprs: 38
; NumAgprs: 0
; TotalNumVgprs: 38
; ScratchSize: 0
; MemoryBound: 0
; FloatMode: 240
; IeeeMode: 1
; LDSByteSize: 0 bytes/workgroup (compile time only)
; SGPRBlocks: 5
; VGPRBlocks: 4
; NumSGPRsForWavesPerEU: 44
; NumVGPRsForWavesPerEU: 38
; AccumOffset: 40
; Occupancy: 8
; WaveLimiterHint : 0
; COMPUTE_PGM_RSRC2:SCRATCH_EN: 0
; COMPUTE_PGM_RSRC2:USER_SGPR: 6
; COMPUTE_PGM_RSRC2:TRAP_HANDLER: 0
; COMPUTE_PGM_RSRC2:TGID_X_EN: 1
; COMPUTE_PGM_RSRC2:TGID_Y_EN: 0
; COMPUTE_PGM_RSRC2:TGID_Z_EN: 0
; COMPUTE_PGM_RSRC2:TIDIG_COMP_CNT: 0
; COMPUTE_PGM_RSRC3_GFX90A:ACCUM_OFFSET: 9
; COMPUTE_PGM_RSRC3_GFX90A:TG_SPLIT: 0
	.section	.text._ZN5aiter24add_rmsnorm_quant_kernelItDB8_Li64ELi8ELb1ELb1ELb0ELi1EEEvPT0_PT_PfS5_S5_S5_diiiiiiib,"axG",@progbits,_ZN5aiter24add_rmsnorm_quant_kernelItDB8_Li64ELi8ELb1ELb1ELb0ELi1EEEvPT0_PT_PfS5_S5_S5_diiiiiiib,comdat
	.protected	_ZN5aiter24add_rmsnorm_quant_kernelItDB8_Li64ELi8ELb1ELb1ELb0ELi1EEEvPT0_PT_PfS5_S5_S5_diiiiiiib ; -- Begin function _ZN5aiter24add_rmsnorm_quant_kernelItDB8_Li64ELi8ELb1ELb1ELb0ELi1EEEvPT0_PT_PfS5_S5_S5_diiiiiiib
	.globl	_ZN5aiter24add_rmsnorm_quant_kernelItDB8_Li64ELi8ELb1ELb1ELb0ELi1EEEvPT0_PT_PfS5_S5_S5_diiiiiiib
	.p2align	8
	.type	_ZN5aiter24add_rmsnorm_quant_kernelItDB8_Li64ELi8ELb1ELb1ELb0ELi1EEEvPT0_PT_PfS5_S5_S5_diiiiiiib,@function
_ZN5aiter24add_rmsnorm_quant_kernelItDB8_Li64ELi8ELb1ELb1ELb0ELi1EEEvPT0_PT_PfS5_S5_S5_diiiiiiib: ; @_ZN5aiter24add_rmsnorm_quant_kernelItDB8_Li64ELi8ELb1ELb1ELb0ELi1EEEvPT0_PT_PfS5_S5_S5_diiiiiiib
; %bb.0:
	s_load_dwordx8 s[8:15], s[4:5], 0x38
	s_mov_b32 s7, 0
	s_waitcnt lgkmcnt(0)
	s_ashr_i32 s0, s8, 31
	v_mov_b32_e32 v2, s8
	v_mov_b32_e32 v3, s0
	v_cmp_ge_i64_e32 vcc, s[6:7], v[2:3]
	s_cbranch_vccnz .LBB4_45
; %bb.1:
	s_load_dwordx8 s[16:23], s[4:5], 0x0
	s_load_dwordx8 s[24:31], s[4:5], 0x20
	s_ashr_i32 s0, s10, 31
	s_mul_hi_u32 s1, s10, s6
	s_mul_i32 s0, s0, s6
	s_add_i32 s1, s1, s0
	s_mul_i32 s0, s10, s6
	s_lshl_b64 s[0:1], s[0:1], 1
	s_waitcnt lgkmcnt(0)
	s_add_u32 s0, s22, s0
	s_addc_u32 s1, s23, s1
	s_add_i32 s2, s9, 1
	s_lshr_b32 s3, s2, 31
	s_add_i32 s2, s2, s3
	s_lshl_b32 s2, s2, 1
	s_and_b32 s2, s2, -4
	s_and_b32 s1, s1, 0xffff
	s_mov_b32 s3, 0x20000
	v_lshlrev_b32_e32 v15, 4, v0
	buffer_load_dwordx4 v[6:9], v15, s[0:3], 0 offen glc slc
	s_ashr_i32 s0, s11, 31
	s_mul_hi_u32 s1, s11, s6
	s_mul_i32 s0, s0, s6
	s_add_i32 s1, s1, s0
	s_mul_i32 s0, s11, s6
	s_and_b32 s37, s27, 0xffff
	s_lshl_b64 s[0:1], s[0:1], 1
	s_add_u32 s0, s24, s0
	s_addc_u32 s1, s25, s1
	s_mov_b32 s36, s26
	s_mov_b32 s38, s2
	;; [unrolled: 1-line block ×3, first 2 shown]
	s_and_b32 s1, s1, 0xffff
	buffer_load_dwordx4 v[2:5], v15, s[36:39], 0 offen
	buffer_load_dwordx4 v[10:13], v15, s[0:3], 0 offen glc slc
	v_mbcnt_lo_u32_b32 v14, -1, 0
	v_mbcnt_hi_u32_b32 v14, -1, v14
	v_lshlrev_b32_e32 v16, 2, v14
	v_or_b32_e32 v14, 0xfc, v16
	v_cvt_f32_i32_e32 v17, s9
	s_ashr_i32 s4, s12, 31
	s_mul_hi_u32 s1, s12, s6
	s_mul_i32 s4, s4, s6
	s_add_i32 s1, s1, s4
	s_mov_b32 s11, 0x800000
	s_mul_i32 s0, s12, s6
	s_lshl_b64 s[0:1], s[0:1], 1
	s_add_u32 s0, s18, s0
	s_mov_b32 s10, 0x7060302
	s_addc_u32 s1, s19, s1
	s_and_b32 s1, s1, 0xffff
	v_mov_b32_e32 v34, 0x2edbe6ff
	v_lshlrev_b32_e32 v1, 3, v0
	s_cmp_lg_u32 s14, 0
	s_waitcnt vmcnt(2)
	v_cvt_f32_u32_sdwa v19, v6 dst_sel:DWORD dst_unused:UNUSED_PAD src0_sel:WORD_1
	v_cvt_f32_u32_sdwa v18, v6 dst_sel:DWORD dst_unused:UNUSED_PAD src0_sel:WORD_0
	v_cvt_f32_u32_sdwa v21, v7 dst_sel:DWORD dst_unused:UNUSED_PAD src0_sel:WORD_1
	v_cvt_f32_u32_sdwa v20, v7 dst_sel:DWORD dst_unused:UNUSED_PAD src0_sel:WORD_0
	;; [unrolled: 2-line block ×4, first 2 shown]
	s_waitcnt vmcnt(1)
	v_cvt_f32_u32_sdwa v9, v2 dst_sel:DWORD dst_unused:UNUSED_PAD src0_sel:WORD_1
	v_cvt_f32_u32_sdwa v8, v2 dst_sel:DWORD dst_unused:UNUSED_PAD src0_sel:WORD_0
	v_cvt_f32_u32_sdwa v25, v3 dst_sel:DWORD dst_unused:UNUSED_PAD src0_sel:WORD_1
	v_cvt_f32_u32_sdwa v24, v3 dst_sel:DWORD dst_unused:UNUSED_PAD src0_sel:WORD_0
	s_waitcnt vmcnt(0)
	v_cvt_f32_u32_sdwa v3, v10 dst_sel:DWORD dst_unused:UNUSED_PAD src0_sel:WORD_1
	v_cvt_f32_u32_sdwa v2, v10 dst_sel:DWORD dst_unused:UNUSED_PAD src0_sel:WORD_0
	v_cvt_f32_u32_sdwa v31, v11 dst_sel:DWORD dst_unused:UNUSED_PAD src0_sel:WORD_1
	v_cvt_f32_u32_sdwa v30, v11 dst_sel:DWORD dst_unused:UNUSED_PAD src0_sel:WORD_0
	;; [unrolled: 2-line block ×4, first 2 shown]
	v_pk_add_f32 v[12:13], v[18:19], v[2:3]
	v_pk_add_f32 v[18:19], v[20:21], v[30:31]
	v_pk_mul_f32 v[2:3], v[12:13], v[12:13]
	v_pk_mul_f32 v[20:21], v[18:19], v[18:19]
	v_add_f32_e32 v2, v2, v3
	v_pk_add_f32 v[6:7], v[6:7], v[10:11]
	v_add_f32_e32 v2, v20, v2
	v_pk_add_f32 v[10:11], v[22:23], v[32:33]
	v_pk_mul_f32 v[22:23], v[6:7], v[6:7]
	v_add_f32_e32 v2, v21, v2
	v_add_f32_e32 v2, v22, v2
	v_pk_mul_f32 v[30:31], v[10:11], v[10:11]
	v_add_f32_e32 v2, v23, v2
	v_add_f32_e32 v2, v30, v2
	;; [unrolled: 1-line block ×3, first 2 shown]
	v_cvt_f32_u32_sdwa v27, v4 dst_sel:DWORD dst_unused:UNUSED_PAD src0_sel:WORD_1
	v_cvt_f32_u32_sdwa v26, v4 dst_sel:DWORD dst_unused:UNUSED_PAD src0_sel:WORD_0
	v_mov_b32_dpp v3, v2 quad_perm:[1,0,3,2] row_mask:0xf bank_mask:0xf
	v_add_f32_e32 v2, v2, v3
	v_cvt_f32_u32_sdwa v29, v5 dst_sel:DWORD dst_unused:UNUSED_PAD src0_sel:WORD_1
	v_cvt_f32_u32_sdwa v28, v5 dst_sel:DWORD dst_unused:UNUSED_PAD src0_sel:WORD_0
	v_mov_b32_dpp v3, v2 quad_perm:[2,3,0,1] row_mask:0xf bank_mask:0xf
	v_add_f32_e32 v2, v2, v3
	v_perm_b32 v5, v11, v10, s10
	v_perm_b32 v4, v7, v6, s10
	v_mov_b32_dpp v3, v2 row_half_mirror row_mask:0xf bank_mask:0xf
	v_add_f32_e32 v2, v2, v3
	s_nop 1
	v_mov_b32_dpp v3, v2 row_mirror row_mask:0xf bank_mask:0xf
	v_add_f32_e32 v2, v2, v3
	s_nop 1
	v_mov_b32_dpp v3, v2 row_bcast:15 row_mask:0xf bank_mask:0xf
	v_add_f32_e32 v2, v2, v3
	s_nop 1
	v_mov_b32_dpp v3, v2 row_bcast:31 row_mask:0xf bank_mask:0xf
	v_add_f32_e32 v2, v2, v3
	ds_bpermute_b32 v2, v14, v2
	v_perm_b32 v3, v19, v18, s10
	s_waitcnt lgkmcnt(0)
	v_div_scale_f32 v20, s[4:5], v17, v17, v2
	v_rcp_f32_e32 v21, v20
	v_div_scale_f32 v22, vcc, v2, v17, v2
	v_fma_f32 v23, -v20, v21, 1.0
	v_fmac_f32_e32 v21, v23, v21
	v_mul_f32_e32 v23, v22, v21
	v_fma_f32 v30, -v20, v23, v22
	v_fmac_f32_e32 v23, v30, v21
	v_fma_f32 v20, -v20, v23, v22
	v_div_fmas_f32 v20, v20, v21, v23
	v_div_fixup_f32 v2, v20, v17, v2
	v_cvt_f64_f32_e32 v[20:21], v2
	v_add_f64 v[20:21], v[20:21], s[28:29]
	v_cvt_f32_f64_e32 v2, v[20:21]
	v_mul_f32_e32 v17, 0x4b800000, v2
	v_cmp_gt_f32_e32 vcc, s11, v2
	v_cndmask_b32_e32 v2, v2, v17, vcc
	v_rsq_f32_e32 v17, v2
	v_perm_b32 v2, v13, v12, s10
	buffer_store_dwordx4 v[2:5], v15, s[0:3], 0 offen glc slc
	;;#ASMSTART
	s_nop 0
	;;#ASMEND
	s_nop 0
	v_mul_f32_e32 v2, 0x45800000, v17
	v_cndmask_b32_e32 v2, v17, v2, vcc
	v_mov_b32_e32 v3, v2
	;;#ASMSTART
	v_pk_mul_f32 v[4:5], v[12:13], v[2:3]
	;;#ASMEND
	;;#ASMSTART
	v_pk_mul_f32 v[12:13], v[18:19], v[2:3]
	;;#ASMEND
	;; [unrolled: 3-line block ×5, first 2 shown]
	v_and_b32_e32 v10, 0x7fffffff, v8
	;;#ASMSTART
	v_pk_mul_f32 v[6:7], v[12:13], v[24:25]
	;;#ASMEND
	;;#ASMSTART
	v_pk_mul_f32 v[4:5], v[18:19], v[26:27]
	;;#ASMEND
	;; [unrolled: 3-line block ×3, first 2 shown]
	v_and_b32_e32 v11, 0x7fffffff, v9
	;;#ASMSTART
	v_max3_f32 v10, v34, v10, v11

	;;#ASMEND
	v_and_b32_e32 v12, 0x7fffffff, v6
	v_and_b32_e32 v13, 0x7fffffff, v7
	;;#ASMSTART
	v_max3_f32 v10, v10, v12, v13

	;;#ASMEND
	v_and_b32_e32 v15, 0x7fffffff, v4
	v_and_b32_e32 v17, 0x7fffffff, v5
	;; [unrolled: 1-line block ×4, first 2 shown]
	;;#ASMSTART
	v_max3_f32 v10, v10, v15, v17

	;;#ASMEND
	;;#ASMSTART
	v_max3_f32 v12, v10, v18, v19

	;;#ASMEND
	s_cbranch_scc0 .LBB4_8
; %bb.2:
	s_ashr_i32 s12, s14, 31
	s_lshr_b32 s0, s12, 29
	s_add_i32 s0, s14, s0
	s_ashr_i32 s4, s0, 3
	s_cmp_lt_i32 s4, 16
	s_cbranch_scc1 .LBB4_9
; %bb.3:
	s_cmp_lt_i32 s4, 32
	s_cbranch_scc1 .LBB4_10
; %bb.4:
	;; [unrolled: 3-line block ×3, first 2 shown]
	s_cmp_eq_u32 s4, 64
	v_mov_b32_e32 v10, v12
	s_cbranch_scc0 .LBB4_7
; %bb.6:
	s_nop 0
	v_mov_b32_dpp v10, v12 quad_perm:[1,0,3,2] row_mask:0xf bank_mask:0xf
	v_cmp_gt_f32_e32 vcc, v12, v10
	v_cndmask_b32_e32 v10, v10, v12, vcc
	s_nop 1
	v_mov_b32_dpp v11, v10 quad_perm:[2,3,0,1] row_mask:0xf bank_mask:0xf
	v_cmp_gt_f32_e32 vcc, v10, v11
	v_cndmask_b32_e32 v10, v11, v10, vcc
	s_nop 1
	v_mov_b32_dpp v11, v10 row_ror:4 row_mask:0xf bank_mask:0xf
	v_cmp_gt_f32_e32 vcc, v10, v11
	v_cndmask_b32_e32 v10, v11, v10, vcc
	s_nop 1
	v_mov_b32_dpp v11, v10 row_ror:8 row_mask:0xf bank_mask:0xf
	v_cmp_gt_f32_e32 vcc, v10, v11
	v_cndmask_b32_e32 v10, v11, v10, vcc
	s_nop 1
	v_mov_b32_dpp v11, v10 row_bcast:15 row_mask:0xf bank_mask:0xf
	v_cmp_gt_f32_e32 vcc, v10, v11
	v_cndmask_b32_e32 v10, v11, v10, vcc
	s_nop 1
	v_mov_b32_dpp v11, v10 row_bcast:31 row_mask:0xf bank_mask:0xf
	v_cmp_gt_f32_e32 vcc, v10, v11
	v_cndmask_b32_e32 v10, v11, v10, vcc
	ds_bpermute_b32 v10, v14, v10
.LBB4_7:
	s_mov_b64 s[0:1], 0
	s_branch .LBB4_12
.LBB4_8:
	s_mov_b64 s[0:1], 0
                                        ; implicit-def: $vgpr13
                                        ; implicit-def: $vgpr10_vgpr11
	s_cbranch_execnz .LBB4_41
	s_branch .LBB4_42
.LBB4_9:
                                        ; implicit-def: $vgpr10
	s_branch .LBB4_19
.LBB4_10:
                                        ; implicit-def: $vgpr10
	s_branch .LBB4_16
.LBB4_11:
	s_mov_b64 s[0:1], -1
                                        ; implicit-def: $vgpr10
.LBB4_12:
	s_andn2_b64 vcc, exec, s[0:1]
	s_cbranch_vccnz .LBB4_15
; %bb.13:
	s_cmp_eq_u32 s4, 32
	s_waitcnt lgkmcnt(0)
	v_mov_b32_e32 v10, v12
	s_cbranch_scc0 .LBB4_15
; %bb.14:
	s_nop 0
	v_mov_b32_dpp v10, v12 quad_perm:[1,0,3,2] row_mask:0xf bank_mask:0xf
	v_cmp_gt_f32_e32 vcc, v12, v10
	v_cndmask_b32_e32 v10, v10, v12, vcc
	s_nop 1
	v_mov_b32_dpp v11, v10 quad_perm:[2,3,0,1] row_mask:0xf bank_mask:0xf
	v_cmp_gt_f32_e32 vcc, v10, v11
	v_cndmask_b32_e32 v10, v11, v10, vcc
	s_nop 1
	v_mov_b32_dpp v11, v10 row_half_mirror row_mask:0xf bank_mask:0xf
	v_cmp_gt_f32_e32 vcc, v10, v11
	v_cndmask_b32_e32 v10, v11, v10, vcc
	s_nop 1
	v_mov_b32_dpp v11, v10 row_mirror row_mask:0xf bank_mask:0xf
	v_cmp_gt_f32_e32 vcc, v10, v11
	v_cndmask_b32_e32 v10, v11, v10, vcc
	s_nop 1
	v_mov_b32_dpp v11, v10 row_bcast:15 row_mask:0xa bank_mask:0xf
	v_cmp_gt_f32_e32 vcc, v10, v11
	v_cndmask_b32_e32 v10, v11, v10, vcc
	v_or_b32_e32 v11, 0x7c, v16
	ds_bpermute_b32 v10, v11, v10
.LBB4_15:
	s_cbranch_execnz .LBB4_18
.LBB4_16:
	s_cmp_eq_u32 s4, 16
	s_waitcnt lgkmcnt(0)
	v_mov_b32_e32 v10, v12
	s_cbranch_scc0 .LBB4_18
; %bb.17:
	s_nop 0
	v_mov_b32_dpp v10, v12 quad_perm:[1,0,3,2] row_mask:0xf bank_mask:0xf
	v_cmp_gt_f32_e32 vcc, v12, v10
	v_cndmask_b32_e32 v10, v10, v12, vcc
	s_nop 1
	v_mov_b32_dpp v11, v10 quad_perm:[2,3,0,1] row_mask:0xf bank_mask:0xf
	v_cmp_gt_f32_e32 vcc, v10, v11
	v_cndmask_b32_e32 v10, v11, v10, vcc
	s_nop 1
	v_mov_b32_dpp v11, v10 row_half_mirror row_mask:0xf bank_mask:0xf
	v_cmp_gt_f32_e32 vcc, v10, v11
	v_cndmask_b32_e32 v10, v11, v10, vcc
	s_nop 1
	v_mov_b32_dpp v11, v10 row_mirror row_mask:0xf bank_mask:0xf
	v_cmp_gt_f32_e32 vcc, v10, v11
	v_cndmask_b32_e32 v10, v11, v10, vcc
.LBB4_18:
	s_cbranch_execnz .LBB4_31
.LBB4_19:
	s_cmp_lt_i32 s4, 4
	s_cbranch_scc1 .LBB4_23
; %bb.20:
	s_cmp_lt_i32 s4, 8
	s_cbranch_scc1 .LBB4_24
; %bb.21:
	s_cmp_eq_u32 s4, 8
	s_waitcnt lgkmcnt(0)
	v_mov_b32_e32 v10, v12
	s_cbranch_scc0 .LBB4_25
; %bb.22:
	s_nop 0
	v_mov_b32_dpp v10, v12 quad_perm:[1,0,3,2] row_mask:0xf bank_mask:0xf
	v_cmp_gt_f32_e32 vcc, v12, v10
	v_cndmask_b32_e32 v10, v10, v12, vcc
	s_nop 1
	v_mov_b32_dpp v11, v10 quad_perm:[2,3,0,1] row_mask:0xf bank_mask:0xf
	v_cmp_gt_f32_e32 vcc, v10, v11
	v_cndmask_b32_e32 v10, v11, v10, vcc
	s_nop 1
	v_mov_b32_dpp v11, v10 row_half_mirror row_mask:0xf bank_mask:0xf
	v_cmp_gt_f32_e32 vcc, v10, v11
	v_cndmask_b32_e32 v10, v11, v10, vcc
	s_cbranch_execz .LBB4_26
	s_branch .LBB4_28
.LBB4_23:
                                        ; implicit-def: $vgpr10
	s_branch .LBB4_29
.LBB4_24:
                                        ; implicit-def: $vgpr10
	s_branch .LBB4_26
.LBB4_25:
	s_cbranch_execnz .LBB4_28
.LBB4_26:
	s_cmp_eq_u32 s4, 4
	s_waitcnt lgkmcnt(0)
	v_mov_b32_e32 v10, v12
	s_cbranch_scc0 .LBB4_28
; %bb.27:
	s_nop 0
	v_mov_b32_dpp v10, v12 quad_perm:[1,0,3,2] row_mask:0xf bank_mask:0xf
	v_cmp_gt_f32_e32 vcc, v12, v10
	v_cndmask_b32_e32 v10, v10, v12, vcc
	s_nop 1
	v_mov_b32_dpp v11, v10 quad_perm:[2,3,0,1] row_mask:0xf bank_mask:0xf
	v_cmp_gt_f32_e32 vcc, v10, v11
	v_cndmask_b32_e32 v10, v11, v10, vcc
.LBB4_28:
	s_cbranch_execnz .LBB4_31
.LBB4_29:
	s_cmp_lg_u32 s4, 2
	s_waitcnt lgkmcnt(0)
	v_mov_b32_e32 v10, v12
	s_cbranch_scc1 .LBB4_31
; %bb.30:
	s_nop 0
	v_mov_b32_dpp v10, v12 quad_perm:[1,0,3,2] row_mask:0xf bank_mask:0xf
	v_cmp_gt_f32_e32 vcc, v12, v10
	v_cndmask_b32_e32 v10, v10, v12, vcc
.LBB4_31:
	v_cvt_f32_u32_e32 v11, s4
	s_waitcnt lgkmcnt(0)
	v_mul_f32_e32 v13, 0x3b124925, v10
	s_sub_i32 s0, 0, s4
	v_cmp_gt_u32_e32 vcc, s9, v1
	v_rcp_iflag_f32_e32 v11, v11
	s_mov_b64 s[2:3], 0
	v_mul_f32_e32 v10, 0x4f7ffffe, v11
	v_cvt_u32_f32_e32 v10, v10
	v_mul_lo_u32 v11, s0, v10
	v_mul_hi_u32 v11, v10, v11
	v_add_u32_e32 v10, v10, v11
	v_mul_hi_u32 v10, v0, v10
	v_mul_lo_u32 v11, v10, s4
	v_sub_u32_e32 v11, v0, v11
	v_add_u32_e32 v15, 1, v10
	v_cmp_le_u32_e64 s[0:1], s4, v11
	v_cndmask_b32_e64 v10, v10, v15, s[0:1]
	v_subrev_u32_e32 v15, s4, v11
	v_cndmask_b32_e64 v11, v11, v15, s[0:1]
	v_add_u32_e32 v15, 1, v10
	v_cmp_le_u32_e64 s[0:1], s4, v11
	v_cndmask_b32_e64 v15, v10, v15, s[0:1]
	v_mul_lo_u32 v10, v15, s4
	v_sub_u32_e32 v10, v0, v10
	v_cmp_eq_u32_e64 s[0:1], 0, v10
	s_and_b64 s[4:5], s[0:1], vcc
	s_mov_b64 s[0:1], 0
                                        ; implicit-def: $vgpr10_vgpr11
	s_and_saveexec_b64 s[10:11], s[4:5]
	s_xor_b64 s[4:5], exec, s[10:11]
	s_cbranch_execz .LBB4_40
; %bb.32:
	s_bitcmp0_b32 s15, 0
	s_cbranch_scc0 .LBB4_37
; %bb.33:
	s_ashr_i32 s0, s9, 31
	s_mul_hi_u32 s1, s9, s6
	s_mul_i32 s0, s0, s6
	s_add_i32 s11, s1, s0
	s_mul_i32 s10, s9, s6
	s_mov_b32 s15, s12
	s_or_b64 s[0:1], s[10:11], s[14:15]
	s_mov_b32 s0, 0
	s_cmp_lg_u64 s[0:1], 0
	s_cbranch_scc0 .LBB4_46
; %bb.34:
	s_add_u32 s0, s14, s15
	s_mov_b32 s22, s15
	s_mov_b32 s23, s15
	s_addc_u32 s1, s15, s15
	s_xor_b64 s[24:25], s[0:1], s[22:23]
	v_cvt_f32_u32_e32 v10, s24
	v_cvt_f32_u32_e32 v11, s25
	s_sub_u32 s0, 0, s24
	s_subb_u32 s1, 0, s25
	v_madmk_f32 v10, v11, 0x4f800000, v10
	v_rcp_f32_e32 v10, v10
	v_mul_f32_e32 v10, 0x5f7ffffc, v10
	v_mul_f32_e32 v11, 0x2f800000, v10
	v_trunc_f32_e32 v11, v11
	v_madmk_f32 v10, v11, 0xcf800000, v10
	v_cvt_u32_f32_e32 v11, v11
	v_cvt_u32_f32_e32 v10, v10
	v_readfirstlane_b32 s12, v11
	v_readfirstlane_b32 s15, v10
	s_mul_i32 s26, s0, s12
	s_mul_hi_u32 s28, s0, s15
	s_mul_i32 s27, s1, s15
	s_add_i32 s26, s28, s26
	s_add_i32 s26, s26, s27
	s_mul_i32 s29, s0, s15
	s_mul_hi_u32 s27, s15, s26
	s_mul_i32 s28, s15, s26
	s_mul_hi_u32 s15, s15, s29
	s_add_u32 s15, s15, s28
	s_addc_u32 s27, 0, s27
	s_mul_hi_u32 s30, s12, s29
	s_mul_i32 s29, s12, s29
	s_add_u32 s15, s15, s29
	s_mul_hi_u32 s28, s12, s26
	s_addc_u32 s15, s27, s30
	s_addc_u32 s27, s28, 0
	s_mul_i32 s26, s12, s26
	s_add_u32 s15, s15, s26
	s_addc_u32 s26, 0, s27
	v_add_co_u32_e32 v10, vcc, s15, v10
	s_cmp_lg_u64 vcc, 0
	s_addc_u32 s12, s12, s26
	v_readfirstlane_b32 s26, v10
	s_mul_i32 s15, s0, s12
	s_mul_hi_u32 s27, s0, s26
	s_add_i32 s15, s27, s15
	s_mul_i32 s1, s1, s26
	s_add_i32 s15, s15, s1
	s_mul_i32 s0, s0, s26
	s_mul_hi_u32 s27, s12, s0
	s_mul_i32 s28, s12, s0
	s_mul_i32 s30, s26, s15
	s_mul_hi_u32 s0, s26, s0
	s_mul_hi_u32 s29, s26, s15
	s_add_u32 s0, s0, s30
	s_addc_u32 s26, 0, s29
	s_add_u32 s0, s0, s28
	s_mul_hi_u32 s1, s12, s15
	s_addc_u32 s0, s26, s27
	s_addc_u32 s1, s1, 0
	s_mul_i32 s15, s12, s15
	s_add_u32 s0, s0, s15
	s_addc_u32 s1, 0, s1
	v_add_co_u32_e32 v10, vcc, s0, v10
	s_cmp_lg_u64 vcc, 0
	s_addc_u32 s12, s12, s1
	s_ashr_i32 s26, s11, 31
	s_add_u32 s0, s10, s26
	s_mov_b32 s27, s26
	s_addc_u32 s1, s11, s26
	s_xor_b64 s[28:29], s[0:1], s[26:27]
	v_readfirstlane_b32 s11, v10
	s_mul_i32 s1, s28, s12
	s_mul_hi_u32 s15, s28, s11
	s_mul_hi_u32 s0, s28, s12
	s_add_u32 s1, s15, s1
	s_addc_u32 s0, 0, s0
	s_mul_hi_u32 s30, s29, s11
	s_mul_i32 s11, s29, s11
	s_add_u32 s1, s1, s11
	s_mul_hi_u32 s15, s29, s12
	s_addc_u32 s0, s0, s30
	s_addc_u32 s1, s15, 0
	s_mul_i32 s11, s29, s12
	s_add_u32 s11, s0, s11
	s_addc_u32 s12, 0, s1
	s_mul_i32 s0, s24, s12
	s_mul_hi_u32 s1, s24, s11
	s_add_i32 s0, s1, s0
	s_mul_i32 s1, s25, s11
	s_add_i32 s15, s0, s1
	s_mul_i32 s1, s24, s11
	v_mov_b32_e32 v10, s1
	s_sub_i32 s0, s29, s15
	v_sub_co_u32_e32 v10, vcc, s28, v10
	s_cmp_lg_u64 vcc, 0
	s_subb_u32 s28, s0, s25
	v_subrev_co_u32_e64 v11, s[0:1], s24, v10
	s_cmp_lg_u64 s[0:1], 0
	s_subb_u32 s28, s28, 0
	s_cmp_ge_u32 s28, s25
	s_cselect_b32 s30, -1, 0
	v_cmp_le_u32_e64 s[0:1], s24, v11
	s_cmp_eq_u32 s28, s25
	v_cndmask_b32_e64 v11, 0, -1, s[0:1]
	v_mov_b32_e32 v16, s30
	s_cselect_b64 s[0:1], -1, 0
	v_cndmask_b32_e64 v11, v16, v11, s[0:1]
	s_add_u32 s0, s11, 1
	s_addc_u32 s28, s12, 0
	s_add_u32 s1, s11, 2
	s_addc_u32 s30, s12, 0
	v_mov_b32_e32 v16, s0
	v_mov_b32_e32 v17, s1
	v_cmp_ne_u32_e64 s[0:1], 0, v11
	v_cndmask_b32_e64 v11, v16, v17, s[0:1]
	v_mov_b32_e32 v16, s28
	v_mov_b32_e32 v17, s30
	s_cmp_lg_u64 vcc, 0
	v_cndmask_b32_e64 v16, v16, v17, s[0:1]
	s_subb_u32 s0, s29, s15
	s_cmp_ge_u32 s0, s25
	s_cselect_b32 s1, -1, 0
	v_cmp_le_u32_e32 vcc, s24, v10
	s_cmp_eq_u32 s0, s25
	v_cndmask_b32_e64 v10, 0, -1, vcc
	v_mov_b32_e32 v17, s1
	s_cselect_b64 vcc, -1, 0
	v_cndmask_b32_e32 v10, v17, v10, vcc
	v_mov_b32_e32 v17, s12
	v_cmp_ne_u32_e32 vcc, 0, v10
	v_cndmask_b32_e32 v10, v17, v16, vcc
	v_mov_b32_e32 v16, s11
	v_cndmask_b32_e32 v11, v16, v11, vcc
	s_xor_b64 s[0:1], s[26:27], s[22:23]
	v_xor_b32_e32 v11, s0, v11
	v_xor_b32_e32 v16, s1, v10
	v_mov_b32_e32 v17, s1
	v_subrev_co_u32_e32 v10, vcc, s0, v11
	v_subb_co_u32_e32 v11, vcc, v16, v17, vcc
	s_cbranch_execnz .LBB4_36
.LBB4_35:
	v_cvt_f32_u32_e32 v10, s14
	s_sub_i32 s0, 0, s14
	s_mov_b32 s1, 0
	v_rcp_iflag_f32_e32 v10, v10
	v_mul_f32_e32 v10, 0x4f7ffffe, v10
	v_cvt_u32_f32_e32 v10, v10
	v_readfirstlane_b32 s11, v10
	s_mul_i32 s0, s0, s11
	s_mul_hi_u32 s0, s11, s0
	s_add_i32 s11, s11, s0
	s_mul_hi_u32 s0, s10, s11
	s_mul_i32 s12, s0, s14
	s_sub_i32 s10, s10, s12
	s_add_i32 s11, s0, 1
	s_sub_i32 s12, s10, s14
	s_cmp_ge_u32 s10, s14
	s_cselect_b32 s0, s11, s0
	s_cselect_b32 s10, s12, s10
	s_add_i32 s11, s0, 1
	s_cmp_ge_u32 s10, s14
	s_cselect_b32 s0, s11, s0
	v_pk_mov_b32 v[10:11], s[0:1], s[0:1] op_sel:[0,1]
.LBB4_36:
	v_add_co_u32_e32 v10, vcc, v10, v15
	v_addc_co_u32_e32 v11, vcc, 0, v11, vcc
	s_branch .LBB4_39
.LBB4_37:
                                        ; implicit-def: $vgpr10_vgpr11
	s_cbranch_execz .LBB4_39
; %bb.38:
	v_mul_lo_u32 v10, v15, s8
	v_ashrrev_i32_e32 v11, 31, v10
	v_mov_b32_e32 v15, s7
	v_add_co_u32_e32 v10, vcc, s6, v10
	v_addc_co_u32_e32 v11, vcc, v11, v15, vcc
.LBB4_39:
	s_mov_b64 s[0:1], exec
.LBB4_40:
	s_or_b64 exec, exec, s[4:5]
	s_and_b64 vcc, exec, s[2:3]
	s_cbranch_vccz .LBB4_42
.LBB4_41:
	v_mov_b32_dpp v10, v12 quad_perm:[1,0,3,2] row_mask:0xf bank_mask:0xf
	v_cmp_gt_f32_e32 vcc, v12, v10
	v_cndmask_b32_e32 v10, v10, v12, vcc
	s_andn2_b64 s[0:1], s[0:1], exec
	s_nop 0
	v_mov_b32_dpp v11, v10 quad_perm:[2,3,0,1] row_mask:0xf bank_mask:0xf
	v_cmp_gt_f32_e32 vcc, v10, v11
	v_cndmask_b32_e32 v10, v11, v10, vcc
	s_nop 1
	v_mov_b32_dpp v11, v10 row_half_mirror row_mask:0xf bank_mask:0xf
	v_cmp_gt_f32_e32 vcc, v10, v11
	v_cndmask_b32_e32 v10, v11, v10, vcc
	s_nop 1
	v_mov_b32_dpp v11, v10 row_mirror row_mask:0xf bank_mask:0xf
	v_cmp_gt_f32_e32 vcc, v10, v11
	v_cndmask_b32_e32 v10, v11, v10, vcc
	s_nop 1
	v_mov_b32_dpp v11, v10 row_bcast:15 row_mask:0xf bank_mask:0xf
	v_cmp_gt_f32_e32 vcc, v10, v11
	v_cndmask_b32_e32 v10, v11, v10, vcc
	s_nop 1
	v_mov_b32_dpp v11, v10 row_bcast:31 row_mask:0xf bank_mask:0xf
	v_cmp_gt_f32_e32 vcc, v10, v11
	v_cndmask_b32_e32 v10, v11, v10, vcc
	ds_bpermute_b32 v10, v14, v10
	v_cmp_eq_u32_e32 vcc, 0, v0
	s_and_b64 s[2:3], vcc, exec
	s_or_b64 s[0:1], s[0:1], s[2:3]
	s_waitcnt lgkmcnt(0)
	v_mul_f32_e32 v13, 0x3b124925, v10
	v_pk_mov_b32 v[10:11], s[6:7], s[6:7] op_sel:[0,1]
.LBB4_42:
	s_and_saveexec_b64 s[2:3], s[0:1]
	s_cbranch_execz .LBB4_44
; %bb.43:
	v_lshlrev_b64 v[10:11], 2, v[10:11]
	v_mov_b32_e32 v0, s21
	v_add_co_u32_e32 v10, vcc, s20, v10
	v_addc_co_u32_e32 v11, vcc, v0, v11, vcc
	global_store_dword v[10:11], v13, off
.LBB4_44:
	s_or_b64 exec, exec, s[2:3]
	s_add_i32 s0, s9, 3
	;;#ASMSTART
	v_rcp_f32 v10, v13
	;;#ASMEND
	v_mov_b32_e32 v11, v10
	;;#ASMSTART
	v_pk_mul_f32 v[8:9], v[8:9], v[10:11]
	;;#ASMEND
	s_ashr_i32 s1, s0, 31
	v_mov_b32_e32 v0, 0xc3e00000
	v_mov_b32_e32 v12, 0x43e00000
	;;#ASMSTART
	v_med3_f32 v8, v8, v0, v12
v_med3_f32 v9, v9, v0, v12
v_cvt_pk_fp8_f32 v13, v8, v9
	;;#ASMEND
	;;#ASMSTART
	v_pk_mul_f32 v[6:7], v[6:7], v[10:11]
	;;#ASMEND
	s_lshr_b32 s1, s1, 30
	;;#ASMSTART
	v_med3_f32 v6, v6, v0, v12
v_med3_f32 v7, v7, v0, v12
v_cvt_pk_fp8_f32 v8, v6, v7
	;;#ASMEND
	s_mov_b32 s5, 0x5040100
	s_add_i32 s0, s0, s1
	v_perm_b32 v7, v8, v13, s5
	s_movk_i32 s5, 0xff
	s_and_b32 s2, s0, -4
	s_ashr_i32 s0, s13, 31
	v_and_b32_e32 v6, 0xffffff00, v8
	v_and_b32_sdwa v8, v7, s5 dst_sel:DWORD dst_unused:UNUSED_PAD src0_sel:WORD_1 src1_sel:DWORD
	s_mul_hi_u32 s1, s13, s6
	s_mul_i32 s0, s0, s6
	s_mov_b32 s4, 0xffff
	v_or_b32_sdwa v6, v8, v6 dst_sel:WORD_1 dst_unused:UNUSED_PAD src0_sel:DWORD src1_sel:DWORD
	;;#ASMSTART
	v_pk_mul_f32 v[4:5], v[4:5], v[10:11]
	;;#ASMEND
	s_add_i32 s1, s1, s0
	s_mul_i32 s0, s13, s6
	v_and_or_b32 v6, v7, s4, v6
	;;#ASMSTART
	v_med3_f32 v4, v4, v0, v12
v_med3_f32 v5, v5, v0, v12
v_cvt_pk_fp8_f32 v7, v4, v5
	;;#ASMEND
	;;#ASMSTART
	v_pk_mul_f32 v[2:3], v[2:3], v[10:11]
	;;#ASMEND
	s_add_u32 s0, s16, s0
	;;#ASMSTART
	v_med3_f32 v2, v2, v0, v12
v_med3_f32 v3, v3, v0, v12
v_cvt_pk_fp8_f32 v0, v2, v3
	;;#ASMEND
	s_addc_u32 s1, s17, s1
	v_lshlrev_b32_e32 v0, 16, v0
	s_and_b32 s1, s1, 0xffff
	s_mov_b32 s3, 0x20000
	v_and_or_b32 v7, v7, s4, v0
	buffer_store_dwordx2 v[6:7], v1, s[0:3], 0 offen
	;;#ASMSTART
	s_nop 0
	;;#ASMEND
.LBB4_45:
	s_endpgm
.LBB4_46:
                                        ; implicit-def: $vgpr10_vgpr11
	s_branch .LBB4_35
	.section	.rodata,"a",@progbits
	.p2align	6, 0x0
	.amdhsa_kernel _ZN5aiter24add_rmsnorm_quant_kernelItDB8_Li64ELi8ELb1ELb1ELb0ELi1EEEvPT0_PT_PfS5_S5_S5_diiiiiiib
		.amdhsa_group_segment_fixed_size 0
		.amdhsa_private_segment_fixed_size 0
		.amdhsa_kernarg_size 88
		.amdhsa_user_sgpr_count 6
		.amdhsa_user_sgpr_private_segment_buffer 1
		.amdhsa_user_sgpr_dispatch_ptr 0
		.amdhsa_user_sgpr_queue_ptr 0
		.amdhsa_user_sgpr_kernarg_segment_ptr 1
		.amdhsa_user_sgpr_dispatch_id 0
		.amdhsa_user_sgpr_flat_scratch_init 0
		.amdhsa_user_sgpr_kernarg_preload_length 0
		.amdhsa_user_sgpr_kernarg_preload_offset 0
		.amdhsa_user_sgpr_private_segment_size 0
		.amdhsa_uses_dynamic_stack 0
		.amdhsa_system_sgpr_private_segment_wavefront_offset 0
		.amdhsa_system_sgpr_workgroup_id_x 1
		.amdhsa_system_sgpr_workgroup_id_y 0
		.amdhsa_system_sgpr_workgroup_id_z 0
		.amdhsa_system_sgpr_workgroup_info 0
		.amdhsa_system_vgpr_workitem_id 0
		.amdhsa_next_free_vgpr 35
		.amdhsa_next_free_sgpr 40
		.amdhsa_accum_offset 36
		.amdhsa_reserve_vcc 1
		.amdhsa_reserve_flat_scratch 0
		.amdhsa_float_round_mode_32 0
		.amdhsa_float_round_mode_16_64 0
		.amdhsa_float_denorm_mode_32 3
		.amdhsa_float_denorm_mode_16_64 3
		.amdhsa_dx10_clamp 1
		.amdhsa_ieee_mode 1
		.amdhsa_fp16_overflow 0
		.amdhsa_tg_split 0
		.amdhsa_exception_fp_ieee_invalid_op 0
		.amdhsa_exception_fp_denorm_src 0
		.amdhsa_exception_fp_ieee_div_zero 0
		.amdhsa_exception_fp_ieee_overflow 0
		.amdhsa_exception_fp_ieee_underflow 0
		.amdhsa_exception_fp_ieee_inexact 0
		.amdhsa_exception_int_div_zero 0
	.end_amdhsa_kernel
	.section	.text._ZN5aiter24add_rmsnorm_quant_kernelItDB8_Li64ELi8ELb1ELb1ELb0ELi1EEEvPT0_PT_PfS5_S5_S5_diiiiiiib,"axG",@progbits,_ZN5aiter24add_rmsnorm_quant_kernelItDB8_Li64ELi8ELb1ELb1ELb0ELi1EEEvPT0_PT_PfS5_S5_S5_diiiiiiib,comdat
.Lfunc_end4:
	.size	_ZN5aiter24add_rmsnorm_quant_kernelItDB8_Li64ELi8ELb1ELb1ELb0ELi1EEEvPT0_PT_PfS5_S5_S5_diiiiiiib, .Lfunc_end4-_ZN5aiter24add_rmsnorm_quant_kernelItDB8_Li64ELi8ELb1ELb1ELb0ELi1EEEvPT0_PT_PfS5_S5_S5_diiiiiiib
                                        ; -- End function
	.section	.AMDGPU.csdata,"",@progbits
; Kernel info:
; codeLenInByte = 3224
; NumSgprs: 44
; NumVgprs: 35
; NumAgprs: 0
; TotalNumVgprs: 35
; ScratchSize: 0
; MemoryBound: 0
; FloatMode: 240
; IeeeMode: 1
; LDSByteSize: 0 bytes/workgroup (compile time only)
; SGPRBlocks: 5
; VGPRBlocks: 4
; NumSGPRsForWavesPerEU: 44
; NumVGPRsForWavesPerEU: 35
; AccumOffset: 36
; Occupancy: 8
; WaveLimiterHint : 0
; COMPUTE_PGM_RSRC2:SCRATCH_EN: 0
; COMPUTE_PGM_RSRC2:USER_SGPR: 6
; COMPUTE_PGM_RSRC2:TRAP_HANDLER: 0
; COMPUTE_PGM_RSRC2:TGID_X_EN: 1
; COMPUTE_PGM_RSRC2:TGID_Y_EN: 0
; COMPUTE_PGM_RSRC2:TGID_Z_EN: 0
; COMPUTE_PGM_RSRC2:TIDIG_COMP_CNT: 0
; COMPUTE_PGM_RSRC3_GFX90A:ACCUM_OFFSET: 8
; COMPUTE_PGM_RSRC3_GFX90A:TG_SPLIT: 0
	.section	.text._ZN5aiter24add_rmsnorm_quant_kernelIDF16_DB8_Li128ELi8ELb1ELb1ELb1ELi1EEEvPT0_PT_PfS5_S5_S5_diiiiiiib,"axG",@progbits,_ZN5aiter24add_rmsnorm_quant_kernelIDF16_DB8_Li128ELi8ELb1ELb1ELb1ELi1EEEvPT0_PT_PfS5_S5_S5_diiiiiiib,comdat
	.protected	_ZN5aiter24add_rmsnorm_quant_kernelIDF16_DB8_Li128ELi8ELb1ELb1ELb1ELi1EEEvPT0_PT_PfS5_S5_S5_diiiiiiib ; -- Begin function _ZN5aiter24add_rmsnorm_quant_kernelIDF16_DB8_Li128ELi8ELb1ELb1ELb1ELi1EEEvPT0_PT_PfS5_S5_S5_diiiiiiib
	.globl	_ZN5aiter24add_rmsnorm_quant_kernelIDF16_DB8_Li128ELi8ELb1ELb1ELb1ELi1EEEvPT0_PT_PfS5_S5_S5_diiiiiiib
	.p2align	8
	.type	_ZN5aiter24add_rmsnorm_quant_kernelIDF16_DB8_Li128ELi8ELb1ELb1ELb1ELi1EEEvPT0_PT_PfS5_S5_S5_diiiiiiib,@function
_ZN5aiter24add_rmsnorm_quant_kernelIDF16_DB8_Li128ELi8ELb1ELb1ELb1ELi1EEEvPT0_PT_PfS5_S5_S5_diiiiiiib: ; @_ZN5aiter24add_rmsnorm_quant_kernelIDF16_DB8_Li128ELi8ELb1ELb1ELb1ELi1EEEvPT0_PT_PfS5_S5_S5_diiiiiiib
; %bb.0:
	s_load_dwordx8 s[8:15], s[4:5], 0x38
	s_mov_b32 s7, 0
	s_waitcnt lgkmcnt(0)
	s_ashr_i32 s0, s8, 31
	v_mov_b32_e32 v2, s8
	v_mov_b32_e32 v3, s0
	v_cmp_ge_i64_e32 vcc, s[6:7], v[2:3]
	s_cbranch_vccnz .LBB5_49
; %bb.1:
	s_load_dwordx8 s[16:23], s[4:5], 0x0
	s_load_dwordx8 s[24:31], s[4:5], 0x20
	s_ashr_i32 s0, s10, 31
	s_mul_hi_u32 s1, s10, s6
	s_mul_i32 s0, s0, s6
	s_add_i32 s1, s1, s0
	s_mul_i32 s0, s10, s6
	s_lshl_b64 s[0:1], s[0:1], 1
	s_waitcnt lgkmcnt(0)
	s_add_u32 s0, s22, s0
	s_addc_u32 s1, s23, s1
	s_add_i32 s2, s9, 1
	s_lshr_b32 s3, s2, 31
	s_add_i32 s2, s2, s3
	s_lshl_b32 s2, s2, 1
	s_and_b32 s2, s2, -4
	s_and_b32 s1, s1, 0xffff
	s_mov_b32 s3, 0x20000
	v_lshlrev_b32_e32 v1, 4, v0
	buffer_load_dwordx4 v[6:9], v1, s[0:3], 0 offen glc slc
	s_ashr_i32 s0, s11, 31
	s_mul_hi_u32 s1, s11, s6
	s_mul_i32 s0, s0, s6
	s_add_i32 s1, s1, s0
	s_mul_i32 s0, s11, s6
	s_and_b32 s37, s27, 0xffff
	s_lshl_b64 s[0:1], s[0:1], 1
	s_add_u32 s0, s24, s0
	s_addc_u32 s1, s25, s1
	s_and_b32 s1, s1, 0xffff
	buffer_load_dwordx4 v[10:13], v1, s[0:3], 0 offen glc slc
	s_mov_b32 s39, s3
	s_mov_b32 s36, s26
	;; [unrolled: 1-line block ×3, first 2 shown]
	buffer_load_dwordx4 v[2:5], v1, s[36:39], 0 offen
	s_ashr_i32 s4, s12, 31
	s_mul_hi_u32 s1, s12, s6
	s_mul_i32 s4, s4, s6
	s_mul_i32 s0, s12, s6
	s_add_i32 s1, s1, s4
	s_lshl_b64 s[0:1], s[0:1], 1
	s_add_u32 s0, s18, s0
	s_addc_u32 s1, s19, s1
	s_and_b32 s1, s1, 0xffff
	v_and_b32_e32 v24, 63, v0
	s_waitcnt vmcnt(2)
	v_cvt_f32_f16_e32 v14, v6
	v_cvt_f32_f16_sdwa v15, v6 dst_sel:DWORD dst_unused:UNUSED_PAD src0_sel:WORD_1
	v_cvt_f32_f16_e32 v6, v7
	v_cvt_f32_f16_sdwa v7, v7 dst_sel:DWORD dst_unused:UNUSED_PAD src0_sel:WORD_1
	;; [unrolled: 2-line block ×4, first 2 shown]
	s_waitcnt vmcnt(1)
	v_cvt_f32_f16_e32 v8, v10
	v_cvt_f32_f16_sdwa v9, v10 dst_sel:DWORD dst_unused:UNUSED_PAD src0_sel:WORD_1
	v_cvt_f32_f16_e32 v10, v11
	v_cvt_f32_f16_sdwa v11, v11 dst_sel:DWORD dst_unused:UNUSED_PAD src0_sel:WORD_1
	;; [unrolled: 2-line block ×4, first 2 shown]
	v_pk_add_f32 v[12:13], v[14:15], v[8:9]
	v_pk_add_f32 v[10:11], v[6:7], v[10:11]
	;; [unrolled: 1-line block ×4, first 2 shown]
	v_cvt_f16_f32_e32 v22, v13
	v_cvt_f16_f32_e32 v23, v12
	;; [unrolled: 1-line block ×8, first 2 shown]
	v_pk_mul_f32 v[14:15], v[12:13], v[12:13]
	v_pk_mul_f32 v[16:17], v[10:11], v[10:11]
	v_add_f32_e32 v14, v14, v15
	v_add_f32_e32 v14, v16, v14
	v_pk_mul_f32 v[18:19], v[8:9], v[8:9]
	v_add_f32_e32 v31, v17, v14
	v_pack_b32_f16 v17, v30, v29
	v_pack_b32_f16 v16, v28, v27
	;; [unrolled: 1-line block ×4, first 2 shown]
	v_add_f32_e32 v18, v18, v31
	v_pk_mul_f32 v[20:21], v[6:7], v[6:7]
	buffer_store_dwordx4 v[14:17], v1, s[0:3], 0 offen glc slc
	v_add_f32_e32 v1, v19, v18
	v_add_f32_e32 v1, v20, v1
	;; [unrolled: 1-line block ×3, first 2 shown]
	v_cmp_eq_u32_e64 s[0:1], 63, v24
	;;#ASMSTART
	s_nop 0
	;;#ASMEND
	s_nop 0
	v_mov_b32_dpp v14, v1 quad_perm:[1,0,3,2] row_mask:0xf bank_mask:0xf
	v_add_f32_e32 v1, v1, v14
	s_nop 1
	v_mov_b32_dpp v14, v1 quad_perm:[2,3,0,1] row_mask:0xf bank_mask:0xf
	v_add_f32_e32 v1, v1, v14
	s_nop 1
	v_mov_b32_dpp v14, v1 row_half_mirror row_mask:0xf bank_mask:0xf
	v_add_f32_e32 v1, v1, v14
	s_nop 1
	v_mov_b32_dpp v14, v1 row_mirror row_mask:0xf bank_mask:0xf
	v_add_f32_e32 v1, v1, v14
	s_nop 1
	v_mov_b32_dpp v14, v1 row_bcast:15 row_mask:0xf bank_mask:0xf
	v_add_f32_e32 v1, v1, v14
	s_nop 1
	v_mov_b32_dpp v14, v1 row_bcast:31 row_mask:0xf bank_mask:0xf
	s_and_saveexec_b64 s[2:3], s[0:1]
	s_cbranch_execz .LBB5_3
; %bb.2:
	v_lshrrev_b32_e32 v15, 4, v0
	v_and_b32_e32 v15, 60, v15
	v_add_f32_e32 v1, v1, v14
	ds_write_b32 v15, v1 offset:8
.LBB5_3:
	s_or_b64 exec, exec, s[2:3]
	v_and_b32_e32 v1, 1, v0
	v_lshlrev_b32_e32 v14, 2, v1
	s_waitcnt lgkmcnt(0)
	s_barrier
	ds_read_b32 v1, v14 offset:8
	v_cvt_f32_i32_e32 v15, s9
	s_waitcnt vmcnt(1)
	v_cvt_f32_f16_sdwa v21, v3 dst_sel:DWORD dst_unused:UNUSED_PAD src0_sel:WORD_1
	v_cvt_f32_f16_sdwa v23, v5 dst_sel:DWORD dst_unused:UNUSED_PAD src0_sel:WORD_1
	v_cvt_f32_f16_e32 v22, v5
	s_waitcnt lgkmcnt(0)
	v_mov_b32_dpp v16, v1 quad_perm:[1,0,3,2] row_mask:0xf bank_mask:0xf
	v_add_f32_e32 v1, v1, v16
	v_div_scale_f32 v16, s[2:3], v15, v15, v1
	v_rcp_f32_e32 v17, v16
	v_div_scale_f32 v18, vcc, v1, v15, v1
	s_mov_b32 s2, 0x800000
	v_fma_f32 v19, -v16, v17, 1.0
	v_fmac_f32_e32 v17, v19, v17
	v_mul_f32_e32 v19, v18, v17
	v_fma_f32 v20, -v16, v19, v18
	v_fmac_f32_e32 v19, v20, v17
	v_fma_f32 v16, -v16, v19, v18
	v_div_fmas_f32 v16, v16, v17, v19
	v_div_fixup_f32 v1, v16, v15, v1
	v_cvt_f64_f32_e32 v[16:17], v1
	v_add_f64 v[16:17], v[16:17], s[28:29]
	v_cvt_f32_f64_e32 v1, v[16:17]
	v_mul_f32_e32 v15, 0x4b800000, v1
	v_cmp_gt_f32_e32 vcc, s2, v1
	v_cndmask_b32_e32 v1, v1, v15, vcc
	v_rsq_f32_e32 v15, v1
	v_cvt_f32_f16_e32 v20, v3
	v_cvt_f32_f16_sdwa v3, v4 dst_sel:DWORD dst_unused:UNUSED_PAD src0_sel:WORD_1
	v_lshlrev_b32_e32 v1, 3, v0
	v_mul_f32_e32 v16, 0x45800000, v15
	v_cndmask_b32_e32 v16, v15, v16, vcc
	v_mov_b32_e32 v17, v16
	;;#ASMSTART
	v_pk_mul_f32 v[12:13], v[12:13], v[16:17]
	;;#ASMEND
	;;#ASMSTART
	v_pk_mul_f32 v[10:11], v[10:11], v[16:17]
	;;#ASMEND
	;; [unrolled: 3-line block ×4, first 2 shown]
	v_cvt_f32_f16_sdwa v7, v2 dst_sel:DWORD dst_unused:UNUSED_PAD src0_sel:WORD_1
	v_cvt_f32_f16_e32 v6, v2
	v_cvt_f32_f16_e32 v2, v4
	;;#ASMSTART
	v_pk_mul_f32 v[8:9], v[12:13], v[6:7]
	;;#ASMEND
	;;#ASMSTART
	v_pk_mul_f32 v[6:7], v[10:11], v[20:21]
	;;#ASMEND
	v_and_b32_e32 v10, 0x7fffffff, v8
	v_mov_b32_e32 v12, 0x2edbe6ff
	;;#ASMSTART
	v_pk_mul_f32 v[4:5], v[18:19], v[2:3]
	;;#ASMEND
	;;#ASMSTART
	v_pk_mul_f32 v[2:3], v[16:17], v[22:23]
	;;#ASMEND
	v_and_b32_e32 v11, 0x7fffffff, v9
	;;#ASMSTART
	v_max3_f32 v10, v12, v10, v11

	;;#ASMEND
	v_and_b32_e32 v12, 0x7fffffff, v7
	v_and_b32_e32 v11, 0x7fffffff, v6
	;;#ASMSTART
	v_max3_f32 v10, v10, v11, v12

	;;#ASMEND
	v_and_b32_e32 v12, 0x7fffffff, v5
	v_and_b32_e32 v11, 0x7fffffff, v4
	;;#ASMSTART
	v_max3_f32 v10, v10, v11, v12

	;;#ASMEND
	v_and_b32_e32 v12, 0x7fffffff, v3
	s_cmp_lg_u32 s14, 0
	v_and_b32_e32 v11, 0x7fffffff, v2
	;;#ASMSTART
	v_max3_f32 v12, v10, v11, v12

	;;#ASMEND
	s_cbranch_scc0 .LBB5_10
; %bb.4:
	s_ashr_i32 s12, s14, 31
	s_lshr_b32 s2, s12, 29
	s_add_i32 s2, s14, s2
	s_ashr_i32 s10, s2, 3
	s_cmp_lt_i32 s10, 16
	s_cbranch_scc1 .LBB5_11
; %bb.5:
	s_cmp_lt_i32 s10, 32
	s_cbranch_scc1 .LBB5_12
; %bb.6:
	;; [unrolled: 3-line block ×3, first 2 shown]
	s_cmp_eq_u32 s10, 64
	v_mov_b32_e32 v10, v12
	s_cbranch_scc0 .LBB5_9
; %bb.8:
	s_nop 0
	v_mov_b32_dpp v10, v12 quad_perm:[1,0,3,2] row_mask:0xf bank_mask:0xf
	v_cmp_gt_f32_e32 vcc, v12, v10
	v_cndmask_b32_e32 v10, v10, v12, vcc
	v_bfrev_b32_e32 v13, 0.5
	s_nop 0
	v_mov_b32_dpp v11, v10 quad_perm:[2,3,0,1] row_mask:0xf bank_mask:0xf
	v_cmp_gt_f32_e32 vcc, v10, v11
	v_cndmask_b32_e32 v10, v11, v10, vcc
	s_nop 1
	v_mov_b32_dpp v11, v10 row_ror:4 row_mask:0xf bank_mask:0xf
	v_cmp_gt_f32_e32 vcc, v10, v11
	v_cndmask_b32_e32 v10, v11, v10, vcc
	s_nop 1
	v_mov_b32_dpp v11, v10 row_ror:8 row_mask:0xf bank_mask:0xf
	v_cmp_gt_f32_e32 vcc, v10, v11
	v_cndmask_b32_e32 v10, v11, v10, vcc
	s_nop 1
	v_mov_b32_dpp v11, v10 row_bcast:15 row_mask:0xf bank_mask:0xf
	v_cmp_gt_f32_e32 vcc, v10, v11
	v_cndmask_b32_e32 v10, v11, v10, vcc
	s_nop 1
	v_mov_b32_dpp v11, v10 row_bcast:31 row_mask:0xf bank_mask:0xf
	v_cmp_gt_f32_e32 vcc, v10, v11
	v_cndmask_b32_e32 v10, v11, v10, vcc
	v_mbcnt_lo_u32_b32 v11, -1, 0
	v_mbcnt_hi_u32_b32 v11, -1, v11
	v_lshl_or_b32 v11, v11, 2, v13
	ds_bpermute_b32 v10, v11, v10
.LBB5_9:
	s_mov_b64 s[2:3], 0
	s_branch .LBB5_14
.LBB5_10:
	s_mov_b64 s[2:3], 0
                                        ; implicit-def: $vgpr13
                                        ; implicit-def: $vgpr10_vgpr11
	s_cbranch_execnz .LBB5_43
	s_branch .LBB5_46
.LBB5_11:
                                        ; implicit-def: $vgpr10
	s_branch .LBB5_21
.LBB5_12:
                                        ; implicit-def: $vgpr10
	s_branch .LBB5_18
.LBB5_13:
	s_mov_b64 s[2:3], -1
                                        ; implicit-def: $vgpr10
.LBB5_14:
	s_andn2_b64 vcc, exec, s[2:3]
	s_cbranch_vccnz .LBB5_17
; %bb.15:
	s_cmp_eq_u32 s10, 32
	s_waitcnt lgkmcnt(0)
	v_mov_b32_e32 v10, v12
	s_cbranch_scc0 .LBB5_17
; %bb.16:
	s_nop 0
	v_mov_b32_dpp v10, v12 quad_perm:[1,0,3,2] row_mask:0xf bank_mask:0xf
	v_cmp_gt_f32_e32 vcc, v12, v10
	v_cndmask_b32_e32 v10, v10, v12, vcc
	v_mov_b32_e32 v13, 0x7c
	s_nop 0
	v_mov_b32_dpp v11, v10 quad_perm:[2,3,0,1] row_mask:0xf bank_mask:0xf
	v_cmp_gt_f32_e32 vcc, v10, v11
	v_cndmask_b32_e32 v10, v11, v10, vcc
	s_nop 1
	v_mov_b32_dpp v11, v10 row_half_mirror row_mask:0xf bank_mask:0xf
	v_cmp_gt_f32_e32 vcc, v10, v11
	v_cndmask_b32_e32 v10, v11, v10, vcc
	s_nop 1
	v_mov_b32_dpp v11, v10 row_mirror row_mask:0xf bank_mask:0xf
	v_cmp_gt_f32_e32 vcc, v10, v11
	v_cndmask_b32_e32 v10, v11, v10, vcc
	s_nop 1
	v_mov_b32_dpp v11, v10 row_bcast:15 row_mask:0xa bank_mask:0xf
	v_cmp_gt_f32_e32 vcc, v10, v11
	v_cndmask_b32_e32 v10, v11, v10, vcc
	v_mbcnt_lo_u32_b32 v11, -1, 0
	v_mbcnt_hi_u32_b32 v11, -1, v11
	v_lshl_or_b32 v11, v11, 2, v13
	ds_bpermute_b32 v10, v11, v10
.LBB5_17:
	s_cbranch_execnz .LBB5_20
.LBB5_18:
	s_cmp_eq_u32 s10, 16
	s_waitcnt lgkmcnt(0)
	v_mov_b32_e32 v10, v12
	s_cbranch_scc0 .LBB5_20
; %bb.19:
	s_nop 0
	v_mov_b32_dpp v10, v12 quad_perm:[1,0,3,2] row_mask:0xf bank_mask:0xf
	v_cmp_gt_f32_e32 vcc, v12, v10
	v_cndmask_b32_e32 v10, v10, v12, vcc
	s_nop 1
	v_mov_b32_dpp v11, v10 quad_perm:[2,3,0,1] row_mask:0xf bank_mask:0xf
	v_cmp_gt_f32_e32 vcc, v10, v11
	v_cndmask_b32_e32 v10, v11, v10, vcc
	s_nop 1
	v_mov_b32_dpp v11, v10 row_half_mirror row_mask:0xf bank_mask:0xf
	v_cmp_gt_f32_e32 vcc, v10, v11
	v_cndmask_b32_e32 v10, v11, v10, vcc
	s_nop 1
	v_mov_b32_dpp v11, v10 row_mirror row_mask:0xf bank_mask:0xf
	v_cmp_gt_f32_e32 vcc, v10, v11
	v_cndmask_b32_e32 v10, v11, v10, vcc
.LBB5_20:
	s_cbranch_execnz .LBB5_33
.LBB5_21:
	s_cmp_lt_i32 s10, 4
	s_cbranch_scc1 .LBB5_25
; %bb.22:
	s_cmp_lt_i32 s10, 8
	s_cbranch_scc1 .LBB5_26
; %bb.23:
	s_cmp_eq_u32 s10, 8
	s_waitcnt lgkmcnt(0)
	v_mov_b32_e32 v10, v12
	s_cbranch_scc0 .LBB5_27
; %bb.24:
	s_nop 0
	v_mov_b32_dpp v10, v12 quad_perm:[1,0,3,2] row_mask:0xf bank_mask:0xf
	v_cmp_gt_f32_e32 vcc, v12, v10
	v_cndmask_b32_e32 v10, v10, v12, vcc
	s_nop 1
	v_mov_b32_dpp v11, v10 quad_perm:[2,3,0,1] row_mask:0xf bank_mask:0xf
	v_cmp_gt_f32_e32 vcc, v10, v11
	v_cndmask_b32_e32 v10, v11, v10, vcc
	s_nop 1
	v_mov_b32_dpp v11, v10 row_half_mirror row_mask:0xf bank_mask:0xf
	v_cmp_gt_f32_e32 vcc, v10, v11
	v_cndmask_b32_e32 v10, v11, v10, vcc
	s_cbranch_execz .LBB5_28
	s_branch .LBB5_30
.LBB5_25:
                                        ; implicit-def: $vgpr10
	s_branch .LBB5_31
.LBB5_26:
                                        ; implicit-def: $vgpr10
	s_branch .LBB5_28
.LBB5_27:
	s_cbranch_execnz .LBB5_30
.LBB5_28:
	s_cmp_eq_u32 s10, 4
	s_waitcnt lgkmcnt(0)
	v_mov_b32_e32 v10, v12
	s_cbranch_scc0 .LBB5_30
; %bb.29:
	s_nop 0
	v_mov_b32_dpp v10, v12 quad_perm:[1,0,3,2] row_mask:0xf bank_mask:0xf
	v_cmp_gt_f32_e32 vcc, v12, v10
	v_cndmask_b32_e32 v10, v10, v12, vcc
	s_nop 1
	v_mov_b32_dpp v11, v10 quad_perm:[2,3,0,1] row_mask:0xf bank_mask:0xf
	v_cmp_gt_f32_e32 vcc, v10, v11
	v_cndmask_b32_e32 v10, v11, v10, vcc
.LBB5_30:
	s_cbranch_execnz .LBB5_33
.LBB5_31:
	s_cmp_lg_u32 s10, 2
	s_waitcnt lgkmcnt(0)
	v_mov_b32_e32 v10, v12
	s_cbranch_scc1 .LBB5_33
; %bb.32:
	s_nop 0
	v_mov_b32_dpp v10, v12 quad_perm:[1,0,3,2] row_mask:0xf bank_mask:0xf
	v_cmp_gt_f32_e32 vcc, v12, v10
	v_cndmask_b32_e32 v10, v10, v12, vcc
.LBB5_33:
	v_cvt_f32_u32_e32 v11, s10
	s_waitcnt lgkmcnt(0)
	v_mul_f32_e32 v13, 0x3b124925, v10
	s_sub_i32 s2, 0, s10
	v_cmp_gt_u32_e32 vcc, s9, v1
	v_rcp_iflag_f32_e32 v11, v11
	s_mov_b64 s[4:5], 0
	v_mul_f32_e32 v10, 0x4f7ffffe, v11
	v_cvt_u32_f32_e32 v10, v10
	v_mul_lo_u32 v11, s2, v10
	v_mul_hi_u32 v11, v10, v11
	v_add_u32_e32 v10, v10, v11
	v_mul_hi_u32 v10, v0, v10
	v_mul_lo_u32 v11, v10, s10
	v_sub_u32_e32 v11, v0, v11
	v_add_u32_e32 v15, 1, v10
	v_cmp_le_u32_e64 s[2:3], s10, v11
	v_cndmask_b32_e64 v10, v10, v15, s[2:3]
	v_subrev_u32_e32 v15, s10, v11
	v_cndmask_b32_e64 v11, v11, v15, s[2:3]
	v_add_u32_e32 v15, 1, v10
	v_cmp_le_u32_e64 s[2:3], s10, v11
	v_cndmask_b32_e64 v15, v10, v15, s[2:3]
	v_mul_lo_u32 v10, v15, s10
	v_sub_u32_e32 v10, v0, v10
	v_cmp_eq_u32_e64 s[2:3], 0, v10
	s_and_b64 s[10:11], s[2:3], vcc
	s_mov_b64 s[2:3], 0
                                        ; implicit-def: $vgpr10_vgpr11
	s_and_saveexec_b64 s[18:19], s[10:11]
	s_xor_b64 s[10:11], exec, s[18:19]
	s_cbranch_execz .LBB5_42
; %bb.34:
	s_bitcmp0_b32 s15, 0
	s_cbranch_scc0 .LBB5_39
; %bb.35:
	s_ashr_i32 s2, s9, 31
	s_mul_hi_u32 s3, s9, s6
	s_mul_i32 s2, s2, s6
	s_add_i32 s19, s3, s2
	s_mul_i32 s18, s9, s6
	s_mov_b32 s15, s12
	s_or_b64 s[2:3], s[18:19], s[14:15]
	s_mov_b32 s2, 0
	s_cmp_lg_u64 s[2:3], 0
	s_cbranch_scc0 .LBB5_50
; %bb.36:
	s_add_u32 s2, s14, s15
	s_mov_b32 s24, s15
	s_mov_b32 s25, s15
	s_addc_u32 s3, s15, s15
	s_xor_b64 s[26:27], s[2:3], s[24:25]
	v_cvt_f32_u32_e32 v10, s26
	v_cvt_f32_u32_e32 v11, s27
	s_sub_u32 s2, 0, s26
	s_subb_u32 s3, 0, s27
	v_madmk_f32 v10, v11, 0x4f800000, v10
	v_rcp_f32_e32 v10, v10
	v_mul_f32_e32 v10, 0x5f7ffffc, v10
	v_mul_f32_e32 v11, 0x2f800000, v10
	v_trunc_f32_e32 v11, v11
	v_madmk_f32 v10, v11, 0xcf800000, v10
	v_cvt_u32_f32_e32 v11, v11
	v_cvt_u32_f32_e32 v10, v10
	v_readfirstlane_b32 s12, v11
	v_readfirstlane_b32 s15, v10
	s_mul_i32 s28, s2, s12
	s_mul_hi_u32 s30, s2, s15
	s_mul_i32 s29, s3, s15
	s_add_i32 s28, s30, s28
	s_add_i32 s28, s28, s29
	s_mul_i32 s31, s2, s15
	s_mul_hi_u32 s29, s15, s28
	s_mul_i32 s30, s15, s28
	s_mul_hi_u32 s15, s15, s31
	s_add_u32 s15, s15, s30
	s_addc_u32 s29, 0, s29
	s_mul_hi_u32 s33, s12, s31
	s_mul_i32 s31, s12, s31
	s_add_u32 s15, s15, s31
	s_mul_hi_u32 s30, s12, s28
	s_addc_u32 s15, s29, s33
	s_addc_u32 s29, s30, 0
	s_mul_i32 s28, s12, s28
	s_add_u32 s15, s15, s28
	s_addc_u32 s28, 0, s29
	v_add_co_u32_e32 v10, vcc, s15, v10
	s_cmp_lg_u64 vcc, 0
	s_addc_u32 s12, s12, s28
	v_readfirstlane_b32 s28, v10
	s_mul_i32 s15, s2, s12
	s_mul_hi_u32 s29, s2, s28
	s_add_i32 s15, s29, s15
	s_mul_i32 s3, s3, s28
	s_add_i32 s15, s15, s3
	s_mul_i32 s2, s2, s28
	s_mul_hi_u32 s29, s12, s2
	s_mul_i32 s30, s12, s2
	s_mul_i32 s33, s28, s15
	s_mul_hi_u32 s2, s28, s2
	s_mul_hi_u32 s31, s28, s15
	s_add_u32 s2, s2, s33
	s_addc_u32 s28, 0, s31
	s_add_u32 s2, s2, s30
	s_mul_hi_u32 s3, s12, s15
	s_addc_u32 s2, s28, s29
	s_addc_u32 s3, s3, 0
	s_mul_i32 s15, s12, s15
	s_add_u32 s2, s2, s15
	s_addc_u32 s3, 0, s3
	v_add_co_u32_e32 v10, vcc, s2, v10
	s_cmp_lg_u64 vcc, 0
	s_addc_u32 s12, s12, s3
	s_ashr_i32 s28, s19, 31
	s_add_u32 s2, s18, s28
	s_mov_b32 s29, s28
	s_addc_u32 s3, s19, s28
	s_xor_b64 s[30:31], s[2:3], s[28:29]
	v_readfirstlane_b32 s15, v10
	s_mul_i32 s3, s30, s12
	s_mul_hi_u32 s19, s30, s15
	s_mul_hi_u32 s2, s30, s12
	s_add_u32 s3, s19, s3
	s_addc_u32 s2, 0, s2
	s_mul_hi_u32 s33, s31, s15
	s_mul_i32 s15, s31, s15
	s_add_u32 s3, s3, s15
	s_mul_hi_u32 s19, s31, s12
	s_addc_u32 s2, s2, s33
	s_addc_u32 s3, s19, 0
	s_mul_i32 s12, s31, s12
	s_add_u32 s12, s2, s12
	s_addc_u32 s15, 0, s3
	s_mul_i32 s2, s26, s15
	s_mul_hi_u32 s3, s26, s12
	s_add_i32 s2, s3, s2
	s_mul_i32 s3, s27, s12
	s_add_i32 s19, s2, s3
	s_mul_i32 s3, s26, s12
	v_mov_b32_e32 v10, s3
	s_sub_i32 s2, s31, s19
	v_sub_co_u32_e32 v10, vcc, s30, v10
	s_cmp_lg_u64 vcc, 0
	s_subb_u32 s30, s2, s27
	v_subrev_co_u32_e64 v11, s[2:3], s26, v10
	s_cmp_lg_u64 s[2:3], 0
	s_subb_u32 s30, s30, 0
	s_cmp_ge_u32 s30, s27
	s_cselect_b32 s33, -1, 0
	v_cmp_le_u32_e64 s[2:3], s26, v11
	s_cmp_eq_u32 s30, s27
	v_cndmask_b32_e64 v11, 0, -1, s[2:3]
	v_mov_b32_e32 v16, s33
	s_cselect_b64 s[2:3], -1, 0
	v_cndmask_b32_e64 v11, v16, v11, s[2:3]
	s_add_u32 s2, s12, 1
	s_addc_u32 s30, s15, 0
	s_add_u32 s3, s12, 2
	s_addc_u32 s33, s15, 0
	v_mov_b32_e32 v16, s2
	v_mov_b32_e32 v17, s3
	v_cmp_ne_u32_e64 s[2:3], 0, v11
	v_cndmask_b32_e64 v11, v16, v17, s[2:3]
	v_mov_b32_e32 v16, s30
	v_mov_b32_e32 v17, s33
	s_cmp_lg_u64 vcc, 0
	v_cndmask_b32_e64 v16, v16, v17, s[2:3]
	s_subb_u32 s2, s31, s19
	s_cmp_ge_u32 s2, s27
	s_cselect_b32 s3, -1, 0
	v_cmp_le_u32_e32 vcc, s26, v10
	s_cmp_eq_u32 s2, s27
	v_cndmask_b32_e64 v10, 0, -1, vcc
	v_mov_b32_e32 v17, s3
	s_cselect_b64 vcc, -1, 0
	v_cndmask_b32_e32 v10, v17, v10, vcc
	v_mov_b32_e32 v17, s15
	v_cmp_ne_u32_e32 vcc, 0, v10
	v_cndmask_b32_e32 v10, v17, v16, vcc
	v_mov_b32_e32 v16, s12
	v_cndmask_b32_e32 v11, v16, v11, vcc
	s_xor_b64 s[2:3], s[28:29], s[24:25]
	v_xor_b32_e32 v11, s2, v11
	v_xor_b32_e32 v16, s3, v10
	v_mov_b32_e32 v17, s3
	v_subrev_co_u32_e32 v10, vcc, s2, v11
	v_subb_co_u32_e32 v11, vcc, v16, v17, vcc
	s_cbranch_execnz .LBB5_38
.LBB5_37:
	v_cvt_f32_u32_e32 v10, s14
	s_sub_i32 s2, 0, s14
	s_mov_b32 s3, 0
	v_rcp_iflag_f32_e32 v10, v10
	v_mul_f32_e32 v10, 0x4f7ffffe, v10
	v_cvt_u32_f32_e32 v10, v10
	v_readfirstlane_b32 s12, v10
	s_mul_i32 s2, s2, s12
	s_mul_hi_u32 s2, s12, s2
	s_add_i32 s12, s12, s2
	s_mul_hi_u32 s2, s18, s12
	s_mul_i32 s15, s2, s14
	s_sub_i32 s15, s18, s15
	s_add_i32 s12, s2, 1
	s_sub_i32 s18, s15, s14
	s_cmp_ge_u32 s15, s14
	s_cselect_b32 s2, s12, s2
	s_cselect_b32 s15, s18, s15
	s_add_i32 s12, s2, 1
	s_cmp_ge_u32 s15, s14
	s_cselect_b32 s2, s12, s2
	v_pk_mov_b32 v[10:11], s[2:3], s[2:3] op_sel:[0,1]
.LBB5_38:
	v_add_co_u32_e32 v10, vcc, v10, v15
	v_addc_co_u32_e32 v11, vcc, 0, v11, vcc
	s_branch .LBB5_41
.LBB5_39:
                                        ; implicit-def: $vgpr10_vgpr11
	s_cbranch_execz .LBB5_41
; %bb.40:
	v_mul_lo_u32 v10, v15, s8
	v_ashrrev_i32_e32 v11, 31, v10
	v_mov_b32_e32 v15, s7
	v_add_co_u32_e32 v10, vcc, s6, v10
	v_addc_co_u32_e32 v11, vcc, v11, v15, vcc
.LBB5_41:
	s_mov_b64 s[2:3], exec
.LBB5_42:
	s_or_b64 exec, exec, s[10:11]
	s_and_b64 vcc, exec, s[4:5]
	s_cbranch_vccz .LBB5_46
.LBB5_43:
	v_mov_b32_dpp v10, v12 quad_perm:[1,0,3,2] row_mask:0xf bank_mask:0xf
	v_cmp_gt_f32_e32 vcc, v12, v10
	v_cndmask_b32_e32 v10, v10, v12, vcc
	s_nop 1
	v_mov_b32_dpp v11, v10 quad_perm:[2,3,0,1] row_mask:0xf bank_mask:0xf
	v_cmp_gt_f32_e32 vcc, v10, v11
	v_cndmask_b32_e32 v10, v11, v10, vcc
	s_nop 1
	v_mov_b32_dpp v11, v10 row_half_mirror row_mask:0xf bank_mask:0xf
	v_cmp_gt_f32_e32 vcc, v10, v11
	v_cndmask_b32_e32 v10, v11, v10, vcc
	s_nop 1
	v_mov_b32_dpp v11, v10 row_mirror row_mask:0xf bank_mask:0xf
	v_cmp_gt_f32_e32 vcc, v10, v11
	v_cndmask_b32_e32 v10, v11, v10, vcc
	s_nop 1
	v_mov_b32_dpp v11, v10 row_bcast:15 row_mask:0xf bank_mask:0xf
	v_cmp_gt_f32_e32 vcc, v10, v11
	v_cndmask_b32_e32 v10, v11, v10, vcc
	s_nop 1
	v_mov_b32_dpp v11, v10 row_bcast:31 row_mask:0xf bank_mask:0xf
	s_and_saveexec_b64 s[2:3], s[0:1]
	s_cbranch_execz .LBB5_45
; %bb.44:
	v_lshrrev_b32_e32 v12, 4, v0
	v_cmp_gt_f32_e32 vcc, v10, v11
	v_and_b32_e32 v12, 60, v12
	v_cndmask_b32_e32 v10, v11, v10, vcc
	ds_write_b32 v12, v10
.LBB5_45:
	s_or_b64 exec, exec, s[2:3]
	s_waitcnt lgkmcnt(0)
	s_barrier
	ds_read_b32 v10, v14
	v_cmp_eq_u32_e64 s[2:3], 0, v0
	s_waitcnt lgkmcnt(0)
	v_mov_b32_dpp v11, v10 quad_perm:[1,0,3,2] row_mask:0xf bank_mask:0xf
	v_cmp_gt_f32_e32 vcc, v10, v11
	v_cndmask_b32_e32 v10, v11, v10, vcc
	v_mul_f32_e32 v13, 0x3b124925, v10
	v_pk_mov_b32 v[10:11], s[6:7], s[6:7] op_sel:[0,1]
.LBB5_46:
	s_and_saveexec_b64 s[0:1], s[2:3]
	s_cbranch_execz .LBB5_48
; %bb.47:
	v_lshlrev_b64 v[10:11], 2, v[10:11]
	v_mov_b32_e32 v0, s21
	v_add_co_u32_e32 v10, vcc, s20, v10
	v_addc_co_u32_e32 v11, vcc, v0, v11, vcc
	global_store_dword v[10:11], v13, off
.LBB5_48:
	s_or_b64 exec, exec, s[0:1]
	s_add_i32 s0, s9, 3
	;;#ASMSTART
	v_rcp_f32 v10, v13
	;;#ASMEND
	v_mov_b32_e32 v11, v10
	;;#ASMSTART
	v_pk_mul_f32 v[8:9], v[8:9], v[10:11]
	;;#ASMEND
	s_ashr_i32 s1, s0, 31
	v_mov_b32_e32 v0, 0xc3e00000
	v_mov_b32_e32 v12, 0x43e00000
	;;#ASMSTART
	v_med3_f32 v8, v8, v0, v12
v_med3_f32 v9, v9, v0, v12
v_cvt_pk_fp8_f32 v13, v8, v9
	;;#ASMEND
	;;#ASMSTART
	v_pk_mul_f32 v[6:7], v[6:7], v[10:11]
	;;#ASMEND
	s_lshr_b32 s1, s1, 30
	;;#ASMSTART
	v_med3_f32 v6, v6, v0, v12
v_med3_f32 v7, v7, v0, v12
v_cvt_pk_fp8_f32 v8, v6, v7
	;;#ASMEND
	s_mov_b32 s5, 0x5040100
	s_add_i32 s0, s0, s1
	v_perm_b32 v7, v8, v13, s5
	s_movk_i32 s5, 0xff
	s_and_b32 s2, s0, -4
	s_ashr_i32 s0, s13, 31
	v_and_b32_e32 v6, 0xffffff00, v8
	v_and_b32_sdwa v8, v7, s5 dst_sel:DWORD dst_unused:UNUSED_PAD src0_sel:WORD_1 src1_sel:DWORD
	s_mul_hi_u32 s1, s13, s6
	s_mul_i32 s0, s0, s6
	s_mov_b32 s4, 0xffff
	v_or_b32_sdwa v6, v8, v6 dst_sel:WORD_1 dst_unused:UNUSED_PAD src0_sel:DWORD src1_sel:DWORD
	;;#ASMSTART
	v_pk_mul_f32 v[4:5], v[4:5], v[10:11]
	;;#ASMEND
	s_add_i32 s1, s1, s0
	s_mul_i32 s0, s13, s6
	v_and_or_b32 v6, v7, s4, v6
	;;#ASMSTART
	v_med3_f32 v4, v4, v0, v12
v_med3_f32 v5, v5, v0, v12
v_cvt_pk_fp8_f32 v7, v4, v5
	;;#ASMEND
	;;#ASMSTART
	v_pk_mul_f32 v[2:3], v[2:3], v[10:11]
	;;#ASMEND
	s_add_u32 s0, s16, s0
	;;#ASMSTART
	v_med3_f32 v2, v2, v0, v12
v_med3_f32 v3, v3, v0, v12
v_cvt_pk_fp8_f32 v0, v2, v3
	;;#ASMEND
	s_addc_u32 s1, s17, s1
	v_lshlrev_b32_e32 v0, 16, v0
	s_and_b32 s1, s1, 0xffff
	s_mov_b32 s3, 0x20000
	v_and_or_b32 v7, v7, s4, v0
	buffer_store_dwordx2 v[6:7], v1, s[0:3], 0 offen
	;;#ASMSTART
	s_nop 0
	;;#ASMEND
.LBB5_49:
	s_endpgm
.LBB5_50:
                                        ; implicit-def: $vgpr10_vgpr11
	s_branch .LBB5_37
	.section	.rodata,"a",@progbits
	.p2align	6, 0x0
	.amdhsa_kernel _ZN5aiter24add_rmsnorm_quant_kernelIDF16_DB8_Li128ELi8ELb1ELb1ELb1ELi1EEEvPT0_PT_PfS5_S5_S5_diiiiiiib
		.amdhsa_group_segment_fixed_size 16
		.amdhsa_private_segment_fixed_size 0
		.amdhsa_kernarg_size 88
		.amdhsa_user_sgpr_count 6
		.amdhsa_user_sgpr_private_segment_buffer 1
		.amdhsa_user_sgpr_dispatch_ptr 0
		.amdhsa_user_sgpr_queue_ptr 0
		.amdhsa_user_sgpr_kernarg_segment_ptr 1
		.amdhsa_user_sgpr_dispatch_id 0
		.amdhsa_user_sgpr_flat_scratch_init 0
		.amdhsa_user_sgpr_kernarg_preload_length 0
		.amdhsa_user_sgpr_kernarg_preload_offset 0
		.amdhsa_user_sgpr_private_segment_size 0
		.amdhsa_uses_dynamic_stack 0
		.amdhsa_system_sgpr_private_segment_wavefront_offset 0
		.amdhsa_system_sgpr_workgroup_id_x 1
		.amdhsa_system_sgpr_workgroup_id_y 0
		.amdhsa_system_sgpr_workgroup_id_z 0
		.amdhsa_system_sgpr_workgroup_info 0
		.amdhsa_system_vgpr_workitem_id 0
		.amdhsa_next_free_vgpr 32
		.amdhsa_next_free_sgpr 40
		.amdhsa_accum_offset 32
		.amdhsa_reserve_vcc 1
		.amdhsa_reserve_flat_scratch 0
		.amdhsa_float_round_mode_32 0
		.amdhsa_float_round_mode_16_64 0
		.amdhsa_float_denorm_mode_32 3
		.amdhsa_float_denorm_mode_16_64 3
		.amdhsa_dx10_clamp 1
		.amdhsa_ieee_mode 1
		.amdhsa_fp16_overflow 0
		.amdhsa_tg_split 0
		.amdhsa_exception_fp_ieee_invalid_op 0
		.amdhsa_exception_fp_denorm_src 0
		.amdhsa_exception_fp_ieee_div_zero 0
		.amdhsa_exception_fp_ieee_overflow 0
		.amdhsa_exception_fp_ieee_underflow 0
		.amdhsa_exception_fp_ieee_inexact 0
		.amdhsa_exception_int_div_zero 0
	.end_amdhsa_kernel
	.section	.text._ZN5aiter24add_rmsnorm_quant_kernelIDF16_DB8_Li128ELi8ELb1ELb1ELb1ELi1EEEvPT0_PT_PfS5_S5_S5_diiiiiiib,"axG",@progbits,_ZN5aiter24add_rmsnorm_quant_kernelIDF16_DB8_Li128ELi8ELb1ELb1ELb1ELi1EEEvPT0_PT_PfS5_S5_S5_diiiiiiib,comdat
.Lfunc_end5:
	.size	_ZN5aiter24add_rmsnorm_quant_kernelIDF16_DB8_Li128ELi8ELb1ELb1ELb1ELi1EEEvPT0_PT_PfS5_S5_S5_diiiiiiib, .Lfunc_end5-_ZN5aiter24add_rmsnorm_quant_kernelIDF16_DB8_Li128ELi8ELb1ELb1ELb1ELi1EEEvPT0_PT_PfS5_S5_S5_diiiiiiib
                                        ; -- End function
	.section	.AMDGPU.csdata,"",@progbits
; Kernel info:
; codeLenInByte = 3344
; NumSgprs: 44
; NumVgprs: 32
; NumAgprs: 0
; TotalNumVgprs: 32
; ScratchSize: 0
; MemoryBound: 0
; FloatMode: 240
; IeeeMode: 1
; LDSByteSize: 16 bytes/workgroup (compile time only)
; SGPRBlocks: 5
; VGPRBlocks: 3
; NumSGPRsForWavesPerEU: 44
; NumVGPRsForWavesPerEU: 32
; AccumOffset: 32
; Occupancy: 8
; WaveLimiterHint : 0
; COMPUTE_PGM_RSRC2:SCRATCH_EN: 0
; COMPUTE_PGM_RSRC2:USER_SGPR: 6
; COMPUTE_PGM_RSRC2:TRAP_HANDLER: 0
; COMPUTE_PGM_RSRC2:TGID_X_EN: 1
; COMPUTE_PGM_RSRC2:TGID_Y_EN: 0
; COMPUTE_PGM_RSRC2:TGID_Z_EN: 0
; COMPUTE_PGM_RSRC2:TIDIG_COMP_CNT: 0
; COMPUTE_PGM_RSRC3_GFX90A:ACCUM_OFFSET: 7
; COMPUTE_PGM_RSRC3_GFX90A:TG_SPLIT: 0
	.section	.text._ZN5aiter24add_rmsnorm_quant_kernelItDB8_Li128ELi8ELb1ELb1ELb1ELi1EEEvPT0_PT_PfS5_S5_S5_diiiiiiib,"axG",@progbits,_ZN5aiter24add_rmsnorm_quant_kernelItDB8_Li128ELi8ELb1ELb1ELb1ELi1EEEvPT0_PT_PfS5_S5_S5_diiiiiiib,comdat
	.protected	_ZN5aiter24add_rmsnorm_quant_kernelItDB8_Li128ELi8ELb1ELb1ELb1ELi1EEEvPT0_PT_PfS5_S5_S5_diiiiiiib ; -- Begin function _ZN5aiter24add_rmsnorm_quant_kernelItDB8_Li128ELi8ELb1ELb1ELb1ELi1EEEvPT0_PT_PfS5_S5_S5_diiiiiiib
	.globl	_ZN5aiter24add_rmsnorm_quant_kernelItDB8_Li128ELi8ELb1ELb1ELb1ELi1EEEvPT0_PT_PfS5_S5_S5_diiiiiiib
	.p2align	8
	.type	_ZN5aiter24add_rmsnorm_quant_kernelItDB8_Li128ELi8ELb1ELb1ELb1ELi1EEEvPT0_PT_PfS5_S5_S5_diiiiiiib,@function
_ZN5aiter24add_rmsnorm_quant_kernelItDB8_Li128ELi8ELb1ELb1ELb1ELi1EEEvPT0_PT_PfS5_S5_S5_diiiiiiib: ; @_ZN5aiter24add_rmsnorm_quant_kernelItDB8_Li128ELi8ELb1ELb1ELb1ELi1EEEvPT0_PT_PfS5_S5_S5_diiiiiiib
; %bb.0:
	s_load_dwordx8 s[8:15], s[4:5], 0x38
	s_mov_b32 s7, 0
	s_waitcnt lgkmcnt(0)
	s_ashr_i32 s0, s8, 31
	v_mov_b32_e32 v2, s8
	v_mov_b32_e32 v3, s0
	v_cmp_ge_i64_e32 vcc, s[6:7], v[2:3]
	s_cbranch_vccnz .LBB6_49
; %bb.1:
	s_load_dwordx8 s[16:23], s[4:5], 0x0
	s_load_dwordx8 s[24:31], s[4:5], 0x20
	s_ashr_i32 s0, s10, 31
	s_mul_hi_u32 s1, s10, s6
	s_mul_i32 s0, s0, s6
	s_add_i32 s1, s1, s0
	s_mul_i32 s0, s10, s6
	s_lshl_b64 s[0:1], s[0:1], 1
	s_waitcnt lgkmcnt(0)
	s_add_u32 s0, s22, s0
	s_addc_u32 s1, s23, s1
	s_add_i32 s2, s9, 1
	s_lshr_b32 s3, s2, 31
	s_add_i32 s2, s2, s3
	s_lshl_b32 s2, s2, 1
	s_and_b32 s2, s2, -4
	s_and_b32 s1, s1, 0xffff
	s_mov_b32 s3, 0x20000
	v_lshlrev_b32_e32 v1, 4, v0
	buffer_load_dwordx4 v[6:9], v1, s[0:3], 0 offen glc slc
	s_ashr_i32 s0, s11, 31
	s_mul_hi_u32 s1, s11, s6
	s_mul_i32 s0, s0, s6
	s_add_i32 s1, s1, s0
	s_mul_i32 s0, s11, s6
	s_and_b32 s37, s27, 0xffff
	s_lshl_b64 s[0:1], s[0:1], 1
	s_add_u32 s0, s24, s0
	s_addc_u32 s1, s25, s1
	s_and_b32 s1, s1, 0xffff
	buffer_load_dwordx4 v[10:13], v1, s[0:3], 0 offen glc slc
	s_mov_b32 s39, s3
	s_mov_b32 s36, s26
	;; [unrolled: 1-line block ×3, first 2 shown]
	buffer_load_dwordx4 v[2:5], v1, s[36:39], 0 offen
	s_ashr_i32 s5, s12, 31
	s_mul_hi_u32 s1, s12, s6
	s_mul_i32 s5, s5, s6
	s_mul_i32 s0, s12, s6
	s_add_i32 s1, s1, s5
	s_lshl_b64 s[0:1], s[0:1], 1
	s_add_u32 s0, s18, s0
	s_mov_b32 s4, 0x7060302
	s_addc_u32 s1, s19, s1
	s_and_b32 s1, s1, 0xffff
	v_and_b32_e32 v26, 63, v0
	s_waitcnt vmcnt(2)
	v_cvt_f32_u32_sdwa v15, v6 dst_sel:DWORD dst_unused:UNUSED_PAD src0_sel:WORD_1
	v_cvt_f32_u32_sdwa v14, v6 dst_sel:DWORD dst_unused:UNUSED_PAD src0_sel:WORD_0
	v_cvt_f32_u32_sdwa v17, v7 dst_sel:DWORD dst_unused:UNUSED_PAD src0_sel:WORD_1
	v_cvt_f32_u32_sdwa v16, v7 dst_sel:DWORD dst_unused:UNUSED_PAD src0_sel:WORD_0
	;; [unrolled: 2-line block ×4, first 2 shown]
	s_waitcnt vmcnt(1)
	v_cvt_f32_u32_sdwa v9, v10 dst_sel:DWORD dst_unused:UNUSED_PAD src0_sel:WORD_1
	v_cvt_f32_u32_sdwa v8, v10 dst_sel:DWORD dst_unused:UNUSED_PAD src0_sel:WORD_0
	v_cvt_f32_u32_sdwa v21, v11 dst_sel:DWORD dst_unused:UNUSED_PAD src0_sel:WORD_1
	v_cvt_f32_u32_sdwa v20, v11 dst_sel:DWORD dst_unused:UNUSED_PAD src0_sel:WORD_0
	;; [unrolled: 2-line block ×4, first 2 shown]
	v_pk_add_f32 v[12:13], v[14:15], v[8:9]
	v_pk_add_f32 v[10:11], v[16:17], v[20:21]
	;; [unrolled: 1-line block ×4, first 2 shown]
	v_perm_b32 v17, v7, v6, s4
	v_perm_b32 v16, v9, v8, s4
	;; [unrolled: 1-line block ×4, first 2 shown]
	v_pk_mul_f32 v[18:19], v[12:13], v[12:13]
	v_pk_mul_f32 v[20:21], v[10:11], v[10:11]
	buffer_store_dwordx4 v[14:17], v1, s[0:3], 0 offen glc slc
	v_add_f32_e32 v1, v18, v19
	v_add_f32_e32 v1, v20, v1
	v_pk_mul_f32 v[22:23], v[8:9], v[8:9]
	v_add_f32_e32 v1, v21, v1
	v_add_f32_e32 v1, v22, v1
	v_pk_mul_f32 v[24:25], v[6:7], v[6:7]
	v_add_f32_e32 v1, v23, v1
	v_add_f32_e32 v1, v24, v1
	;; [unrolled: 1-line block ×3, first 2 shown]
	v_cmp_eq_u32_e64 s[0:1], 63, v26
	;;#ASMSTART
	s_nop 0
	;;#ASMEND
	s_nop 0
	v_mov_b32_dpp v14, v1 quad_perm:[1,0,3,2] row_mask:0xf bank_mask:0xf
	v_add_f32_e32 v1, v1, v14
	s_nop 1
	v_mov_b32_dpp v14, v1 quad_perm:[2,3,0,1] row_mask:0xf bank_mask:0xf
	v_add_f32_e32 v1, v1, v14
	s_nop 1
	v_mov_b32_dpp v14, v1 row_half_mirror row_mask:0xf bank_mask:0xf
	v_add_f32_e32 v1, v1, v14
	s_nop 1
	v_mov_b32_dpp v14, v1 row_mirror row_mask:0xf bank_mask:0xf
	v_add_f32_e32 v1, v1, v14
	s_nop 1
	v_mov_b32_dpp v14, v1 row_bcast:15 row_mask:0xf bank_mask:0xf
	v_add_f32_e32 v1, v1, v14
	s_nop 1
	v_mov_b32_dpp v14, v1 row_bcast:31 row_mask:0xf bank_mask:0xf
	s_and_saveexec_b64 s[2:3], s[0:1]
	s_cbranch_execz .LBB6_3
; %bb.2:
	v_lshrrev_b32_e32 v15, 4, v0
	v_and_b32_e32 v15, 60, v15
	v_add_f32_e32 v1, v1, v14
	ds_write_b32 v15, v1 offset:8
.LBB6_3:
	s_or_b64 exec, exec, s[2:3]
	v_and_b32_e32 v1, 1, v0
	v_lshlrev_b32_e32 v14, 2, v1
	s_waitcnt lgkmcnt(0)
	s_barrier
	ds_read_b32 v1, v14 offset:8
	v_cvt_f32_i32_e32 v15, s9
	s_waitcnt vmcnt(1)
	v_cvt_f32_u32_sdwa v21, v3 dst_sel:DWORD dst_unused:UNUSED_PAD src0_sel:WORD_1
	v_cvt_f32_u32_sdwa v23, v5 dst_sel:DWORD dst_unused:UNUSED_PAD src0_sel:WORD_1
	v_cvt_f32_u32_sdwa v22, v5 dst_sel:DWORD dst_unused:UNUSED_PAD src0_sel:WORD_0
	s_waitcnt lgkmcnt(0)
	v_mov_b32_dpp v16, v1 quad_perm:[1,0,3,2] row_mask:0xf bank_mask:0xf
	v_add_f32_e32 v1, v1, v16
	v_div_scale_f32 v16, s[2:3], v15, v15, v1
	v_rcp_f32_e32 v17, v16
	v_div_scale_f32 v18, vcc, v1, v15, v1
	s_mov_b32 s2, 0x800000
	v_fma_f32 v19, -v16, v17, 1.0
	v_fmac_f32_e32 v17, v19, v17
	v_mul_f32_e32 v19, v18, v17
	v_fma_f32 v20, -v16, v19, v18
	v_fmac_f32_e32 v19, v20, v17
	v_fma_f32 v16, -v16, v19, v18
	v_div_fmas_f32 v16, v16, v17, v19
	v_div_fixup_f32 v1, v16, v15, v1
	v_cvt_f64_f32_e32 v[16:17], v1
	v_add_f64 v[16:17], v[16:17], s[28:29]
	v_cvt_f32_f64_e32 v1, v[16:17]
	v_mul_f32_e32 v15, 0x4b800000, v1
	v_cmp_gt_f32_e32 vcc, s2, v1
	v_cndmask_b32_e32 v1, v1, v15, vcc
	v_rsq_f32_e32 v15, v1
	v_cvt_f32_u32_sdwa v20, v3 dst_sel:DWORD dst_unused:UNUSED_PAD src0_sel:WORD_0
	v_cvt_f32_u32_sdwa v3, v4 dst_sel:DWORD dst_unused:UNUSED_PAD src0_sel:WORD_1
	v_lshlrev_b32_e32 v1, 3, v0
	v_mul_f32_e32 v16, 0x45800000, v15
	v_cndmask_b32_e32 v16, v15, v16, vcc
	v_mov_b32_e32 v17, v16
	;;#ASMSTART
	v_pk_mul_f32 v[12:13], v[12:13], v[16:17]
	;;#ASMEND
	;;#ASMSTART
	v_pk_mul_f32 v[10:11], v[10:11], v[16:17]
	;;#ASMEND
	;; [unrolled: 3-line block ×4, first 2 shown]
	v_cvt_f32_u32_sdwa v7, v2 dst_sel:DWORD dst_unused:UNUSED_PAD src0_sel:WORD_1
	v_cvt_f32_u32_sdwa v6, v2 dst_sel:DWORD dst_unused:UNUSED_PAD src0_sel:WORD_0
	v_cvt_f32_u32_sdwa v2, v4 dst_sel:DWORD dst_unused:UNUSED_PAD src0_sel:WORD_0
	;;#ASMSTART
	v_pk_mul_f32 v[8:9], v[12:13], v[6:7]
	;;#ASMEND
	;;#ASMSTART
	v_pk_mul_f32 v[6:7], v[10:11], v[20:21]
	;;#ASMEND
	v_and_b32_e32 v10, 0x7fffffff, v8
	v_mov_b32_e32 v12, 0x2edbe6ff
	;;#ASMSTART
	v_pk_mul_f32 v[4:5], v[18:19], v[2:3]
	;;#ASMEND
	;;#ASMSTART
	v_pk_mul_f32 v[2:3], v[16:17], v[22:23]
	;;#ASMEND
	v_and_b32_e32 v11, 0x7fffffff, v9
	;;#ASMSTART
	v_max3_f32 v10, v12, v10, v11

	;;#ASMEND
	v_and_b32_e32 v12, 0x7fffffff, v7
	v_and_b32_e32 v11, 0x7fffffff, v6
	;;#ASMSTART
	v_max3_f32 v10, v10, v11, v12

	;;#ASMEND
	v_and_b32_e32 v12, 0x7fffffff, v5
	;; [unrolled: 6-line block ×3, first 2 shown]
	s_cmp_lg_u32 s14, 0
	v_and_b32_e32 v11, 0x7fffffff, v2
	;;#ASMSTART
	v_max3_f32 v12, v10, v11, v12

	;;#ASMEND
	s_cbranch_scc0 .LBB6_10
; %bb.4:
	s_ashr_i32 s12, s14, 31
	s_lshr_b32 s2, s12, 29
	s_add_i32 s2, s14, s2
	s_ashr_i32 s10, s2, 3
	s_cmp_lt_i32 s10, 16
	s_cbranch_scc1 .LBB6_11
; %bb.5:
	s_cmp_lt_i32 s10, 32
	s_cbranch_scc1 .LBB6_12
; %bb.6:
	;; [unrolled: 3-line block ×3, first 2 shown]
	s_cmp_eq_u32 s10, 64
	v_mov_b32_e32 v10, v12
	s_cbranch_scc0 .LBB6_9
; %bb.8:
	s_nop 0
	v_mov_b32_dpp v10, v12 quad_perm:[1,0,3,2] row_mask:0xf bank_mask:0xf
	v_cmp_gt_f32_e32 vcc, v12, v10
	v_cndmask_b32_e32 v10, v10, v12, vcc
	v_bfrev_b32_e32 v13, 0.5
	s_nop 0
	v_mov_b32_dpp v11, v10 quad_perm:[2,3,0,1] row_mask:0xf bank_mask:0xf
	v_cmp_gt_f32_e32 vcc, v10, v11
	v_cndmask_b32_e32 v10, v11, v10, vcc
	s_nop 1
	v_mov_b32_dpp v11, v10 row_ror:4 row_mask:0xf bank_mask:0xf
	v_cmp_gt_f32_e32 vcc, v10, v11
	v_cndmask_b32_e32 v10, v11, v10, vcc
	s_nop 1
	v_mov_b32_dpp v11, v10 row_ror:8 row_mask:0xf bank_mask:0xf
	v_cmp_gt_f32_e32 vcc, v10, v11
	v_cndmask_b32_e32 v10, v11, v10, vcc
	s_nop 1
	v_mov_b32_dpp v11, v10 row_bcast:15 row_mask:0xf bank_mask:0xf
	v_cmp_gt_f32_e32 vcc, v10, v11
	v_cndmask_b32_e32 v10, v11, v10, vcc
	s_nop 1
	v_mov_b32_dpp v11, v10 row_bcast:31 row_mask:0xf bank_mask:0xf
	v_cmp_gt_f32_e32 vcc, v10, v11
	v_cndmask_b32_e32 v10, v11, v10, vcc
	v_mbcnt_lo_u32_b32 v11, -1, 0
	v_mbcnt_hi_u32_b32 v11, -1, v11
	v_lshl_or_b32 v11, v11, 2, v13
	ds_bpermute_b32 v10, v11, v10
.LBB6_9:
	s_mov_b64 s[2:3], 0
	s_branch .LBB6_14
.LBB6_10:
	s_mov_b64 s[2:3], 0
                                        ; implicit-def: $vgpr13
                                        ; implicit-def: $vgpr10_vgpr11
	s_cbranch_execnz .LBB6_43
	s_branch .LBB6_46
.LBB6_11:
                                        ; implicit-def: $vgpr10
	s_branch .LBB6_21
.LBB6_12:
                                        ; implicit-def: $vgpr10
	s_branch .LBB6_18
.LBB6_13:
	s_mov_b64 s[2:3], -1
                                        ; implicit-def: $vgpr10
.LBB6_14:
	s_andn2_b64 vcc, exec, s[2:3]
	s_cbranch_vccnz .LBB6_17
; %bb.15:
	s_cmp_eq_u32 s10, 32
	s_waitcnt lgkmcnt(0)
	v_mov_b32_e32 v10, v12
	s_cbranch_scc0 .LBB6_17
; %bb.16:
	s_nop 0
	v_mov_b32_dpp v10, v12 quad_perm:[1,0,3,2] row_mask:0xf bank_mask:0xf
	v_cmp_gt_f32_e32 vcc, v12, v10
	v_cndmask_b32_e32 v10, v10, v12, vcc
	v_mov_b32_e32 v13, 0x7c
	s_nop 0
	v_mov_b32_dpp v11, v10 quad_perm:[2,3,0,1] row_mask:0xf bank_mask:0xf
	v_cmp_gt_f32_e32 vcc, v10, v11
	v_cndmask_b32_e32 v10, v11, v10, vcc
	s_nop 1
	v_mov_b32_dpp v11, v10 row_half_mirror row_mask:0xf bank_mask:0xf
	v_cmp_gt_f32_e32 vcc, v10, v11
	v_cndmask_b32_e32 v10, v11, v10, vcc
	s_nop 1
	v_mov_b32_dpp v11, v10 row_mirror row_mask:0xf bank_mask:0xf
	v_cmp_gt_f32_e32 vcc, v10, v11
	v_cndmask_b32_e32 v10, v11, v10, vcc
	s_nop 1
	v_mov_b32_dpp v11, v10 row_bcast:15 row_mask:0xa bank_mask:0xf
	v_cmp_gt_f32_e32 vcc, v10, v11
	v_cndmask_b32_e32 v10, v11, v10, vcc
	v_mbcnt_lo_u32_b32 v11, -1, 0
	v_mbcnt_hi_u32_b32 v11, -1, v11
	v_lshl_or_b32 v11, v11, 2, v13
	ds_bpermute_b32 v10, v11, v10
.LBB6_17:
	s_cbranch_execnz .LBB6_20
.LBB6_18:
	s_cmp_eq_u32 s10, 16
	s_waitcnt lgkmcnt(0)
	v_mov_b32_e32 v10, v12
	s_cbranch_scc0 .LBB6_20
; %bb.19:
	s_nop 0
	v_mov_b32_dpp v10, v12 quad_perm:[1,0,3,2] row_mask:0xf bank_mask:0xf
	v_cmp_gt_f32_e32 vcc, v12, v10
	v_cndmask_b32_e32 v10, v10, v12, vcc
	s_nop 1
	v_mov_b32_dpp v11, v10 quad_perm:[2,3,0,1] row_mask:0xf bank_mask:0xf
	v_cmp_gt_f32_e32 vcc, v10, v11
	v_cndmask_b32_e32 v10, v11, v10, vcc
	s_nop 1
	v_mov_b32_dpp v11, v10 row_half_mirror row_mask:0xf bank_mask:0xf
	v_cmp_gt_f32_e32 vcc, v10, v11
	v_cndmask_b32_e32 v10, v11, v10, vcc
	s_nop 1
	v_mov_b32_dpp v11, v10 row_mirror row_mask:0xf bank_mask:0xf
	v_cmp_gt_f32_e32 vcc, v10, v11
	v_cndmask_b32_e32 v10, v11, v10, vcc
.LBB6_20:
	s_cbranch_execnz .LBB6_33
.LBB6_21:
	s_cmp_lt_i32 s10, 4
	s_cbranch_scc1 .LBB6_25
; %bb.22:
	s_cmp_lt_i32 s10, 8
	s_cbranch_scc1 .LBB6_26
; %bb.23:
	s_cmp_eq_u32 s10, 8
	s_waitcnt lgkmcnt(0)
	v_mov_b32_e32 v10, v12
	s_cbranch_scc0 .LBB6_27
; %bb.24:
	s_nop 0
	v_mov_b32_dpp v10, v12 quad_perm:[1,0,3,2] row_mask:0xf bank_mask:0xf
	v_cmp_gt_f32_e32 vcc, v12, v10
	v_cndmask_b32_e32 v10, v10, v12, vcc
	s_nop 1
	v_mov_b32_dpp v11, v10 quad_perm:[2,3,0,1] row_mask:0xf bank_mask:0xf
	v_cmp_gt_f32_e32 vcc, v10, v11
	v_cndmask_b32_e32 v10, v11, v10, vcc
	s_nop 1
	v_mov_b32_dpp v11, v10 row_half_mirror row_mask:0xf bank_mask:0xf
	v_cmp_gt_f32_e32 vcc, v10, v11
	v_cndmask_b32_e32 v10, v11, v10, vcc
	s_cbranch_execz .LBB6_28
	s_branch .LBB6_30
.LBB6_25:
                                        ; implicit-def: $vgpr10
	s_branch .LBB6_31
.LBB6_26:
                                        ; implicit-def: $vgpr10
	s_branch .LBB6_28
.LBB6_27:
	s_cbranch_execnz .LBB6_30
.LBB6_28:
	s_cmp_eq_u32 s10, 4
	s_waitcnt lgkmcnt(0)
	v_mov_b32_e32 v10, v12
	s_cbranch_scc0 .LBB6_30
; %bb.29:
	s_nop 0
	v_mov_b32_dpp v10, v12 quad_perm:[1,0,3,2] row_mask:0xf bank_mask:0xf
	v_cmp_gt_f32_e32 vcc, v12, v10
	v_cndmask_b32_e32 v10, v10, v12, vcc
	s_nop 1
	v_mov_b32_dpp v11, v10 quad_perm:[2,3,0,1] row_mask:0xf bank_mask:0xf
	v_cmp_gt_f32_e32 vcc, v10, v11
	v_cndmask_b32_e32 v10, v11, v10, vcc
.LBB6_30:
	s_cbranch_execnz .LBB6_33
.LBB6_31:
	s_cmp_lg_u32 s10, 2
	s_waitcnt lgkmcnt(0)
	v_mov_b32_e32 v10, v12
	s_cbranch_scc1 .LBB6_33
; %bb.32:
	s_nop 0
	v_mov_b32_dpp v10, v12 quad_perm:[1,0,3,2] row_mask:0xf bank_mask:0xf
	v_cmp_gt_f32_e32 vcc, v12, v10
	v_cndmask_b32_e32 v10, v10, v12, vcc
.LBB6_33:
	v_cvt_f32_u32_e32 v11, s10
	s_waitcnt lgkmcnt(0)
	v_mul_f32_e32 v13, 0x3b124925, v10
	s_sub_i32 s2, 0, s10
	v_cmp_gt_u32_e32 vcc, s9, v1
	v_rcp_iflag_f32_e32 v11, v11
	s_mov_b64 s[4:5], 0
	v_mul_f32_e32 v10, 0x4f7ffffe, v11
	v_cvt_u32_f32_e32 v10, v10
	v_mul_lo_u32 v11, s2, v10
	v_mul_hi_u32 v11, v10, v11
	v_add_u32_e32 v10, v10, v11
	v_mul_hi_u32 v10, v0, v10
	v_mul_lo_u32 v11, v10, s10
	v_sub_u32_e32 v11, v0, v11
	v_add_u32_e32 v15, 1, v10
	v_cmp_le_u32_e64 s[2:3], s10, v11
	v_cndmask_b32_e64 v10, v10, v15, s[2:3]
	v_subrev_u32_e32 v15, s10, v11
	v_cndmask_b32_e64 v11, v11, v15, s[2:3]
	v_add_u32_e32 v15, 1, v10
	v_cmp_le_u32_e64 s[2:3], s10, v11
	v_cndmask_b32_e64 v15, v10, v15, s[2:3]
	v_mul_lo_u32 v10, v15, s10
	v_sub_u32_e32 v10, v0, v10
	v_cmp_eq_u32_e64 s[2:3], 0, v10
	s_and_b64 s[10:11], s[2:3], vcc
	s_mov_b64 s[2:3], 0
                                        ; implicit-def: $vgpr10_vgpr11
	s_and_saveexec_b64 s[18:19], s[10:11]
	s_xor_b64 s[10:11], exec, s[18:19]
	s_cbranch_execz .LBB6_42
; %bb.34:
	s_bitcmp0_b32 s15, 0
	s_cbranch_scc0 .LBB6_39
; %bb.35:
	s_ashr_i32 s2, s9, 31
	s_mul_hi_u32 s3, s9, s6
	s_mul_i32 s2, s2, s6
	s_add_i32 s19, s3, s2
	s_mul_i32 s18, s9, s6
	s_mov_b32 s15, s12
	s_or_b64 s[2:3], s[18:19], s[14:15]
	s_mov_b32 s2, 0
	s_cmp_lg_u64 s[2:3], 0
	s_cbranch_scc0 .LBB6_50
; %bb.36:
	s_add_u32 s2, s14, s15
	s_mov_b32 s24, s15
	s_mov_b32 s25, s15
	s_addc_u32 s3, s15, s15
	s_xor_b64 s[26:27], s[2:3], s[24:25]
	v_cvt_f32_u32_e32 v10, s26
	v_cvt_f32_u32_e32 v11, s27
	s_sub_u32 s2, 0, s26
	s_subb_u32 s3, 0, s27
	v_madmk_f32 v10, v11, 0x4f800000, v10
	v_rcp_f32_e32 v10, v10
	v_mul_f32_e32 v10, 0x5f7ffffc, v10
	v_mul_f32_e32 v11, 0x2f800000, v10
	v_trunc_f32_e32 v11, v11
	v_madmk_f32 v10, v11, 0xcf800000, v10
	v_cvt_u32_f32_e32 v11, v11
	v_cvt_u32_f32_e32 v10, v10
	v_readfirstlane_b32 s12, v11
	v_readfirstlane_b32 s15, v10
	s_mul_i32 s28, s2, s12
	s_mul_hi_u32 s30, s2, s15
	s_mul_i32 s29, s3, s15
	s_add_i32 s28, s30, s28
	s_add_i32 s28, s28, s29
	s_mul_i32 s31, s2, s15
	s_mul_hi_u32 s29, s15, s28
	s_mul_i32 s30, s15, s28
	s_mul_hi_u32 s15, s15, s31
	s_add_u32 s15, s15, s30
	s_addc_u32 s29, 0, s29
	s_mul_hi_u32 s33, s12, s31
	s_mul_i32 s31, s12, s31
	s_add_u32 s15, s15, s31
	s_mul_hi_u32 s30, s12, s28
	s_addc_u32 s15, s29, s33
	s_addc_u32 s29, s30, 0
	s_mul_i32 s28, s12, s28
	s_add_u32 s15, s15, s28
	s_addc_u32 s28, 0, s29
	v_add_co_u32_e32 v10, vcc, s15, v10
	s_cmp_lg_u64 vcc, 0
	s_addc_u32 s12, s12, s28
	v_readfirstlane_b32 s28, v10
	s_mul_i32 s15, s2, s12
	s_mul_hi_u32 s29, s2, s28
	s_add_i32 s15, s29, s15
	s_mul_i32 s3, s3, s28
	s_add_i32 s15, s15, s3
	s_mul_i32 s2, s2, s28
	s_mul_hi_u32 s29, s12, s2
	s_mul_i32 s30, s12, s2
	s_mul_i32 s33, s28, s15
	s_mul_hi_u32 s2, s28, s2
	s_mul_hi_u32 s31, s28, s15
	s_add_u32 s2, s2, s33
	s_addc_u32 s28, 0, s31
	s_add_u32 s2, s2, s30
	s_mul_hi_u32 s3, s12, s15
	s_addc_u32 s2, s28, s29
	s_addc_u32 s3, s3, 0
	s_mul_i32 s15, s12, s15
	s_add_u32 s2, s2, s15
	s_addc_u32 s3, 0, s3
	v_add_co_u32_e32 v10, vcc, s2, v10
	s_cmp_lg_u64 vcc, 0
	s_addc_u32 s12, s12, s3
	s_ashr_i32 s28, s19, 31
	s_add_u32 s2, s18, s28
	s_mov_b32 s29, s28
	s_addc_u32 s3, s19, s28
	s_xor_b64 s[30:31], s[2:3], s[28:29]
	v_readfirstlane_b32 s15, v10
	s_mul_i32 s3, s30, s12
	s_mul_hi_u32 s19, s30, s15
	s_mul_hi_u32 s2, s30, s12
	s_add_u32 s3, s19, s3
	s_addc_u32 s2, 0, s2
	s_mul_hi_u32 s33, s31, s15
	s_mul_i32 s15, s31, s15
	s_add_u32 s3, s3, s15
	s_mul_hi_u32 s19, s31, s12
	s_addc_u32 s2, s2, s33
	s_addc_u32 s3, s19, 0
	s_mul_i32 s12, s31, s12
	s_add_u32 s12, s2, s12
	s_addc_u32 s15, 0, s3
	s_mul_i32 s2, s26, s15
	s_mul_hi_u32 s3, s26, s12
	s_add_i32 s2, s3, s2
	s_mul_i32 s3, s27, s12
	s_add_i32 s19, s2, s3
	s_mul_i32 s3, s26, s12
	v_mov_b32_e32 v10, s3
	s_sub_i32 s2, s31, s19
	v_sub_co_u32_e32 v10, vcc, s30, v10
	s_cmp_lg_u64 vcc, 0
	s_subb_u32 s30, s2, s27
	v_subrev_co_u32_e64 v11, s[2:3], s26, v10
	s_cmp_lg_u64 s[2:3], 0
	s_subb_u32 s30, s30, 0
	s_cmp_ge_u32 s30, s27
	s_cselect_b32 s33, -1, 0
	v_cmp_le_u32_e64 s[2:3], s26, v11
	s_cmp_eq_u32 s30, s27
	v_cndmask_b32_e64 v11, 0, -1, s[2:3]
	v_mov_b32_e32 v16, s33
	s_cselect_b64 s[2:3], -1, 0
	v_cndmask_b32_e64 v11, v16, v11, s[2:3]
	s_add_u32 s2, s12, 1
	s_addc_u32 s30, s15, 0
	s_add_u32 s3, s12, 2
	s_addc_u32 s33, s15, 0
	v_mov_b32_e32 v16, s2
	v_mov_b32_e32 v17, s3
	v_cmp_ne_u32_e64 s[2:3], 0, v11
	v_cndmask_b32_e64 v11, v16, v17, s[2:3]
	v_mov_b32_e32 v16, s30
	v_mov_b32_e32 v17, s33
	s_cmp_lg_u64 vcc, 0
	v_cndmask_b32_e64 v16, v16, v17, s[2:3]
	s_subb_u32 s2, s31, s19
	s_cmp_ge_u32 s2, s27
	s_cselect_b32 s3, -1, 0
	v_cmp_le_u32_e32 vcc, s26, v10
	s_cmp_eq_u32 s2, s27
	v_cndmask_b32_e64 v10, 0, -1, vcc
	v_mov_b32_e32 v17, s3
	s_cselect_b64 vcc, -1, 0
	v_cndmask_b32_e32 v10, v17, v10, vcc
	v_mov_b32_e32 v17, s15
	v_cmp_ne_u32_e32 vcc, 0, v10
	v_cndmask_b32_e32 v10, v17, v16, vcc
	v_mov_b32_e32 v16, s12
	v_cndmask_b32_e32 v11, v16, v11, vcc
	s_xor_b64 s[2:3], s[28:29], s[24:25]
	v_xor_b32_e32 v11, s2, v11
	v_xor_b32_e32 v16, s3, v10
	v_mov_b32_e32 v17, s3
	v_subrev_co_u32_e32 v10, vcc, s2, v11
	v_subb_co_u32_e32 v11, vcc, v16, v17, vcc
	s_cbranch_execnz .LBB6_38
.LBB6_37:
	v_cvt_f32_u32_e32 v10, s14
	s_sub_i32 s2, 0, s14
	s_mov_b32 s3, 0
	v_rcp_iflag_f32_e32 v10, v10
	v_mul_f32_e32 v10, 0x4f7ffffe, v10
	v_cvt_u32_f32_e32 v10, v10
	v_readfirstlane_b32 s12, v10
	s_mul_i32 s2, s2, s12
	s_mul_hi_u32 s2, s12, s2
	s_add_i32 s12, s12, s2
	s_mul_hi_u32 s2, s18, s12
	s_mul_i32 s15, s2, s14
	s_sub_i32 s15, s18, s15
	s_add_i32 s12, s2, 1
	s_sub_i32 s18, s15, s14
	s_cmp_ge_u32 s15, s14
	s_cselect_b32 s2, s12, s2
	s_cselect_b32 s15, s18, s15
	s_add_i32 s12, s2, 1
	s_cmp_ge_u32 s15, s14
	s_cselect_b32 s2, s12, s2
	v_pk_mov_b32 v[10:11], s[2:3], s[2:3] op_sel:[0,1]
.LBB6_38:
	v_add_co_u32_e32 v10, vcc, v10, v15
	v_addc_co_u32_e32 v11, vcc, 0, v11, vcc
	s_branch .LBB6_41
.LBB6_39:
                                        ; implicit-def: $vgpr10_vgpr11
	s_cbranch_execz .LBB6_41
; %bb.40:
	v_mul_lo_u32 v10, v15, s8
	v_ashrrev_i32_e32 v11, 31, v10
	v_mov_b32_e32 v15, s7
	v_add_co_u32_e32 v10, vcc, s6, v10
	v_addc_co_u32_e32 v11, vcc, v11, v15, vcc
.LBB6_41:
	s_mov_b64 s[2:3], exec
.LBB6_42:
	s_or_b64 exec, exec, s[10:11]
	s_and_b64 vcc, exec, s[4:5]
	s_cbranch_vccz .LBB6_46
.LBB6_43:
	v_mov_b32_dpp v10, v12 quad_perm:[1,0,3,2] row_mask:0xf bank_mask:0xf
	v_cmp_gt_f32_e32 vcc, v12, v10
	v_cndmask_b32_e32 v10, v10, v12, vcc
	s_nop 1
	v_mov_b32_dpp v11, v10 quad_perm:[2,3,0,1] row_mask:0xf bank_mask:0xf
	v_cmp_gt_f32_e32 vcc, v10, v11
	v_cndmask_b32_e32 v10, v11, v10, vcc
	s_nop 1
	v_mov_b32_dpp v11, v10 row_half_mirror row_mask:0xf bank_mask:0xf
	v_cmp_gt_f32_e32 vcc, v10, v11
	v_cndmask_b32_e32 v10, v11, v10, vcc
	s_nop 1
	v_mov_b32_dpp v11, v10 row_mirror row_mask:0xf bank_mask:0xf
	v_cmp_gt_f32_e32 vcc, v10, v11
	v_cndmask_b32_e32 v10, v11, v10, vcc
	s_nop 1
	v_mov_b32_dpp v11, v10 row_bcast:15 row_mask:0xf bank_mask:0xf
	v_cmp_gt_f32_e32 vcc, v10, v11
	v_cndmask_b32_e32 v10, v11, v10, vcc
	s_nop 1
	v_mov_b32_dpp v11, v10 row_bcast:31 row_mask:0xf bank_mask:0xf
	s_and_saveexec_b64 s[2:3], s[0:1]
	s_cbranch_execz .LBB6_45
; %bb.44:
	v_lshrrev_b32_e32 v12, 4, v0
	v_cmp_gt_f32_e32 vcc, v10, v11
	v_and_b32_e32 v12, 60, v12
	v_cndmask_b32_e32 v10, v11, v10, vcc
	ds_write_b32 v12, v10
.LBB6_45:
	s_or_b64 exec, exec, s[2:3]
	s_waitcnt lgkmcnt(0)
	s_barrier
	ds_read_b32 v10, v14
	v_cmp_eq_u32_e64 s[2:3], 0, v0
	s_waitcnt lgkmcnt(0)
	v_mov_b32_dpp v11, v10 quad_perm:[1,0,3,2] row_mask:0xf bank_mask:0xf
	v_cmp_gt_f32_e32 vcc, v10, v11
	v_cndmask_b32_e32 v10, v11, v10, vcc
	v_mul_f32_e32 v13, 0x3b124925, v10
	v_pk_mov_b32 v[10:11], s[6:7], s[6:7] op_sel:[0,1]
.LBB6_46:
	s_and_saveexec_b64 s[0:1], s[2:3]
	s_cbranch_execz .LBB6_48
; %bb.47:
	v_lshlrev_b64 v[10:11], 2, v[10:11]
	v_mov_b32_e32 v0, s21
	v_add_co_u32_e32 v10, vcc, s20, v10
	v_addc_co_u32_e32 v11, vcc, v0, v11, vcc
	global_store_dword v[10:11], v13, off
.LBB6_48:
	s_or_b64 exec, exec, s[0:1]
	s_add_i32 s0, s9, 3
	;;#ASMSTART
	v_rcp_f32 v10, v13
	;;#ASMEND
	v_mov_b32_e32 v11, v10
	;;#ASMSTART
	v_pk_mul_f32 v[8:9], v[8:9], v[10:11]
	;;#ASMEND
	s_ashr_i32 s1, s0, 31
	v_mov_b32_e32 v0, 0xc3e00000
	v_mov_b32_e32 v12, 0x43e00000
	;;#ASMSTART
	v_med3_f32 v8, v8, v0, v12
v_med3_f32 v9, v9, v0, v12
v_cvt_pk_fp8_f32 v13, v8, v9
	;;#ASMEND
	;;#ASMSTART
	v_pk_mul_f32 v[6:7], v[6:7], v[10:11]
	;;#ASMEND
	s_lshr_b32 s1, s1, 30
	;;#ASMSTART
	v_med3_f32 v6, v6, v0, v12
v_med3_f32 v7, v7, v0, v12
v_cvt_pk_fp8_f32 v8, v6, v7
	;;#ASMEND
	s_mov_b32 s5, 0x5040100
	s_add_i32 s0, s0, s1
	v_perm_b32 v7, v8, v13, s5
	s_movk_i32 s5, 0xff
	s_and_b32 s2, s0, -4
	s_ashr_i32 s0, s13, 31
	v_and_b32_e32 v6, 0xffffff00, v8
	v_and_b32_sdwa v8, v7, s5 dst_sel:DWORD dst_unused:UNUSED_PAD src0_sel:WORD_1 src1_sel:DWORD
	s_mul_hi_u32 s1, s13, s6
	s_mul_i32 s0, s0, s6
	s_mov_b32 s4, 0xffff
	v_or_b32_sdwa v6, v8, v6 dst_sel:WORD_1 dst_unused:UNUSED_PAD src0_sel:DWORD src1_sel:DWORD
	;;#ASMSTART
	v_pk_mul_f32 v[4:5], v[4:5], v[10:11]
	;;#ASMEND
	s_add_i32 s1, s1, s0
	s_mul_i32 s0, s13, s6
	v_and_or_b32 v6, v7, s4, v6
	;;#ASMSTART
	v_med3_f32 v4, v4, v0, v12
v_med3_f32 v5, v5, v0, v12
v_cvt_pk_fp8_f32 v7, v4, v5
	;;#ASMEND
	;;#ASMSTART
	v_pk_mul_f32 v[2:3], v[2:3], v[10:11]
	;;#ASMEND
	s_add_u32 s0, s16, s0
	;;#ASMSTART
	v_med3_f32 v2, v2, v0, v12
v_med3_f32 v3, v3, v0, v12
v_cvt_pk_fp8_f32 v0, v2, v3
	;;#ASMEND
	s_addc_u32 s1, s17, s1
	v_lshlrev_b32_e32 v0, 16, v0
	s_and_b32 s1, s1, 0xffff
	s_mov_b32 s3, 0x20000
	v_and_or_b32 v7, v7, s4, v0
	buffer_store_dwordx2 v[6:7], v1, s[0:3], 0 offen
	;;#ASMSTART
	s_nop 0
	;;#ASMEND
.LBB6_49:
	s_endpgm
.LBB6_50:
                                        ; implicit-def: $vgpr10_vgpr11
	s_branch .LBB6_37
	.section	.rodata,"a",@progbits
	.p2align	6, 0x0
	.amdhsa_kernel _ZN5aiter24add_rmsnorm_quant_kernelItDB8_Li128ELi8ELb1ELb1ELb1ELi1EEEvPT0_PT_PfS5_S5_S5_diiiiiiib
		.amdhsa_group_segment_fixed_size 16
		.amdhsa_private_segment_fixed_size 0
		.amdhsa_kernarg_size 88
		.amdhsa_user_sgpr_count 6
		.amdhsa_user_sgpr_private_segment_buffer 1
		.amdhsa_user_sgpr_dispatch_ptr 0
		.amdhsa_user_sgpr_queue_ptr 0
		.amdhsa_user_sgpr_kernarg_segment_ptr 1
		.amdhsa_user_sgpr_dispatch_id 0
		.amdhsa_user_sgpr_flat_scratch_init 0
		.amdhsa_user_sgpr_kernarg_preload_length 0
		.amdhsa_user_sgpr_kernarg_preload_offset 0
		.amdhsa_user_sgpr_private_segment_size 0
		.amdhsa_uses_dynamic_stack 0
		.amdhsa_system_sgpr_private_segment_wavefront_offset 0
		.amdhsa_system_sgpr_workgroup_id_x 1
		.amdhsa_system_sgpr_workgroup_id_y 0
		.amdhsa_system_sgpr_workgroup_id_z 0
		.amdhsa_system_sgpr_workgroup_info 0
		.amdhsa_system_vgpr_workitem_id 0
		.amdhsa_next_free_vgpr 27
		.amdhsa_next_free_sgpr 40
		.amdhsa_accum_offset 28
		.amdhsa_reserve_vcc 1
		.amdhsa_reserve_flat_scratch 0
		.amdhsa_float_round_mode_32 0
		.amdhsa_float_round_mode_16_64 0
		.amdhsa_float_denorm_mode_32 3
		.amdhsa_float_denorm_mode_16_64 3
		.amdhsa_dx10_clamp 1
		.amdhsa_ieee_mode 1
		.amdhsa_fp16_overflow 0
		.amdhsa_tg_split 0
		.amdhsa_exception_fp_ieee_invalid_op 0
		.amdhsa_exception_fp_denorm_src 0
		.amdhsa_exception_fp_ieee_div_zero 0
		.amdhsa_exception_fp_ieee_overflow 0
		.amdhsa_exception_fp_ieee_underflow 0
		.amdhsa_exception_fp_ieee_inexact 0
		.amdhsa_exception_int_div_zero 0
	.end_amdhsa_kernel
	.section	.text._ZN5aiter24add_rmsnorm_quant_kernelItDB8_Li128ELi8ELb1ELb1ELb1ELi1EEEvPT0_PT_PfS5_S5_S5_diiiiiiib,"axG",@progbits,_ZN5aiter24add_rmsnorm_quant_kernelItDB8_Li128ELi8ELb1ELb1ELb1ELi1EEEvPT0_PT_PfS5_S5_S5_diiiiiiib,comdat
.Lfunc_end6:
	.size	_ZN5aiter24add_rmsnorm_quant_kernelItDB8_Li128ELi8ELb1ELb1ELb1ELi1EEEvPT0_PT_PfS5_S5_S5_diiiiiiib, .Lfunc_end6-_ZN5aiter24add_rmsnorm_quant_kernelItDB8_Li128ELi8ELb1ELb1ELb1ELi1EEEvPT0_PT_PfS5_S5_S5_diiiiiiib
                                        ; -- End function
	.section	.AMDGPU.csdata,"",@progbits
; Kernel info:
; codeLenInByte = 3368
; NumSgprs: 44
; NumVgprs: 27
; NumAgprs: 0
; TotalNumVgprs: 27
; ScratchSize: 0
; MemoryBound: 0
; FloatMode: 240
; IeeeMode: 1
; LDSByteSize: 16 bytes/workgroup (compile time only)
; SGPRBlocks: 5
; VGPRBlocks: 3
; NumSGPRsForWavesPerEU: 44
; NumVGPRsForWavesPerEU: 27
; AccumOffset: 28
; Occupancy: 8
; WaveLimiterHint : 0
; COMPUTE_PGM_RSRC2:SCRATCH_EN: 0
; COMPUTE_PGM_RSRC2:USER_SGPR: 6
; COMPUTE_PGM_RSRC2:TRAP_HANDLER: 0
; COMPUTE_PGM_RSRC2:TGID_X_EN: 1
; COMPUTE_PGM_RSRC2:TGID_Y_EN: 0
; COMPUTE_PGM_RSRC2:TGID_Z_EN: 0
; COMPUTE_PGM_RSRC2:TIDIG_COMP_CNT: 0
; COMPUTE_PGM_RSRC3_GFX90A:ACCUM_OFFSET: 6
; COMPUTE_PGM_RSRC3_GFX90A:TG_SPLIT: 0
	.section	.text._ZN5aiter24add_rmsnorm_quant_kernelIDF16_DB8_Li128ELi8ELb1ELb1ELb0ELi1EEEvPT0_PT_PfS5_S5_S5_diiiiiiib,"axG",@progbits,_ZN5aiter24add_rmsnorm_quant_kernelIDF16_DB8_Li128ELi8ELb1ELb1ELb0ELi1EEEvPT0_PT_PfS5_S5_S5_diiiiiiib,comdat
	.protected	_ZN5aiter24add_rmsnorm_quant_kernelIDF16_DB8_Li128ELi8ELb1ELb1ELb0ELi1EEEvPT0_PT_PfS5_S5_S5_diiiiiiib ; -- Begin function _ZN5aiter24add_rmsnorm_quant_kernelIDF16_DB8_Li128ELi8ELb1ELb1ELb0ELi1EEEvPT0_PT_PfS5_S5_S5_diiiiiiib
	.globl	_ZN5aiter24add_rmsnorm_quant_kernelIDF16_DB8_Li128ELi8ELb1ELb1ELb0ELi1EEEvPT0_PT_PfS5_S5_S5_diiiiiiib
	.p2align	8
	.type	_ZN5aiter24add_rmsnorm_quant_kernelIDF16_DB8_Li128ELi8ELb1ELb1ELb0ELi1EEEvPT0_PT_PfS5_S5_S5_diiiiiiib,@function
_ZN5aiter24add_rmsnorm_quant_kernelIDF16_DB8_Li128ELi8ELb1ELb1ELb0ELi1EEEvPT0_PT_PfS5_S5_S5_diiiiiiib: ; @_ZN5aiter24add_rmsnorm_quant_kernelIDF16_DB8_Li128ELi8ELb1ELb1ELb0ELi1EEEvPT0_PT_PfS5_S5_S5_diiiiiiib
; %bb.0:
	s_load_dwordx8 s[8:15], s[4:5], 0x38
	s_mov_b32 s7, 0
	s_waitcnt lgkmcnt(0)
	s_ashr_i32 s0, s8, 31
	v_mov_b32_e32 v2, s8
	v_mov_b32_e32 v3, s0
	v_cmp_ge_i64_e32 vcc, s[6:7], v[2:3]
	s_cbranch_vccnz .LBB7_49
; %bb.1:
	s_load_dwordx8 s[16:23], s[4:5], 0x0
	s_load_dwordx8 s[24:31], s[4:5], 0x20
	s_ashr_i32 s0, s10, 31
	s_mul_hi_u32 s1, s10, s6
	s_mul_i32 s0, s0, s6
	s_add_i32 s1, s1, s0
	s_mul_i32 s0, s10, s6
	s_lshl_b64 s[0:1], s[0:1], 1
	s_waitcnt lgkmcnt(0)
	s_add_u32 s0, s22, s0
	s_addc_u32 s1, s23, s1
	s_add_i32 s2, s9, 1
	s_lshr_b32 s3, s2, 31
	s_add_i32 s2, s2, s3
	s_lshl_b32 s2, s2, 1
	s_and_b32 s2, s2, -4
	s_and_b32 s1, s1, 0xffff
	s_mov_b32 s3, 0x20000
	v_lshlrev_b32_e32 v1, 4, v0
	buffer_load_dwordx4 v[6:9], v1, s[0:3], 0 offen glc slc
	s_ashr_i32 s0, s11, 31
	s_mul_hi_u32 s1, s11, s6
	s_mul_i32 s0, s0, s6
	s_add_i32 s1, s1, s0
	s_mul_i32 s0, s11, s6
	s_and_b32 s37, s27, 0xffff
	s_lshl_b64 s[0:1], s[0:1], 1
	s_add_u32 s0, s24, s0
	s_addc_u32 s1, s25, s1
	s_and_b32 s1, s1, 0xffff
	buffer_load_dwordx4 v[10:13], v1, s[0:3], 0 offen glc slc
	s_mov_b32 s39, s3
	s_mov_b32 s36, s26
	;; [unrolled: 1-line block ×3, first 2 shown]
	buffer_load_dwordx4 v[2:5], v1, s[36:39], 0 offen
	s_ashr_i32 s4, s12, 31
	s_mul_hi_u32 s1, s12, s6
	s_mul_i32 s4, s4, s6
	s_mul_i32 s0, s12, s6
	s_add_i32 s1, s1, s4
	s_lshl_b64 s[0:1], s[0:1], 1
	s_add_u32 s0, s18, s0
	s_addc_u32 s1, s19, s1
	s_and_b32 s1, s1, 0xffff
	v_and_b32_e32 v24, 63, v0
	s_waitcnt vmcnt(2)
	v_cvt_f32_f16_e32 v14, v6
	v_cvt_f32_f16_sdwa v15, v6 dst_sel:DWORD dst_unused:UNUSED_PAD src0_sel:WORD_1
	v_cvt_f32_f16_e32 v6, v7
	v_cvt_f32_f16_sdwa v7, v7 dst_sel:DWORD dst_unused:UNUSED_PAD src0_sel:WORD_1
	;; [unrolled: 2-line block ×4, first 2 shown]
	s_waitcnt vmcnt(1)
	v_cvt_f32_f16_e32 v8, v10
	v_cvt_f32_f16_sdwa v9, v10 dst_sel:DWORD dst_unused:UNUSED_PAD src0_sel:WORD_1
	v_cvt_f32_f16_e32 v10, v11
	v_cvt_f32_f16_sdwa v11, v11 dst_sel:DWORD dst_unused:UNUSED_PAD src0_sel:WORD_1
	;; [unrolled: 2-line block ×4, first 2 shown]
	v_pk_add_f32 v[12:13], v[14:15], v[8:9]
	v_pk_add_f32 v[10:11], v[6:7], v[10:11]
	;; [unrolled: 1-line block ×4, first 2 shown]
	v_cvt_f16_f32_e32 v22, v13
	v_cvt_f16_f32_e32 v23, v12
	;; [unrolled: 1-line block ×8, first 2 shown]
	v_pk_mul_f32 v[14:15], v[12:13], v[12:13]
	v_pk_mul_f32 v[16:17], v[10:11], v[10:11]
	v_add_f32_e32 v14, v14, v15
	v_add_f32_e32 v14, v16, v14
	v_pk_mul_f32 v[18:19], v[8:9], v[8:9]
	v_add_f32_e32 v31, v17, v14
	v_pack_b32_f16 v17, v30, v29
	v_pack_b32_f16 v16, v28, v27
	v_pack_b32_f16 v15, v26, v25
	v_pack_b32_f16 v14, v23, v22
	v_add_f32_e32 v18, v18, v31
	v_pk_mul_f32 v[20:21], v[6:7], v[6:7]
	buffer_store_dwordx4 v[14:17], v1, s[0:3], 0 offen glc slc
	v_add_f32_e32 v1, v19, v18
	v_add_f32_e32 v1, v20, v1
	;; [unrolled: 1-line block ×3, first 2 shown]
	v_cmp_eq_u32_e64 s[0:1], 63, v24
	;;#ASMSTART
	s_nop 0
	;;#ASMEND
	s_nop 0
	v_mov_b32_dpp v14, v1 quad_perm:[1,0,3,2] row_mask:0xf bank_mask:0xf
	v_add_f32_e32 v1, v1, v14
	s_nop 1
	v_mov_b32_dpp v14, v1 quad_perm:[2,3,0,1] row_mask:0xf bank_mask:0xf
	v_add_f32_e32 v1, v1, v14
	s_nop 1
	v_mov_b32_dpp v14, v1 row_half_mirror row_mask:0xf bank_mask:0xf
	v_add_f32_e32 v1, v1, v14
	s_nop 1
	v_mov_b32_dpp v14, v1 row_mirror row_mask:0xf bank_mask:0xf
	v_add_f32_e32 v1, v1, v14
	s_nop 1
	v_mov_b32_dpp v14, v1 row_bcast:15 row_mask:0xf bank_mask:0xf
	v_add_f32_e32 v1, v1, v14
	s_nop 1
	v_mov_b32_dpp v14, v1 row_bcast:31 row_mask:0xf bank_mask:0xf
	s_and_saveexec_b64 s[2:3], s[0:1]
	s_cbranch_execz .LBB7_3
; %bb.2:
	v_lshrrev_b32_e32 v15, 4, v0
	v_and_b32_e32 v15, 60, v15
	v_add_f32_e32 v1, v1, v14
	ds_write_b32 v15, v1 offset:8
.LBB7_3:
	s_or_b64 exec, exec, s[2:3]
	v_and_b32_e32 v1, 1, v0
	v_lshlrev_b32_e32 v14, 2, v1
	s_waitcnt lgkmcnt(0)
	s_barrier
	ds_read_b32 v1, v14 offset:8
	v_cvt_f32_i32_e32 v15, s9
	s_waitcnt vmcnt(1)
	v_cvt_f32_f16_sdwa v21, v3 dst_sel:DWORD dst_unused:UNUSED_PAD src0_sel:WORD_1
	v_cvt_f32_f16_sdwa v23, v5 dst_sel:DWORD dst_unused:UNUSED_PAD src0_sel:WORD_1
	v_cvt_f32_f16_e32 v22, v5
	s_waitcnt lgkmcnt(0)
	v_mov_b32_dpp v16, v1 quad_perm:[1,0,3,2] row_mask:0xf bank_mask:0xf
	v_add_f32_e32 v1, v1, v16
	v_div_scale_f32 v16, s[2:3], v15, v15, v1
	v_rcp_f32_e32 v17, v16
	v_div_scale_f32 v18, vcc, v1, v15, v1
	s_mov_b32 s2, 0x800000
	v_fma_f32 v19, -v16, v17, 1.0
	v_fmac_f32_e32 v17, v19, v17
	v_mul_f32_e32 v19, v18, v17
	v_fma_f32 v20, -v16, v19, v18
	v_fmac_f32_e32 v19, v20, v17
	v_fma_f32 v16, -v16, v19, v18
	v_div_fmas_f32 v16, v16, v17, v19
	v_div_fixup_f32 v1, v16, v15, v1
	v_cvt_f64_f32_e32 v[16:17], v1
	v_add_f64 v[16:17], v[16:17], s[28:29]
	v_cvt_f32_f64_e32 v1, v[16:17]
	v_mul_f32_e32 v15, 0x4b800000, v1
	v_cmp_gt_f32_e32 vcc, s2, v1
	v_cndmask_b32_e32 v1, v1, v15, vcc
	v_rsq_f32_e32 v15, v1
	v_cvt_f32_f16_e32 v20, v3
	v_cvt_f32_f16_sdwa v3, v4 dst_sel:DWORD dst_unused:UNUSED_PAD src0_sel:WORD_1
	v_lshlrev_b32_e32 v1, 3, v0
	v_mul_f32_e32 v16, 0x45800000, v15
	v_cndmask_b32_e32 v16, v15, v16, vcc
	v_mov_b32_e32 v17, v16
	;;#ASMSTART
	v_pk_mul_f32 v[12:13], v[12:13], v[16:17]
	;;#ASMEND
	;;#ASMSTART
	v_pk_mul_f32 v[10:11], v[10:11], v[16:17]
	;;#ASMEND
	;; [unrolled: 3-line block ×4, first 2 shown]
	v_cvt_f32_f16_sdwa v7, v2 dst_sel:DWORD dst_unused:UNUSED_PAD src0_sel:WORD_1
	v_cvt_f32_f16_e32 v6, v2
	v_cvt_f32_f16_e32 v2, v4
	;;#ASMSTART
	v_pk_mul_f32 v[8:9], v[12:13], v[6:7]
	;;#ASMEND
	;;#ASMSTART
	v_pk_mul_f32 v[6:7], v[10:11], v[20:21]
	;;#ASMEND
	v_and_b32_e32 v10, 0x7fffffff, v8
	v_mov_b32_e32 v12, 0x2edbe6ff
	;;#ASMSTART
	v_pk_mul_f32 v[4:5], v[18:19], v[2:3]
	;;#ASMEND
	;;#ASMSTART
	v_pk_mul_f32 v[2:3], v[16:17], v[22:23]
	;;#ASMEND
	v_and_b32_e32 v11, 0x7fffffff, v9
	;;#ASMSTART
	v_max3_f32 v10, v12, v10, v11

	;;#ASMEND
	v_and_b32_e32 v12, 0x7fffffff, v7
	v_and_b32_e32 v11, 0x7fffffff, v6
	;;#ASMSTART
	v_max3_f32 v10, v10, v11, v12

	;;#ASMEND
	v_and_b32_e32 v12, 0x7fffffff, v5
	;; [unrolled: 6-line block ×3, first 2 shown]
	s_cmp_lg_u32 s14, 0
	v_and_b32_e32 v11, 0x7fffffff, v2
	;;#ASMSTART
	v_max3_f32 v12, v10, v11, v12

	;;#ASMEND
	s_cbranch_scc0 .LBB7_10
; %bb.4:
	s_ashr_i32 s12, s14, 31
	s_lshr_b32 s2, s12, 29
	s_add_i32 s2, s14, s2
	s_ashr_i32 s10, s2, 3
	s_cmp_lt_i32 s10, 16
	s_cbranch_scc1 .LBB7_11
; %bb.5:
	s_cmp_lt_i32 s10, 32
	s_cbranch_scc1 .LBB7_12
; %bb.6:
	s_cmp_lt_i32 s10, 64
	s_cbranch_scc1 .LBB7_13
; %bb.7:
	s_cmp_eq_u32 s10, 64
	v_mov_b32_e32 v10, v12
	s_cbranch_scc0 .LBB7_9
; %bb.8:
	s_nop 0
	v_mov_b32_dpp v10, v12 quad_perm:[1,0,3,2] row_mask:0xf bank_mask:0xf
	v_cmp_gt_f32_e32 vcc, v12, v10
	v_cndmask_b32_e32 v10, v10, v12, vcc
	v_bfrev_b32_e32 v13, 0.5
	s_nop 0
	v_mov_b32_dpp v11, v10 quad_perm:[2,3,0,1] row_mask:0xf bank_mask:0xf
	v_cmp_gt_f32_e32 vcc, v10, v11
	v_cndmask_b32_e32 v10, v11, v10, vcc
	s_nop 1
	v_mov_b32_dpp v11, v10 row_ror:4 row_mask:0xf bank_mask:0xf
	v_cmp_gt_f32_e32 vcc, v10, v11
	v_cndmask_b32_e32 v10, v11, v10, vcc
	s_nop 1
	v_mov_b32_dpp v11, v10 row_ror:8 row_mask:0xf bank_mask:0xf
	v_cmp_gt_f32_e32 vcc, v10, v11
	v_cndmask_b32_e32 v10, v11, v10, vcc
	s_nop 1
	v_mov_b32_dpp v11, v10 row_bcast:15 row_mask:0xf bank_mask:0xf
	v_cmp_gt_f32_e32 vcc, v10, v11
	v_cndmask_b32_e32 v10, v11, v10, vcc
	s_nop 1
	v_mov_b32_dpp v11, v10 row_bcast:31 row_mask:0xf bank_mask:0xf
	v_cmp_gt_f32_e32 vcc, v10, v11
	v_cndmask_b32_e32 v10, v11, v10, vcc
	v_mbcnt_lo_u32_b32 v11, -1, 0
	v_mbcnt_hi_u32_b32 v11, -1, v11
	v_lshl_or_b32 v11, v11, 2, v13
	ds_bpermute_b32 v10, v11, v10
.LBB7_9:
	s_mov_b64 s[2:3], 0
	s_branch .LBB7_14
.LBB7_10:
	s_mov_b64 s[2:3], 0
                                        ; implicit-def: $vgpr13
                                        ; implicit-def: $vgpr10_vgpr11
	s_cbranch_execnz .LBB7_43
	s_branch .LBB7_46
.LBB7_11:
                                        ; implicit-def: $vgpr10
	s_branch .LBB7_21
.LBB7_12:
                                        ; implicit-def: $vgpr10
	s_branch .LBB7_18
.LBB7_13:
	s_mov_b64 s[2:3], -1
                                        ; implicit-def: $vgpr10
.LBB7_14:
	s_andn2_b64 vcc, exec, s[2:3]
	s_cbranch_vccnz .LBB7_17
; %bb.15:
	s_cmp_eq_u32 s10, 32
	s_waitcnt lgkmcnt(0)
	v_mov_b32_e32 v10, v12
	s_cbranch_scc0 .LBB7_17
; %bb.16:
	s_nop 0
	v_mov_b32_dpp v10, v12 quad_perm:[1,0,3,2] row_mask:0xf bank_mask:0xf
	v_cmp_gt_f32_e32 vcc, v12, v10
	v_cndmask_b32_e32 v10, v10, v12, vcc
	v_mov_b32_e32 v13, 0x7c
	s_nop 0
	v_mov_b32_dpp v11, v10 quad_perm:[2,3,0,1] row_mask:0xf bank_mask:0xf
	v_cmp_gt_f32_e32 vcc, v10, v11
	v_cndmask_b32_e32 v10, v11, v10, vcc
	s_nop 1
	v_mov_b32_dpp v11, v10 row_half_mirror row_mask:0xf bank_mask:0xf
	v_cmp_gt_f32_e32 vcc, v10, v11
	v_cndmask_b32_e32 v10, v11, v10, vcc
	s_nop 1
	v_mov_b32_dpp v11, v10 row_mirror row_mask:0xf bank_mask:0xf
	v_cmp_gt_f32_e32 vcc, v10, v11
	v_cndmask_b32_e32 v10, v11, v10, vcc
	s_nop 1
	v_mov_b32_dpp v11, v10 row_bcast:15 row_mask:0xa bank_mask:0xf
	v_cmp_gt_f32_e32 vcc, v10, v11
	v_cndmask_b32_e32 v10, v11, v10, vcc
	v_mbcnt_lo_u32_b32 v11, -1, 0
	v_mbcnt_hi_u32_b32 v11, -1, v11
	v_lshl_or_b32 v11, v11, 2, v13
	ds_bpermute_b32 v10, v11, v10
.LBB7_17:
	s_cbranch_execnz .LBB7_20
.LBB7_18:
	s_cmp_eq_u32 s10, 16
	s_waitcnt lgkmcnt(0)
	v_mov_b32_e32 v10, v12
	s_cbranch_scc0 .LBB7_20
; %bb.19:
	s_nop 0
	v_mov_b32_dpp v10, v12 quad_perm:[1,0,3,2] row_mask:0xf bank_mask:0xf
	v_cmp_gt_f32_e32 vcc, v12, v10
	v_cndmask_b32_e32 v10, v10, v12, vcc
	s_nop 1
	v_mov_b32_dpp v11, v10 quad_perm:[2,3,0,1] row_mask:0xf bank_mask:0xf
	v_cmp_gt_f32_e32 vcc, v10, v11
	v_cndmask_b32_e32 v10, v11, v10, vcc
	s_nop 1
	v_mov_b32_dpp v11, v10 row_half_mirror row_mask:0xf bank_mask:0xf
	v_cmp_gt_f32_e32 vcc, v10, v11
	v_cndmask_b32_e32 v10, v11, v10, vcc
	s_nop 1
	v_mov_b32_dpp v11, v10 row_mirror row_mask:0xf bank_mask:0xf
	v_cmp_gt_f32_e32 vcc, v10, v11
	v_cndmask_b32_e32 v10, v11, v10, vcc
.LBB7_20:
	s_cbranch_execnz .LBB7_33
.LBB7_21:
	s_cmp_lt_i32 s10, 4
	s_cbranch_scc1 .LBB7_25
; %bb.22:
	s_cmp_lt_i32 s10, 8
	s_cbranch_scc1 .LBB7_26
; %bb.23:
	s_cmp_eq_u32 s10, 8
	s_waitcnt lgkmcnt(0)
	v_mov_b32_e32 v10, v12
	s_cbranch_scc0 .LBB7_27
; %bb.24:
	s_nop 0
	v_mov_b32_dpp v10, v12 quad_perm:[1,0,3,2] row_mask:0xf bank_mask:0xf
	v_cmp_gt_f32_e32 vcc, v12, v10
	v_cndmask_b32_e32 v10, v10, v12, vcc
	s_nop 1
	v_mov_b32_dpp v11, v10 quad_perm:[2,3,0,1] row_mask:0xf bank_mask:0xf
	v_cmp_gt_f32_e32 vcc, v10, v11
	v_cndmask_b32_e32 v10, v11, v10, vcc
	s_nop 1
	v_mov_b32_dpp v11, v10 row_half_mirror row_mask:0xf bank_mask:0xf
	v_cmp_gt_f32_e32 vcc, v10, v11
	v_cndmask_b32_e32 v10, v11, v10, vcc
	s_cbranch_execz .LBB7_28
	s_branch .LBB7_30
.LBB7_25:
                                        ; implicit-def: $vgpr10
	s_branch .LBB7_31
.LBB7_26:
                                        ; implicit-def: $vgpr10
	s_branch .LBB7_28
.LBB7_27:
	s_cbranch_execnz .LBB7_30
.LBB7_28:
	s_cmp_eq_u32 s10, 4
	s_waitcnt lgkmcnt(0)
	v_mov_b32_e32 v10, v12
	s_cbranch_scc0 .LBB7_30
; %bb.29:
	s_nop 0
	v_mov_b32_dpp v10, v12 quad_perm:[1,0,3,2] row_mask:0xf bank_mask:0xf
	v_cmp_gt_f32_e32 vcc, v12, v10
	v_cndmask_b32_e32 v10, v10, v12, vcc
	s_nop 1
	v_mov_b32_dpp v11, v10 quad_perm:[2,3,0,1] row_mask:0xf bank_mask:0xf
	v_cmp_gt_f32_e32 vcc, v10, v11
	v_cndmask_b32_e32 v10, v11, v10, vcc
.LBB7_30:
	s_cbranch_execnz .LBB7_33
.LBB7_31:
	s_cmp_lg_u32 s10, 2
	s_waitcnt lgkmcnt(0)
	v_mov_b32_e32 v10, v12
	s_cbranch_scc1 .LBB7_33
; %bb.32:
	s_nop 0
	v_mov_b32_dpp v10, v12 quad_perm:[1,0,3,2] row_mask:0xf bank_mask:0xf
	v_cmp_gt_f32_e32 vcc, v12, v10
	v_cndmask_b32_e32 v10, v10, v12, vcc
.LBB7_33:
	v_cvt_f32_u32_e32 v11, s10
	s_waitcnt lgkmcnt(0)
	v_mul_f32_e32 v13, 0x3b124925, v10
	s_sub_i32 s2, 0, s10
	v_cmp_gt_u32_e32 vcc, s9, v1
	v_rcp_iflag_f32_e32 v11, v11
	s_mov_b64 s[4:5], 0
	v_mul_f32_e32 v10, 0x4f7ffffe, v11
	v_cvt_u32_f32_e32 v10, v10
	v_mul_lo_u32 v11, s2, v10
	v_mul_hi_u32 v11, v10, v11
	v_add_u32_e32 v10, v10, v11
	v_mul_hi_u32 v10, v0, v10
	v_mul_lo_u32 v11, v10, s10
	v_sub_u32_e32 v11, v0, v11
	v_add_u32_e32 v15, 1, v10
	v_cmp_le_u32_e64 s[2:3], s10, v11
	v_cndmask_b32_e64 v10, v10, v15, s[2:3]
	v_subrev_u32_e32 v15, s10, v11
	v_cndmask_b32_e64 v11, v11, v15, s[2:3]
	v_add_u32_e32 v15, 1, v10
	v_cmp_le_u32_e64 s[2:3], s10, v11
	v_cndmask_b32_e64 v15, v10, v15, s[2:3]
	v_mul_lo_u32 v10, v15, s10
	v_sub_u32_e32 v10, v0, v10
	v_cmp_eq_u32_e64 s[2:3], 0, v10
	s_and_b64 s[10:11], s[2:3], vcc
	s_mov_b64 s[2:3], 0
                                        ; implicit-def: $vgpr10_vgpr11
	s_and_saveexec_b64 s[18:19], s[10:11]
	s_xor_b64 s[10:11], exec, s[18:19]
	s_cbranch_execz .LBB7_42
; %bb.34:
	s_bitcmp0_b32 s15, 0
	s_cbranch_scc0 .LBB7_39
; %bb.35:
	s_ashr_i32 s2, s9, 31
	s_mul_hi_u32 s3, s9, s6
	s_mul_i32 s2, s2, s6
	s_add_i32 s19, s3, s2
	s_mul_i32 s18, s9, s6
	s_mov_b32 s15, s12
	s_or_b64 s[2:3], s[18:19], s[14:15]
	s_mov_b32 s2, 0
	s_cmp_lg_u64 s[2:3], 0
	s_cbranch_scc0 .LBB7_50
; %bb.36:
	s_add_u32 s2, s14, s15
	s_mov_b32 s24, s15
	s_mov_b32 s25, s15
	s_addc_u32 s3, s15, s15
	s_xor_b64 s[26:27], s[2:3], s[24:25]
	v_cvt_f32_u32_e32 v10, s26
	v_cvt_f32_u32_e32 v11, s27
	s_sub_u32 s2, 0, s26
	s_subb_u32 s3, 0, s27
	v_madmk_f32 v10, v11, 0x4f800000, v10
	v_rcp_f32_e32 v10, v10
	v_mul_f32_e32 v10, 0x5f7ffffc, v10
	v_mul_f32_e32 v11, 0x2f800000, v10
	v_trunc_f32_e32 v11, v11
	v_madmk_f32 v10, v11, 0xcf800000, v10
	v_cvt_u32_f32_e32 v11, v11
	v_cvt_u32_f32_e32 v10, v10
	v_readfirstlane_b32 s12, v11
	v_readfirstlane_b32 s15, v10
	s_mul_i32 s28, s2, s12
	s_mul_hi_u32 s30, s2, s15
	s_mul_i32 s29, s3, s15
	s_add_i32 s28, s30, s28
	s_add_i32 s28, s28, s29
	s_mul_i32 s31, s2, s15
	s_mul_hi_u32 s29, s15, s28
	s_mul_i32 s30, s15, s28
	s_mul_hi_u32 s15, s15, s31
	s_add_u32 s15, s15, s30
	s_addc_u32 s29, 0, s29
	s_mul_hi_u32 s33, s12, s31
	s_mul_i32 s31, s12, s31
	s_add_u32 s15, s15, s31
	s_mul_hi_u32 s30, s12, s28
	s_addc_u32 s15, s29, s33
	s_addc_u32 s29, s30, 0
	s_mul_i32 s28, s12, s28
	s_add_u32 s15, s15, s28
	s_addc_u32 s28, 0, s29
	v_add_co_u32_e32 v10, vcc, s15, v10
	s_cmp_lg_u64 vcc, 0
	s_addc_u32 s12, s12, s28
	v_readfirstlane_b32 s28, v10
	s_mul_i32 s15, s2, s12
	s_mul_hi_u32 s29, s2, s28
	s_add_i32 s15, s29, s15
	s_mul_i32 s3, s3, s28
	s_add_i32 s15, s15, s3
	s_mul_i32 s2, s2, s28
	s_mul_hi_u32 s29, s12, s2
	s_mul_i32 s30, s12, s2
	s_mul_i32 s33, s28, s15
	s_mul_hi_u32 s2, s28, s2
	s_mul_hi_u32 s31, s28, s15
	s_add_u32 s2, s2, s33
	s_addc_u32 s28, 0, s31
	s_add_u32 s2, s2, s30
	s_mul_hi_u32 s3, s12, s15
	s_addc_u32 s2, s28, s29
	s_addc_u32 s3, s3, 0
	s_mul_i32 s15, s12, s15
	s_add_u32 s2, s2, s15
	s_addc_u32 s3, 0, s3
	v_add_co_u32_e32 v10, vcc, s2, v10
	s_cmp_lg_u64 vcc, 0
	s_addc_u32 s12, s12, s3
	s_ashr_i32 s28, s19, 31
	s_add_u32 s2, s18, s28
	s_mov_b32 s29, s28
	s_addc_u32 s3, s19, s28
	s_xor_b64 s[30:31], s[2:3], s[28:29]
	v_readfirstlane_b32 s15, v10
	s_mul_i32 s3, s30, s12
	s_mul_hi_u32 s19, s30, s15
	s_mul_hi_u32 s2, s30, s12
	s_add_u32 s3, s19, s3
	s_addc_u32 s2, 0, s2
	s_mul_hi_u32 s33, s31, s15
	s_mul_i32 s15, s31, s15
	s_add_u32 s3, s3, s15
	s_mul_hi_u32 s19, s31, s12
	s_addc_u32 s2, s2, s33
	s_addc_u32 s3, s19, 0
	s_mul_i32 s12, s31, s12
	s_add_u32 s12, s2, s12
	s_addc_u32 s15, 0, s3
	s_mul_i32 s2, s26, s15
	s_mul_hi_u32 s3, s26, s12
	s_add_i32 s2, s3, s2
	s_mul_i32 s3, s27, s12
	s_add_i32 s19, s2, s3
	s_mul_i32 s3, s26, s12
	v_mov_b32_e32 v10, s3
	s_sub_i32 s2, s31, s19
	v_sub_co_u32_e32 v10, vcc, s30, v10
	s_cmp_lg_u64 vcc, 0
	s_subb_u32 s30, s2, s27
	v_subrev_co_u32_e64 v11, s[2:3], s26, v10
	s_cmp_lg_u64 s[2:3], 0
	s_subb_u32 s30, s30, 0
	s_cmp_ge_u32 s30, s27
	s_cselect_b32 s33, -1, 0
	v_cmp_le_u32_e64 s[2:3], s26, v11
	s_cmp_eq_u32 s30, s27
	v_cndmask_b32_e64 v11, 0, -1, s[2:3]
	v_mov_b32_e32 v16, s33
	s_cselect_b64 s[2:3], -1, 0
	v_cndmask_b32_e64 v11, v16, v11, s[2:3]
	s_add_u32 s2, s12, 1
	s_addc_u32 s30, s15, 0
	s_add_u32 s3, s12, 2
	s_addc_u32 s33, s15, 0
	v_mov_b32_e32 v16, s2
	v_mov_b32_e32 v17, s3
	v_cmp_ne_u32_e64 s[2:3], 0, v11
	v_cndmask_b32_e64 v11, v16, v17, s[2:3]
	v_mov_b32_e32 v16, s30
	v_mov_b32_e32 v17, s33
	s_cmp_lg_u64 vcc, 0
	v_cndmask_b32_e64 v16, v16, v17, s[2:3]
	s_subb_u32 s2, s31, s19
	s_cmp_ge_u32 s2, s27
	s_cselect_b32 s3, -1, 0
	v_cmp_le_u32_e32 vcc, s26, v10
	s_cmp_eq_u32 s2, s27
	v_cndmask_b32_e64 v10, 0, -1, vcc
	v_mov_b32_e32 v17, s3
	s_cselect_b64 vcc, -1, 0
	v_cndmask_b32_e32 v10, v17, v10, vcc
	v_mov_b32_e32 v17, s15
	v_cmp_ne_u32_e32 vcc, 0, v10
	v_cndmask_b32_e32 v10, v17, v16, vcc
	v_mov_b32_e32 v16, s12
	v_cndmask_b32_e32 v11, v16, v11, vcc
	s_xor_b64 s[2:3], s[28:29], s[24:25]
	v_xor_b32_e32 v11, s2, v11
	v_xor_b32_e32 v16, s3, v10
	v_mov_b32_e32 v17, s3
	v_subrev_co_u32_e32 v10, vcc, s2, v11
	v_subb_co_u32_e32 v11, vcc, v16, v17, vcc
	s_cbranch_execnz .LBB7_38
.LBB7_37:
	v_cvt_f32_u32_e32 v10, s14
	s_sub_i32 s2, 0, s14
	s_mov_b32 s3, 0
	v_rcp_iflag_f32_e32 v10, v10
	v_mul_f32_e32 v10, 0x4f7ffffe, v10
	v_cvt_u32_f32_e32 v10, v10
	v_readfirstlane_b32 s12, v10
	s_mul_i32 s2, s2, s12
	s_mul_hi_u32 s2, s12, s2
	s_add_i32 s12, s12, s2
	s_mul_hi_u32 s2, s18, s12
	s_mul_i32 s15, s2, s14
	s_sub_i32 s15, s18, s15
	s_add_i32 s12, s2, 1
	s_sub_i32 s18, s15, s14
	s_cmp_ge_u32 s15, s14
	s_cselect_b32 s2, s12, s2
	s_cselect_b32 s15, s18, s15
	s_add_i32 s12, s2, 1
	s_cmp_ge_u32 s15, s14
	s_cselect_b32 s2, s12, s2
	v_pk_mov_b32 v[10:11], s[2:3], s[2:3] op_sel:[0,1]
.LBB7_38:
	v_add_co_u32_e32 v10, vcc, v10, v15
	v_addc_co_u32_e32 v11, vcc, 0, v11, vcc
	s_branch .LBB7_41
.LBB7_39:
                                        ; implicit-def: $vgpr10_vgpr11
	s_cbranch_execz .LBB7_41
; %bb.40:
	v_mul_lo_u32 v10, v15, s8
	v_ashrrev_i32_e32 v11, 31, v10
	v_mov_b32_e32 v15, s7
	v_add_co_u32_e32 v10, vcc, s6, v10
	v_addc_co_u32_e32 v11, vcc, v11, v15, vcc
.LBB7_41:
	s_mov_b64 s[2:3], exec
.LBB7_42:
	s_or_b64 exec, exec, s[10:11]
	s_and_b64 vcc, exec, s[4:5]
	s_cbranch_vccz .LBB7_46
.LBB7_43:
	v_mov_b32_dpp v10, v12 quad_perm:[1,0,3,2] row_mask:0xf bank_mask:0xf
	v_cmp_gt_f32_e32 vcc, v12, v10
	v_cndmask_b32_e32 v10, v10, v12, vcc
	s_nop 1
	v_mov_b32_dpp v11, v10 quad_perm:[2,3,0,1] row_mask:0xf bank_mask:0xf
	v_cmp_gt_f32_e32 vcc, v10, v11
	v_cndmask_b32_e32 v10, v11, v10, vcc
	s_nop 1
	v_mov_b32_dpp v11, v10 row_half_mirror row_mask:0xf bank_mask:0xf
	v_cmp_gt_f32_e32 vcc, v10, v11
	v_cndmask_b32_e32 v10, v11, v10, vcc
	s_nop 1
	v_mov_b32_dpp v11, v10 row_mirror row_mask:0xf bank_mask:0xf
	v_cmp_gt_f32_e32 vcc, v10, v11
	v_cndmask_b32_e32 v10, v11, v10, vcc
	s_nop 1
	v_mov_b32_dpp v11, v10 row_bcast:15 row_mask:0xf bank_mask:0xf
	v_cmp_gt_f32_e32 vcc, v10, v11
	v_cndmask_b32_e32 v10, v11, v10, vcc
	s_nop 1
	v_mov_b32_dpp v11, v10 row_bcast:31 row_mask:0xf bank_mask:0xf
	s_and_saveexec_b64 s[2:3], s[0:1]
	s_cbranch_execz .LBB7_45
; %bb.44:
	v_lshrrev_b32_e32 v12, 4, v0
	v_cmp_gt_f32_e32 vcc, v10, v11
	v_and_b32_e32 v12, 60, v12
	v_cndmask_b32_e32 v10, v11, v10, vcc
	ds_write_b32 v12, v10
.LBB7_45:
	s_or_b64 exec, exec, s[2:3]
	s_waitcnt lgkmcnt(0)
	s_barrier
	ds_read_b32 v10, v14
	v_cmp_eq_u32_e64 s[2:3], 0, v0
	s_waitcnt lgkmcnt(0)
	v_mov_b32_dpp v11, v10 quad_perm:[1,0,3,2] row_mask:0xf bank_mask:0xf
	v_cmp_gt_f32_e32 vcc, v10, v11
	v_cndmask_b32_e32 v10, v11, v10, vcc
	v_mul_f32_e32 v13, 0x3b124925, v10
	v_pk_mov_b32 v[10:11], s[6:7], s[6:7] op_sel:[0,1]
.LBB7_46:
	s_and_saveexec_b64 s[0:1], s[2:3]
	s_cbranch_execz .LBB7_48
; %bb.47:
	v_lshlrev_b64 v[10:11], 2, v[10:11]
	v_mov_b32_e32 v0, s21
	v_add_co_u32_e32 v10, vcc, s20, v10
	v_addc_co_u32_e32 v11, vcc, v0, v11, vcc
	global_store_dword v[10:11], v13, off
.LBB7_48:
	s_or_b64 exec, exec, s[0:1]
	s_add_i32 s0, s9, 3
	;;#ASMSTART
	v_rcp_f32 v10, v13
	;;#ASMEND
	v_mov_b32_e32 v11, v10
	;;#ASMSTART
	v_pk_mul_f32 v[8:9], v[8:9], v[10:11]
	;;#ASMEND
	s_ashr_i32 s1, s0, 31
	v_mov_b32_e32 v0, 0xc3e00000
	v_mov_b32_e32 v12, 0x43e00000
	;;#ASMSTART
	v_med3_f32 v8, v8, v0, v12
v_med3_f32 v9, v9, v0, v12
v_cvt_pk_fp8_f32 v13, v8, v9
	;;#ASMEND
	;;#ASMSTART
	v_pk_mul_f32 v[6:7], v[6:7], v[10:11]
	;;#ASMEND
	s_lshr_b32 s1, s1, 30
	;;#ASMSTART
	v_med3_f32 v6, v6, v0, v12
v_med3_f32 v7, v7, v0, v12
v_cvt_pk_fp8_f32 v8, v6, v7
	;;#ASMEND
	s_mov_b32 s5, 0x5040100
	s_add_i32 s0, s0, s1
	v_perm_b32 v7, v8, v13, s5
	s_movk_i32 s5, 0xff
	s_and_b32 s2, s0, -4
	s_ashr_i32 s0, s13, 31
	v_and_b32_e32 v6, 0xffffff00, v8
	v_and_b32_sdwa v8, v7, s5 dst_sel:DWORD dst_unused:UNUSED_PAD src0_sel:WORD_1 src1_sel:DWORD
	s_mul_hi_u32 s1, s13, s6
	s_mul_i32 s0, s0, s6
	s_mov_b32 s4, 0xffff
	v_or_b32_sdwa v6, v8, v6 dst_sel:WORD_1 dst_unused:UNUSED_PAD src0_sel:DWORD src1_sel:DWORD
	;;#ASMSTART
	v_pk_mul_f32 v[4:5], v[4:5], v[10:11]
	;;#ASMEND
	s_add_i32 s1, s1, s0
	s_mul_i32 s0, s13, s6
	v_and_or_b32 v6, v7, s4, v6
	;;#ASMSTART
	v_med3_f32 v4, v4, v0, v12
v_med3_f32 v5, v5, v0, v12
v_cvt_pk_fp8_f32 v7, v4, v5
	;;#ASMEND
	;;#ASMSTART
	v_pk_mul_f32 v[2:3], v[2:3], v[10:11]
	;;#ASMEND
	s_add_u32 s0, s16, s0
	;;#ASMSTART
	v_med3_f32 v2, v2, v0, v12
v_med3_f32 v3, v3, v0, v12
v_cvt_pk_fp8_f32 v0, v2, v3
	;;#ASMEND
	s_addc_u32 s1, s17, s1
	v_lshlrev_b32_e32 v0, 16, v0
	s_and_b32 s1, s1, 0xffff
	s_mov_b32 s3, 0x20000
	v_and_or_b32 v7, v7, s4, v0
	buffer_store_dwordx2 v[6:7], v1, s[0:3], 0 offen
	;;#ASMSTART
	s_nop 0
	;;#ASMEND
.LBB7_49:
	s_endpgm
.LBB7_50:
                                        ; implicit-def: $vgpr10_vgpr11
	s_branch .LBB7_37
	.section	.rodata,"a",@progbits
	.p2align	6, 0x0
	.amdhsa_kernel _ZN5aiter24add_rmsnorm_quant_kernelIDF16_DB8_Li128ELi8ELb1ELb1ELb0ELi1EEEvPT0_PT_PfS5_S5_S5_diiiiiiib
		.amdhsa_group_segment_fixed_size 16
		.amdhsa_private_segment_fixed_size 0
		.amdhsa_kernarg_size 88
		.amdhsa_user_sgpr_count 6
		.amdhsa_user_sgpr_private_segment_buffer 1
		.amdhsa_user_sgpr_dispatch_ptr 0
		.amdhsa_user_sgpr_queue_ptr 0
		.amdhsa_user_sgpr_kernarg_segment_ptr 1
		.amdhsa_user_sgpr_dispatch_id 0
		.amdhsa_user_sgpr_flat_scratch_init 0
		.amdhsa_user_sgpr_kernarg_preload_length 0
		.amdhsa_user_sgpr_kernarg_preload_offset 0
		.amdhsa_user_sgpr_private_segment_size 0
		.amdhsa_uses_dynamic_stack 0
		.amdhsa_system_sgpr_private_segment_wavefront_offset 0
		.amdhsa_system_sgpr_workgroup_id_x 1
		.amdhsa_system_sgpr_workgroup_id_y 0
		.amdhsa_system_sgpr_workgroup_id_z 0
		.amdhsa_system_sgpr_workgroup_info 0
		.amdhsa_system_vgpr_workitem_id 0
		.amdhsa_next_free_vgpr 32
		.amdhsa_next_free_sgpr 40
		.amdhsa_accum_offset 32
		.amdhsa_reserve_vcc 1
		.amdhsa_reserve_flat_scratch 0
		.amdhsa_float_round_mode_32 0
		.amdhsa_float_round_mode_16_64 0
		.amdhsa_float_denorm_mode_32 3
		.amdhsa_float_denorm_mode_16_64 3
		.amdhsa_dx10_clamp 1
		.amdhsa_ieee_mode 1
		.amdhsa_fp16_overflow 0
		.amdhsa_tg_split 0
		.amdhsa_exception_fp_ieee_invalid_op 0
		.amdhsa_exception_fp_denorm_src 0
		.amdhsa_exception_fp_ieee_div_zero 0
		.amdhsa_exception_fp_ieee_overflow 0
		.amdhsa_exception_fp_ieee_underflow 0
		.amdhsa_exception_fp_ieee_inexact 0
		.amdhsa_exception_int_div_zero 0
	.end_amdhsa_kernel
	.section	.text._ZN5aiter24add_rmsnorm_quant_kernelIDF16_DB8_Li128ELi8ELb1ELb1ELb0ELi1EEEvPT0_PT_PfS5_S5_S5_diiiiiiib,"axG",@progbits,_ZN5aiter24add_rmsnorm_quant_kernelIDF16_DB8_Li128ELi8ELb1ELb1ELb0ELi1EEEvPT0_PT_PfS5_S5_S5_diiiiiiib,comdat
.Lfunc_end7:
	.size	_ZN5aiter24add_rmsnorm_quant_kernelIDF16_DB8_Li128ELi8ELb1ELb1ELb0ELi1EEEvPT0_PT_PfS5_S5_S5_diiiiiiib, .Lfunc_end7-_ZN5aiter24add_rmsnorm_quant_kernelIDF16_DB8_Li128ELi8ELb1ELb1ELb0ELi1EEEvPT0_PT_PfS5_S5_S5_diiiiiiib
                                        ; -- End function
	.section	.AMDGPU.csdata,"",@progbits
; Kernel info:
; codeLenInByte = 3344
; NumSgprs: 44
; NumVgprs: 32
; NumAgprs: 0
; TotalNumVgprs: 32
; ScratchSize: 0
; MemoryBound: 0
; FloatMode: 240
; IeeeMode: 1
; LDSByteSize: 16 bytes/workgroup (compile time only)
; SGPRBlocks: 5
; VGPRBlocks: 3
; NumSGPRsForWavesPerEU: 44
; NumVGPRsForWavesPerEU: 32
; AccumOffset: 32
; Occupancy: 8
; WaveLimiterHint : 0
; COMPUTE_PGM_RSRC2:SCRATCH_EN: 0
; COMPUTE_PGM_RSRC2:USER_SGPR: 6
; COMPUTE_PGM_RSRC2:TRAP_HANDLER: 0
; COMPUTE_PGM_RSRC2:TGID_X_EN: 1
; COMPUTE_PGM_RSRC2:TGID_Y_EN: 0
; COMPUTE_PGM_RSRC2:TGID_Z_EN: 0
; COMPUTE_PGM_RSRC2:TIDIG_COMP_CNT: 0
; COMPUTE_PGM_RSRC3_GFX90A:ACCUM_OFFSET: 7
; COMPUTE_PGM_RSRC3_GFX90A:TG_SPLIT: 0
	.section	.text._ZN5aiter24add_rmsnorm_quant_kernelItDB8_Li128ELi8ELb1ELb1ELb0ELi1EEEvPT0_PT_PfS5_S5_S5_diiiiiiib,"axG",@progbits,_ZN5aiter24add_rmsnorm_quant_kernelItDB8_Li128ELi8ELb1ELb1ELb0ELi1EEEvPT0_PT_PfS5_S5_S5_diiiiiiib,comdat
	.protected	_ZN5aiter24add_rmsnorm_quant_kernelItDB8_Li128ELi8ELb1ELb1ELb0ELi1EEEvPT0_PT_PfS5_S5_S5_diiiiiiib ; -- Begin function _ZN5aiter24add_rmsnorm_quant_kernelItDB8_Li128ELi8ELb1ELb1ELb0ELi1EEEvPT0_PT_PfS5_S5_S5_diiiiiiib
	.globl	_ZN5aiter24add_rmsnorm_quant_kernelItDB8_Li128ELi8ELb1ELb1ELb0ELi1EEEvPT0_PT_PfS5_S5_S5_diiiiiiib
	.p2align	8
	.type	_ZN5aiter24add_rmsnorm_quant_kernelItDB8_Li128ELi8ELb1ELb1ELb0ELi1EEEvPT0_PT_PfS5_S5_S5_diiiiiiib,@function
_ZN5aiter24add_rmsnorm_quant_kernelItDB8_Li128ELi8ELb1ELb1ELb0ELi1EEEvPT0_PT_PfS5_S5_S5_diiiiiiib: ; @_ZN5aiter24add_rmsnorm_quant_kernelItDB8_Li128ELi8ELb1ELb1ELb0ELi1EEEvPT0_PT_PfS5_S5_S5_diiiiiiib
; %bb.0:
	s_load_dwordx8 s[8:15], s[4:5], 0x38
	s_mov_b32 s7, 0
	s_waitcnt lgkmcnt(0)
	s_ashr_i32 s0, s8, 31
	v_mov_b32_e32 v2, s8
	v_mov_b32_e32 v3, s0
	v_cmp_ge_i64_e32 vcc, s[6:7], v[2:3]
	s_cbranch_vccnz .LBB8_49
; %bb.1:
	s_load_dwordx8 s[16:23], s[4:5], 0x0
	s_load_dwordx8 s[24:31], s[4:5], 0x20
	s_ashr_i32 s0, s10, 31
	s_mul_hi_u32 s1, s10, s6
	s_mul_i32 s0, s0, s6
	s_add_i32 s1, s1, s0
	s_mul_i32 s0, s10, s6
	s_lshl_b64 s[0:1], s[0:1], 1
	s_waitcnt lgkmcnt(0)
	s_add_u32 s0, s22, s0
	s_addc_u32 s1, s23, s1
	s_add_i32 s2, s9, 1
	s_lshr_b32 s3, s2, 31
	s_add_i32 s2, s2, s3
	s_lshl_b32 s2, s2, 1
	s_and_b32 s2, s2, -4
	s_and_b32 s1, s1, 0xffff
	s_mov_b32 s3, 0x20000
	v_lshlrev_b32_e32 v1, 4, v0
	buffer_load_dwordx4 v[6:9], v1, s[0:3], 0 offen glc slc
	s_ashr_i32 s0, s11, 31
	s_mul_hi_u32 s1, s11, s6
	s_mul_i32 s0, s0, s6
	s_add_i32 s1, s1, s0
	s_mul_i32 s0, s11, s6
	s_and_b32 s37, s27, 0xffff
	s_lshl_b64 s[0:1], s[0:1], 1
	s_add_u32 s0, s24, s0
	s_addc_u32 s1, s25, s1
	s_and_b32 s1, s1, 0xffff
	buffer_load_dwordx4 v[10:13], v1, s[0:3], 0 offen glc slc
	s_mov_b32 s39, s3
	s_mov_b32 s36, s26
	;; [unrolled: 1-line block ×3, first 2 shown]
	buffer_load_dwordx4 v[2:5], v1, s[36:39], 0 offen
	s_ashr_i32 s5, s12, 31
	s_mul_hi_u32 s1, s12, s6
	s_mul_i32 s5, s5, s6
	s_mul_i32 s0, s12, s6
	s_add_i32 s1, s1, s5
	s_lshl_b64 s[0:1], s[0:1], 1
	s_add_u32 s0, s18, s0
	s_mov_b32 s4, 0x7060302
	s_addc_u32 s1, s19, s1
	s_and_b32 s1, s1, 0xffff
	v_and_b32_e32 v26, 63, v0
	s_waitcnt vmcnt(2)
	v_cvt_f32_u32_sdwa v15, v6 dst_sel:DWORD dst_unused:UNUSED_PAD src0_sel:WORD_1
	v_cvt_f32_u32_sdwa v14, v6 dst_sel:DWORD dst_unused:UNUSED_PAD src0_sel:WORD_0
	v_cvt_f32_u32_sdwa v17, v7 dst_sel:DWORD dst_unused:UNUSED_PAD src0_sel:WORD_1
	v_cvt_f32_u32_sdwa v16, v7 dst_sel:DWORD dst_unused:UNUSED_PAD src0_sel:WORD_0
	;; [unrolled: 2-line block ×4, first 2 shown]
	s_waitcnt vmcnt(1)
	v_cvt_f32_u32_sdwa v9, v10 dst_sel:DWORD dst_unused:UNUSED_PAD src0_sel:WORD_1
	v_cvt_f32_u32_sdwa v8, v10 dst_sel:DWORD dst_unused:UNUSED_PAD src0_sel:WORD_0
	v_cvt_f32_u32_sdwa v21, v11 dst_sel:DWORD dst_unused:UNUSED_PAD src0_sel:WORD_1
	v_cvt_f32_u32_sdwa v20, v11 dst_sel:DWORD dst_unused:UNUSED_PAD src0_sel:WORD_0
	;; [unrolled: 2-line block ×4, first 2 shown]
	v_pk_add_f32 v[12:13], v[14:15], v[8:9]
	v_pk_add_f32 v[10:11], v[16:17], v[20:21]
	;; [unrolled: 1-line block ×4, first 2 shown]
	v_perm_b32 v17, v7, v6, s4
	v_perm_b32 v16, v9, v8, s4
	v_perm_b32 v15, v11, v10, s4
	v_perm_b32 v14, v13, v12, s4
	v_pk_mul_f32 v[18:19], v[12:13], v[12:13]
	v_pk_mul_f32 v[20:21], v[10:11], v[10:11]
	buffer_store_dwordx4 v[14:17], v1, s[0:3], 0 offen glc slc
	v_add_f32_e32 v1, v18, v19
	v_add_f32_e32 v1, v20, v1
	v_pk_mul_f32 v[22:23], v[8:9], v[8:9]
	v_add_f32_e32 v1, v21, v1
	v_add_f32_e32 v1, v22, v1
	v_pk_mul_f32 v[24:25], v[6:7], v[6:7]
	v_add_f32_e32 v1, v23, v1
	v_add_f32_e32 v1, v24, v1
	;; [unrolled: 1-line block ×3, first 2 shown]
	v_cmp_eq_u32_e64 s[0:1], 63, v26
	;;#ASMSTART
	s_nop 0
	;;#ASMEND
	s_nop 0
	v_mov_b32_dpp v14, v1 quad_perm:[1,0,3,2] row_mask:0xf bank_mask:0xf
	v_add_f32_e32 v1, v1, v14
	s_nop 1
	v_mov_b32_dpp v14, v1 quad_perm:[2,3,0,1] row_mask:0xf bank_mask:0xf
	v_add_f32_e32 v1, v1, v14
	s_nop 1
	v_mov_b32_dpp v14, v1 row_half_mirror row_mask:0xf bank_mask:0xf
	v_add_f32_e32 v1, v1, v14
	s_nop 1
	v_mov_b32_dpp v14, v1 row_mirror row_mask:0xf bank_mask:0xf
	v_add_f32_e32 v1, v1, v14
	s_nop 1
	v_mov_b32_dpp v14, v1 row_bcast:15 row_mask:0xf bank_mask:0xf
	v_add_f32_e32 v1, v1, v14
	s_nop 1
	v_mov_b32_dpp v14, v1 row_bcast:31 row_mask:0xf bank_mask:0xf
	s_and_saveexec_b64 s[2:3], s[0:1]
	s_cbranch_execz .LBB8_3
; %bb.2:
	v_lshrrev_b32_e32 v15, 4, v0
	v_and_b32_e32 v15, 60, v15
	v_add_f32_e32 v1, v1, v14
	ds_write_b32 v15, v1 offset:8
.LBB8_3:
	s_or_b64 exec, exec, s[2:3]
	v_and_b32_e32 v1, 1, v0
	v_lshlrev_b32_e32 v14, 2, v1
	s_waitcnt lgkmcnt(0)
	s_barrier
	ds_read_b32 v1, v14 offset:8
	v_cvt_f32_i32_e32 v15, s9
	s_waitcnt vmcnt(1)
	v_cvt_f32_u32_sdwa v21, v3 dst_sel:DWORD dst_unused:UNUSED_PAD src0_sel:WORD_1
	v_cvt_f32_u32_sdwa v23, v5 dst_sel:DWORD dst_unused:UNUSED_PAD src0_sel:WORD_1
	v_cvt_f32_u32_sdwa v22, v5 dst_sel:DWORD dst_unused:UNUSED_PAD src0_sel:WORD_0
	s_waitcnt lgkmcnt(0)
	v_mov_b32_dpp v16, v1 quad_perm:[1,0,3,2] row_mask:0xf bank_mask:0xf
	v_add_f32_e32 v1, v1, v16
	v_div_scale_f32 v16, s[2:3], v15, v15, v1
	v_rcp_f32_e32 v17, v16
	v_div_scale_f32 v18, vcc, v1, v15, v1
	s_mov_b32 s2, 0x800000
	v_fma_f32 v19, -v16, v17, 1.0
	v_fmac_f32_e32 v17, v19, v17
	v_mul_f32_e32 v19, v18, v17
	v_fma_f32 v20, -v16, v19, v18
	v_fmac_f32_e32 v19, v20, v17
	v_fma_f32 v16, -v16, v19, v18
	v_div_fmas_f32 v16, v16, v17, v19
	v_div_fixup_f32 v1, v16, v15, v1
	v_cvt_f64_f32_e32 v[16:17], v1
	v_add_f64 v[16:17], v[16:17], s[28:29]
	v_cvt_f32_f64_e32 v1, v[16:17]
	v_mul_f32_e32 v15, 0x4b800000, v1
	v_cmp_gt_f32_e32 vcc, s2, v1
	v_cndmask_b32_e32 v1, v1, v15, vcc
	v_rsq_f32_e32 v15, v1
	v_cvt_f32_u32_sdwa v20, v3 dst_sel:DWORD dst_unused:UNUSED_PAD src0_sel:WORD_0
	v_cvt_f32_u32_sdwa v3, v4 dst_sel:DWORD dst_unused:UNUSED_PAD src0_sel:WORD_1
	v_lshlrev_b32_e32 v1, 3, v0
	v_mul_f32_e32 v16, 0x45800000, v15
	v_cndmask_b32_e32 v16, v15, v16, vcc
	v_mov_b32_e32 v17, v16
	;;#ASMSTART
	v_pk_mul_f32 v[12:13], v[12:13], v[16:17]
	;;#ASMEND
	;;#ASMSTART
	v_pk_mul_f32 v[10:11], v[10:11], v[16:17]
	;;#ASMEND
	;; [unrolled: 3-line block ×4, first 2 shown]
	v_cvt_f32_u32_sdwa v7, v2 dst_sel:DWORD dst_unused:UNUSED_PAD src0_sel:WORD_1
	v_cvt_f32_u32_sdwa v6, v2 dst_sel:DWORD dst_unused:UNUSED_PAD src0_sel:WORD_0
	v_cvt_f32_u32_sdwa v2, v4 dst_sel:DWORD dst_unused:UNUSED_PAD src0_sel:WORD_0
	;;#ASMSTART
	v_pk_mul_f32 v[8:9], v[12:13], v[6:7]
	;;#ASMEND
	;;#ASMSTART
	v_pk_mul_f32 v[6:7], v[10:11], v[20:21]
	;;#ASMEND
	v_and_b32_e32 v10, 0x7fffffff, v8
	v_mov_b32_e32 v12, 0x2edbe6ff
	;;#ASMSTART
	v_pk_mul_f32 v[4:5], v[18:19], v[2:3]
	;;#ASMEND
	;;#ASMSTART
	v_pk_mul_f32 v[2:3], v[16:17], v[22:23]
	;;#ASMEND
	v_and_b32_e32 v11, 0x7fffffff, v9
	;;#ASMSTART
	v_max3_f32 v10, v12, v10, v11

	;;#ASMEND
	v_and_b32_e32 v12, 0x7fffffff, v7
	v_and_b32_e32 v11, 0x7fffffff, v6
	;;#ASMSTART
	v_max3_f32 v10, v10, v11, v12

	;;#ASMEND
	v_and_b32_e32 v12, 0x7fffffff, v5
	;; [unrolled: 6-line block ×3, first 2 shown]
	s_cmp_lg_u32 s14, 0
	v_and_b32_e32 v11, 0x7fffffff, v2
	;;#ASMSTART
	v_max3_f32 v12, v10, v11, v12

	;;#ASMEND
	s_cbranch_scc0 .LBB8_10
; %bb.4:
	s_ashr_i32 s12, s14, 31
	s_lshr_b32 s2, s12, 29
	s_add_i32 s2, s14, s2
	s_ashr_i32 s10, s2, 3
	s_cmp_lt_i32 s10, 16
	s_cbranch_scc1 .LBB8_11
; %bb.5:
	s_cmp_lt_i32 s10, 32
	s_cbranch_scc1 .LBB8_12
; %bb.6:
	;; [unrolled: 3-line block ×3, first 2 shown]
	s_cmp_eq_u32 s10, 64
	v_mov_b32_e32 v10, v12
	s_cbranch_scc0 .LBB8_9
; %bb.8:
	s_nop 0
	v_mov_b32_dpp v10, v12 quad_perm:[1,0,3,2] row_mask:0xf bank_mask:0xf
	v_cmp_gt_f32_e32 vcc, v12, v10
	v_cndmask_b32_e32 v10, v10, v12, vcc
	v_bfrev_b32_e32 v13, 0.5
	s_nop 0
	v_mov_b32_dpp v11, v10 quad_perm:[2,3,0,1] row_mask:0xf bank_mask:0xf
	v_cmp_gt_f32_e32 vcc, v10, v11
	v_cndmask_b32_e32 v10, v11, v10, vcc
	s_nop 1
	v_mov_b32_dpp v11, v10 row_ror:4 row_mask:0xf bank_mask:0xf
	v_cmp_gt_f32_e32 vcc, v10, v11
	v_cndmask_b32_e32 v10, v11, v10, vcc
	s_nop 1
	v_mov_b32_dpp v11, v10 row_ror:8 row_mask:0xf bank_mask:0xf
	v_cmp_gt_f32_e32 vcc, v10, v11
	v_cndmask_b32_e32 v10, v11, v10, vcc
	s_nop 1
	v_mov_b32_dpp v11, v10 row_bcast:15 row_mask:0xf bank_mask:0xf
	v_cmp_gt_f32_e32 vcc, v10, v11
	v_cndmask_b32_e32 v10, v11, v10, vcc
	s_nop 1
	v_mov_b32_dpp v11, v10 row_bcast:31 row_mask:0xf bank_mask:0xf
	v_cmp_gt_f32_e32 vcc, v10, v11
	v_cndmask_b32_e32 v10, v11, v10, vcc
	v_mbcnt_lo_u32_b32 v11, -1, 0
	v_mbcnt_hi_u32_b32 v11, -1, v11
	v_lshl_or_b32 v11, v11, 2, v13
	ds_bpermute_b32 v10, v11, v10
.LBB8_9:
	s_mov_b64 s[2:3], 0
	s_branch .LBB8_14
.LBB8_10:
	s_mov_b64 s[2:3], 0
                                        ; implicit-def: $vgpr13
                                        ; implicit-def: $vgpr10_vgpr11
	s_cbranch_execnz .LBB8_43
	s_branch .LBB8_46
.LBB8_11:
                                        ; implicit-def: $vgpr10
	s_branch .LBB8_21
.LBB8_12:
                                        ; implicit-def: $vgpr10
	s_branch .LBB8_18
.LBB8_13:
	s_mov_b64 s[2:3], -1
                                        ; implicit-def: $vgpr10
.LBB8_14:
	s_andn2_b64 vcc, exec, s[2:3]
	s_cbranch_vccnz .LBB8_17
; %bb.15:
	s_cmp_eq_u32 s10, 32
	s_waitcnt lgkmcnt(0)
	v_mov_b32_e32 v10, v12
	s_cbranch_scc0 .LBB8_17
; %bb.16:
	s_nop 0
	v_mov_b32_dpp v10, v12 quad_perm:[1,0,3,2] row_mask:0xf bank_mask:0xf
	v_cmp_gt_f32_e32 vcc, v12, v10
	v_cndmask_b32_e32 v10, v10, v12, vcc
	v_mov_b32_e32 v13, 0x7c
	s_nop 0
	v_mov_b32_dpp v11, v10 quad_perm:[2,3,0,1] row_mask:0xf bank_mask:0xf
	v_cmp_gt_f32_e32 vcc, v10, v11
	v_cndmask_b32_e32 v10, v11, v10, vcc
	s_nop 1
	v_mov_b32_dpp v11, v10 row_half_mirror row_mask:0xf bank_mask:0xf
	v_cmp_gt_f32_e32 vcc, v10, v11
	v_cndmask_b32_e32 v10, v11, v10, vcc
	s_nop 1
	v_mov_b32_dpp v11, v10 row_mirror row_mask:0xf bank_mask:0xf
	v_cmp_gt_f32_e32 vcc, v10, v11
	v_cndmask_b32_e32 v10, v11, v10, vcc
	s_nop 1
	v_mov_b32_dpp v11, v10 row_bcast:15 row_mask:0xa bank_mask:0xf
	v_cmp_gt_f32_e32 vcc, v10, v11
	v_cndmask_b32_e32 v10, v11, v10, vcc
	v_mbcnt_lo_u32_b32 v11, -1, 0
	v_mbcnt_hi_u32_b32 v11, -1, v11
	v_lshl_or_b32 v11, v11, 2, v13
	ds_bpermute_b32 v10, v11, v10
.LBB8_17:
	s_cbranch_execnz .LBB8_20
.LBB8_18:
	s_cmp_eq_u32 s10, 16
	s_waitcnt lgkmcnt(0)
	v_mov_b32_e32 v10, v12
	s_cbranch_scc0 .LBB8_20
; %bb.19:
	s_nop 0
	v_mov_b32_dpp v10, v12 quad_perm:[1,0,3,2] row_mask:0xf bank_mask:0xf
	v_cmp_gt_f32_e32 vcc, v12, v10
	v_cndmask_b32_e32 v10, v10, v12, vcc
	s_nop 1
	v_mov_b32_dpp v11, v10 quad_perm:[2,3,0,1] row_mask:0xf bank_mask:0xf
	v_cmp_gt_f32_e32 vcc, v10, v11
	v_cndmask_b32_e32 v10, v11, v10, vcc
	s_nop 1
	v_mov_b32_dpp v11, v10 row_half_mirror row_mask:0xf bank_mask:0xf
	v_cmp_gt_f32_e32 vcc, v10, v11
	v_cndmask_b32_e32 v10, v11, v10, vcc
	s_nop 1
	v_mov_b32_dpp v11, v10 row_mirror row_mask:0xf bank_mask:0xf
	v_cmp_gt_f32_e32 vcc, v10, v11
	v_cndmask_b32_e32 v10, v11, v10, vcc
.LBB8_20:
	s_cbranch_execnz .LBB8_33
.LBB8_21:
	s_cmp_lt_i32 s10, 4
	s_cbranch_scc1 .LBB8_25
; %bb.22:
	s_cmp_lt_i32 s10, 8
	s_cbranch_scc1 .LBB8_26
; %bb.23:
	s_cmp_eq_u32 s10, 8
	s_waitcnt lgkmcnt(0)
	v_mov_b32_e32 v10, v12
	s_cbranch_scc0 .LBB8_27
; %bb.24:
	s_nop 0
	v_mov_b32_dpp v10, v12 quad_perm:[1,0,3,2] row_mask:0xf bank_mask:0xf
	v_cmp_gt_f32_e32 vcc, v12, v10
	v_cndmask_b32_e32 v10, v10, v12, vcc
	s_nop 1
	v_mov_b32_dpp v11, v10 quad_perm:[2,3,0,1] row_mask:0xf bank_mask:0xf
	v_cmp_gt_f32_e32 vcc, v10, v11
	v_cndmask_b32_e32 v10, v11, v10, vcc
	s_nop 1
	v_mov_b32_dpp v11, v10 row_half_mirror row_mask:0xf bank_mask:0xf
	v_cmp_gt_f32_e32 vcc, v10, v11
	v_cndmask_b32_e32 v10, v11, v10, vcc
	s_cbranch_execz .LBB8_28
	s_branch .LBB8_30
.LBB8_25:
                                        ; implicit-def: $vgpr10
	s_branch .LBB8_31
.LBB8_26:
                                        ; implicit-def: $vgpr10
	s_branch .LBB8_28
.LBB8_27:
	s_cbranch_execnz .LBB8_30
.LBB8_28:
	s_cmp_eq_u32 s10, 4
	s_waitcnt lgkmcnt(0)
	v_mov_b32_e32 v10, v12
	s_cbranch_scc0 .LBB8_30
; %bb.29:
	s_nop 0
	v_mov_b32_dpp v10, v12 quad_perm:[1,0,3,2] row_mask:0xf bank_mask:0xf
	v_cmp_gt_f32_e32 vcc, v12, v10
	v_cndmask_b32_e32 v10, v10, v12, vcc
	s_nop 1
	v_mov_b32_dpp v11, v10 quad_perm:[2,3,0,1] row_mask:0xf bank_mask:0xf
	v_cmp_gt_f32_e32 vcc, v10, v11
	v_cndmask_b32_e32 v10, v11, v10, vcc
.LBB8_30:
	s_cbranch_execnz .LBB8_33
.LBB8_31:
	s_cmp_lg_u32 s10, 2
	s_waitcnt lgkmcnt(0)
	v_mov_b32_e32 v10, v12
	s_cbranch_scc1 .LBB8_33
; %bb.32:
	s_nop 0
	v_mov_b32_dpp v10, v12 quad_perm:[1,0,3,2] row_mask:0xf bank_mask:0xf
	v_cmp_gt_f32_e32 vcc, v12, v10
	v_cndmask_b32_e32 v10, v10, v12, vcc
.LBB8_33:
	v_cvt_f32_u32_e32 v11, s10
	s_waitcnt lgkmcnt(0)
	v_mul_f32_e32 v13, 0x3b124925, v10
	s_sub_i32 s2, 0, s10
	v_cmp_gt_u32_e32 vcc, s9, v1
	v_rcp_iflag_f32_e32 v11, v11
	s_mov_b64 s[4:5], 0
	v_mul_f32_e32 v10, 0x4f7ffffe, v11
	v_cvt_u32_f32_e32 v10, v10
	v_mul_lo_u32 v11, s2, v10
	v_mul_hi_u32 v11, v10, v11
	v_add_u32_e32 v10, v10, v11
	v_mul_hi_u32 v10, v0, v10
	v_mul_lo_u32 v11, v10, s10
	v_sub_u32_e32 v11, v0, v11
	v_add_u32_e32 v15, 1, v10
	v_cmp_le_u32_e64 s[2:3], s10, v11
	v_cndmask_b32_e64 v10, v10, v15, s[2:3]
	v_subrev_u32_e32 v15, s10, v11
	v_cndmask_b32_e64 v11, v11, v15, s[2:3]
	v_add_u32_e32 v15, 1, v10
	v_cmp_le_u32_e64 s[2:3], s10, v11
	v_cndmask_b32_e64 v15, v10, v15, s[2:3]
	v_mul_lo_u32 v10, v15, s10
	v_sub_u32_e32 v10, v0, v10
	v_cmp_eq_u32_e64 s[2:3], 0, v10
	s_and_b64 s[10:11], s[2:3], vcc
	s_mov_b64 s[2:3], 0
                                        ; implicit-def: $vgpr10_vgpr11
	s_and_saveexec_b64 s[18:19], s[10:11]
	s_xor_b64 s[10:11], exec, s[18:19]
	s_cbranch_execz .LBB8_42
; %bb.34:
	s_bitcmp0_b32 s15, 0
	s_cbranch_scc0 .LBB8_39
; %bb.35:
	s_ashr_i32 s2, s9, 31
	s_mul_hi_u32 s3, s9, s6
	s_mul_i32 s2, s2, s6
	s_add_i32 s19, s3, s2
	s_mul_i32 s18, s9, s6
	s_mov_b32 s15, s12
	s_or_b64 s[2:3], s[18:19], s[14:15]
	s_mov_b32 s2, 0
	s_cmp_lg_u64 s[2:3], 0
	s_cbranch_scc0 .LBB8_50
; %bb.36:
	s_add_u32 s2, s14, s15
	s_mov_b32 s24, s15
	s_mov_b32 s25, s15
	s_addc_u32 s3, s15, s15
	s_xor_b64 s[26:27], s[2:3], s[24:25]
	v_cvt_f32_u32_e32 v10, s26
	v_cvt_f32_u32_e32 v11, s27
	s_sub_u32 s2, 0, s26
	s_subb_u32 s3, 0, s27
	v_madmk_f32 v10, v11, 0x4f800000, v10
	v_rcp_f32_e32 v10, v10
	v_mul_f32_e32 v10, 0x5f7ffffc, v10
	v_mul_f32_e32 v11, 0x2f800000, v10
	v_trunc_f32_e32 v11, v11
	v_madmk_f32 v10, v11, 0xcf800000, v10
	v_cvt_u32_f32_e32 v11, v11
	v_cvt_u32_f32_e32 v10, v10
	v_readfirstlane_b32 s12, v11
	v_readfirstlane_b32 s15, v10
	s_mul_i32 s28, s2, s12
	s_mul_hi_u32 s30, s2, s15
	s_mul_i32 s29, s3, s15
	s_add_i32 s28, s30, s28
	s_add_i32 s28, s28, s29
	s_mul_i32 s31, s2, s15
	s_mul_hi_u32 s29, s15, s28
	s_mul_i32 s30, s15, s28
	s_mul_hi_u32 s15, s15, s31
	s_add_u32 s15, s15, s30
	s_addc_u32 s29, 0, s29
	s_mul_hi_u32 s33, s12, s31
	s_mul_i32 s31, s12, s31
	s_add_u32 s15, s15, s31
	s_mul_hi_u32 s30, s12, s28
	s_addc_u32 s15, s29, s33
	s_addc_u32 s29, s30, 0
	s_mul_i32 s28, s12, s28
	s_add_u32 s15, s15, s28
	s_addc_u32 s28, 0, s29
	v_add_co_u32_e32 v10, vcc, s15, v10
	s_cmp_lg_u64 vcc, 0
	s_addc_u32 s12, s12, s28
	v_readfirstlane_b32 s28, v10
	s_mul_i32 s15, s2, s12
	s_mul_hi_u32 s29, s2, s28
	s_add_i32 s15, s29, s15
	s_mul_i32 s3, s3, s28
	s_add_i32 s15, s15, s3
	s_mul_i32 s2, s2, s28
	s_mul_hi_u32 s29, s12, s2
	s_mul_i32 s30, s12, s2
	s_mul_i32 s33, s28, s15
	s_mul_hi_u32 s2, s28, s2
	s_mul_hi_u32 s31, s28, s15
	s_add_u32 s2, s2, s33
	s_addc_u32 s28, 0, s31
	s_add_u32 s2, s2, s30
	s_mul_hi_u32 s3, s12, s15
	s_addc_u32 s2, s28, s29
	s_addc_u32 s3, s3, 0
	s_mul_i32 s15, s12, s15
	s_add_u32 s2, s2, s15
	s_addc_u32 s3, 0, s3
	v_add_co_u32_e32 v10, vcc, s2, v10
	s_cmp_lg_u64 vcc, 0
	s_addc_u32 s12, s12, s3
	s_ashr_i32 s28, s19, 31
	s_add_u32 s2, s18, s28
	s_mov_b32 s29, s28
	s_addc_u32 s3, s19, s28
	s_xor_b64 s[30:31], s[2:3], s[28:29]
	v_readfirstlane_b32 s15, v10
	s_mul_i32 s3, s30, s12
	s_mul_hi_u32 s19, s30, s15
	s_mul_hi_u32 s2, s30, s12
	s_add_u32 s3, s19, s3
	s_addc_u32 s2, 0, s2
	s_mul_hi_u32 s33, s31, s15
	s_mul_i32 s15, s31, s15
	s_add_u32 s3, s3, s15
	s_mul_hi_u32 s19, s31, s12
	s_addc_u32 s2, s2, s33
	s_addc_u32 s3, s19, 0
	s_mul_i32 s12, s31, s12
	s_add_u32 s12, s2, s12
	s_addc_u32 s15, 0, s3
	s_mul_i32 s2, s26, s15
	s_mul_hi_u32 s3, s26, s12
	s_add_i32 s2, s3, s2
	s_mul_i32 s3, s27, s12
	s_add_i32 s19, s2, s3
	s_mul_i32 s3, s26, s12
	v_mov_b32_e32 v10, s3
	s_sub_i32 s2, s31, s19
	v_sub_co_u32_e32 v10, vcc, s30, v10
	s_cmp_lg_u64 vcc, 0
	s_subb_u32 s30, s2, s27
	v_subrev_co_u32_e64 v11, s[2:3], s26, v10
	s_cmp_lg_u64 s[2:3], 0
	s_subb_u32 s30, s30, 0
	s_cmp_ge_u32 s30, s27
	s_cselect_b32 s33, -1, 0
	v_cmp_le_u32_e64 s[2:3], s26, v11
	s_cmp_eq_u32 s30, s27
	v_cndmask_b32_e64 v11, 0, -1, s[2:3]
	v_mov_b32_e32 v16, s33
	s_cselect_b64 s[2:3], -1, 0
	v_cndmask_b32_e64 v11, v16, v11, s[2:3]
	s_add_u32 s2, s12, 1
	s_addc_u32 s30, s15, 0
	s_add_u32 s3, s12, 2
	s_addc_u32 s33, s15, 0
	v_mov_b32_e32 v16, s2
	v_mov_b32_e32 v17, s3
	v_cmp_ne_u32_e64 s[2:3], 0, v11
	v_cndmask_b32_e64 v11, v16, v17, s[2:3]
	v_mov_b32_e32 v16, s30
	v_mov_b32_e32 v17, s33
	s_cmp_lg_u64 vcc, 0
	v_cndmask_b32_e64 v16, v16, v17, s[2:3]
	s_subb_u32 s2, s31, s19
	s_cmp_ge_u32 s2, s27
	s_cselect_b32 s3, -1, 0
	v_cmp_le_u32_e32 vcc, s26, v10
	s_cmp_eq_u32 s2, s27
	v_cndmask_b32_e64 v10, 0, -1, vcc
	v_mov_b32_e32 v17, s3
	s_cselect_b64 vcc, -1, 0
	v_cndmask_b32_e32 v10, v17, v10, vcc
	v_mov_b32_e32 v17, s15
	v_cmp_ne_u32_e32 vcc, 0, v10
	v_cndmask_b32_e32 v10, v17, v16, vcc
	v_mov_b32_e32 v16, s12
	v_cndmask_b32_e32 v11, v16, v11, vcc
	s_xor_b64 s[2:3], s[28:29], s[24:25]
	v_xor_b32_e32 v11, s2, v11
	v_xor_b32_e32 v16, s3, v10
	v_mov_b32_e32 v17, s3
	v_subrev_co_u32_e32 v10, vcc, s2, v11
	v_subb_co_u32_e32 v11, vcc, v16, v17, vcc
	s_cbranch_execnz .LBB8_38
.LBB8_37:
	v_cvt_f32_u32_e32 v10, s14
	s_sub_i32 s2, 0, s14
	s_mov_b32 s3, 0
	v_rcp_iflag_f32_e32 v10, v10
	v_mul_f32_e32 v10, 0x4f7ffffe, v10
	v_cvt_u32_f32_e32 v10, v10
	v_readfirstlane_b32 s12, v10
	s_mul_i32 s2, s2, s12
	s_mul_hi_u32 s2, s12, s2
	s_add_i32 s12, s12, s2
	s_mul_hi_u32 s2, s18, s12
	s_mul_i32 s15, s2, s14
	s_sub_i32 s15, s18, s15
	s_add_i32 s12, s2, 1
	s_sub_i32 s18, s15, s14
	s_cmp_ge_u32 s15, s14
	s_cselect_b32 s2, s12, s2
	s_cselect_b32 s15, s18, s15
	s_add_i32 s12, s2, 1
	s_cmp_ge_u32 s15, s14
	s_cselect_b32 s2, s12, s2
	v_pk_mov_b32 v[10:11], s[2:3], s[2:3] op_sel:[0,1]
.LBB8_38:
	v_add_co_u32_e32 v10, vcc, v10, v15
	v_addc_co_u32_e32 v11, vcc, 0, v11, vcc
	s_branch .LBB8_41
.LBB8_39:
                                        ; implicit-def: $vgpr10_vgpr11
	s_cbranch_execz .LBB8_41
; %bb.40:
	v_mul_lo_u32 v10, v15, s8
	v_ashrrev_i32_e32 v11, 31, v10
	v_mov_b32_e32 v15, s7
	v_add_co_u32_e32 v10, vcc, s6, v10
	v_addc_co_u32_e32 v11, vcc, v11, v15, vcc
.LBB8_41:
	s_mov_b64 s[2:3], exec
.LBB8_42:
	s_or_b64 exec, exec, s[10:11]
	s_and_b64 vcc, exec, s[4:5]
	s_cbranch_vccz .LBB8_46
.LBB8_43:
	v_mov_b32_dpp v10, v12 quad_perm:[1,0,3,2] row_mask:0xf bank_mask:0xf
	v_cmp_gt_f32_e32 vcc, v12, v10
	v_cndmask_b32_e32 v10, v10, v12, vcc
	s_nop 1
	v_mov_b32_dpp v11, v10 quad_perm:[2,3,0,1] row_mask:0xf bank_mask:0xf
	v_cmp_gt_f32_e32 vcc, v10, v11
	v_cndmask_b32_e32 v10, v11, v10, vcc
	s_nop 1
	v_mov_b32_dpp v11, v10 row_half_mirror row_mask:0xf bank_mask:0xf
	v_cmp_gt_f32_e32 vcc, v10, v11
	v_cndmask_b32_e32 v10, v11, v10, vcc
	s_nop 1
	v_mov_b32_dpp v11, v10 row_mirror row_mask:0xf bank_mask:0xf
	v_cmp_gt_f32_e32 vcc, v10, v11
	v_cndmask_b32_e32 v10, v11, v10, vcc
	s_nop 1
	v_mov_b32_dpp v11, v10 row_bcast:15 row_mask:0xf bank_mask:0xf
	v_cmp_gt_f32_e32 vcc, v10, v11
	v_cndmask_b32_e32 v10, v11, v10, vcc
	s_nop 1
	v_mov_b32_dpp v11, v10 row_bcast:31 row_mask:0xf bank_mask:0xf
	s_and_saveexec_b64 s[2:3], s[0:1]
	s_cbranch_execz .LBB8_45
; %bb.44:
	v_lshrrev_b32_e32 v12, 4, v0
	v_cmp_gt_f32_e32 vcc, v10, v11
	v_and_b32_e32 v12, 60, v12
	v_cndmask_b32_e32 v10, v11, v10, vcc
	ds_write_b32 v12, v10
.LBB8_45:
	s_or_b64 exec, exec, s[2:3]
	s_waitcnt lgkmcnt(0)
	s_barrier
	ds_read_b32 v10, v14
	v_cmp_eq_u32_e64 s[2:3], 0, v0
	s_waitcnt lgkmcnt(0)
	v_mov_b32_dpp v11, v10 quad_perm:[1,0,3,2] row_mask:0xf bank_mask:0xf
	v_cmp_gt_f32_e32 vcc, v10, v11
	v_cndmask_b32_e32 v10, v11, v10, vcc
	v_mul_f32_e32 v13, 0x3b124925, v10
	v_pk_mov_b32 v[10:11], s[6:7], s[6:7] op_sel:[0,1]
.LBB8_46:
	s_and_saveexec_b64 s[0:1], s[2:3]
	s_cbranch_execz .LBB8_48
; %bb.47:
	v_lshlrev_b64 v[10:11], 2, v[10:11]
	v_mov_b32_e32 v0, s21
	v_add_co_u32_e32 v10, vcc, s20, v10
	v_addc_co_u32_e32 v11, vcc, v0, v11, vcc
	global_store_dword v[10:11], v13, off
.LBB8_48:
	s_or_b64 exec, exec, s[0:1]
	s_add_i32 s0, s9, 3
	;;#ASMSTART
	v_rcp_f32 v10, v13
	;;#ASMEND
	v_mov_b32_e32 v11, v10
	;;#ASMSTART
	v_pk_mul_f32 v[8:9], v[8:9], v[10:11]
	;;#ASMEND
	s_ashr_i32 s1, s0, 31
	v_mov_b32_e32 v0, 0xc3e00000
	v_mov_b32_e32 v12, 0x43e00000
	;;#ASMSTART
	v_med3_f32 v8, v8, v0, v12
v_med3_f32 v9, v9, v0, v12
v_cvt_pk_fp8_f32 v13, v8, v9
	;;#ASMEND
	;;#ASMSTART
	v_pk_mul_f32 v[6:7], v[6:7], v[10:11]
	;;#ASMEND
	s_lshr_b32 s1, s1, 30
	;;#ASMSTART
	v_med3_f32 v6, v6, v0, v12
v_med3_f32 v7, v7, v0, v12
v_cvt_pk_fp8_f32 v8, v6, v7
	;;#ASMEND
	s_mov_b32 s5, 0x5040100
	s_add_i32 s0, s0, s1
	v_perm_b32 v7, v8, v13, s5
	s_movk_i32 s5, 0xff
	s_and_b32 s2, s0, -4
	s_ashr_i32 s0, s13, 31
	v_and_b32_e32 v6, 0xffffff00, v8
	v_and_b32_sdwa v8, v7, s5 dst_sel:DWORD dst_unused:UNUSED_PAD src0_sel:WORD_1 src1_sel:DWORD
	s_mul_hi_u32 s1, s13, s6
	s_mul_i32 s0, s0, s6
	s_mov_b32 s4, 0xffff
	v_or_b32_sdwa v6, v8, v6 dst_sel:WORD_1 dst_unused:UNUSED_PAD src0_sel:DWORD src1_sel:DWORD
	;;#ASMSTART
	v_pk_mul_f32 v[4:5], v[4:5], v[10:11]
	;;#ASMEND
	s_add_i32 s1, s1, s0
	s_mul_i32 s0, s13, s6
	v_and_or_b32 v6, v7, s4, v6
	;;#ASMSTART
	v_med3_f32 v4, v4, v0, v12
v_med3_f32 v5, v5, v0, v12
v_cvt_pk_fp8_f32 v7, v4, v5
	;;#ASMEND
	;;#ASMSTART
	v_pk_mul_f32 v[2:3], v[2:3], v[10:11]
	;;#ASMEND
	s_add_u32 s0, s16, s0
	;;#ASMSTART
	v_med3_f32 v2, v2, v0, v12
v_med3_f32 v3, v3, v0, v12
v_cvt_pk_fp8_f32 v0, v2, v3
	;;#ASMEND
	s_addc_u32 s1, s17, s1
	v_lshlrev_b32_e32 v0, 16, v0
	s_and_b32 s1, s1, 0xffff
	s_mov_b32 s3, 0x20000
	v_and_or_b32 v7, v7, s4, v0
	buffer_store_dwordx2 v[6:7], v1, s[0:3], 0 offen
	;;#ASMSTART
	s_nop 0
	;;#ASMEND
.LBB8_49:
	s_endpgm
.LBB8_50:
                                        ; implicit-def: $vgpr10_vgpr11
	s_branch .LBB8_37
	.section	.rodata,"a",@progbits
	.p2align	6, 0x0
	.amdhsa_kernel _ZN5aiter24add_rmsnorm_quant_kernelItDB8_Li128ELi8ELb1ELb1ELb0ELi1EEEvPT0_PT_PfS5_S5_S5_diiiiiiib
		.amdhsa_group_segment_fixed_size 16
		.amdhsa_private_segment_fixed_size 0
		.amdhsa_kernarg_size 88
		.amdhsa_user_sgpr_count 6
		.amdhsa_user_sgpr_private_segment_buffer 1
		.amdhsa_user_sgpr_dispatch_ptr 0
		.amdhsa_user_sgpr_queue_ptr 0
		.amdhsa_user_sgpr_kernarg_segment_ptr 1
		.amdhsa_user_sgpr_dispatch_id 0
		.amdhsa_user_sgpr_flat_scratch_init 0
		.amdhsa_user_sgpr_kernarg_preload_length 0
		.amdhsa_user_sgpr_kernarg_preload_offset 0
		.amdhsa_user_sgpr_private_segment_size 0
		.amdhsa_uses_dynamic_stack 0
		.amdhsa_system_sgpr_private_segment_wavefront_offset 0
		.amdhsa_system_sgpr_workgroup_id_x 1
		.amdhsa_system_sgpr_workgroup_id_y 0
		.amdhsa_system_sgpr_workgroup_id_z 0
		.amdhsa_system_sgpr_workgroup_info 0
		.amdhsa_system_vgpr_workitem_id 0
		.amdhsa_next_free_vgpr 27
		.amdhsa_next_free_sgpr 40
		.amdhsa_accum_offset 28
		.amdhsa_reserve_vcc 1
		.amdhsa_reserve_flat_scratch 0
		.amdhsa_float_round_mode_32 0
		.amdhsa_float_round_mode_16_64 0
		.amdhsa_float_denorm_mode_32 3
		.amdhsa_float_denorm_mode_16_64 3
		.amdhsa_dx10_clamp 1
		.amdhsa_ieee_mode 1
		.amdhsa_fp16_overflow 0
		.amdhsa_tg_split 0
		.amdhsa_exception_fp_ieee_invalid_op 0
		.amdhsa_exception_fp_denorm_src 0
		.amdhsa_exception_fp_ieee_div_zero 0
		.amdhsa_exception_fp_ieee_overflow 0
		.amdhsa_exception_fp_ieee_underflow 0
		.amdhsa_exception_fp_ieee_inexact 0
		.amdhsa_exception_int_div_zero 0
	.end_amdhsa_kernel
	.section	.text._ZN5aiter24add_rmsnorm_quant_kernelItDB8_Li128ELi8ELb1ELb1ELb0ELi1EEEvPT0_PT_PfS5_S5_S5_diiiiiiib,"axG",@progbits,_ZN5aiter24add_rmsnorm_quant_kernelItDB8_Li128ELi8ELb1ELb1ELb0ELi1EEEvPT0_PT_PfS5_S5_S5_diiiiiiib,comdat
.Lfunc_end8:
	.size	_ZN5aiter24add_rmsnorm_quant_kernelItDB8_Li128ELi8ELb1ELb1ELb0ELi1EEEvPT0_PT_PfS5_S5_S5_diiiiiiib, .Lfunc_end8-_ZN5aiter24add_rmsnorm_quant_kernelItDB8_Li128ELi8ELb1ELb1ELb0ELi1EEEvPT0_PT_PfS5_S5_S5_diiiiiiib
                                        ; -- End function
	.section	.AMDGPU.csdata,"",@progbits
; Kernel info:
; codeLenInByte = 3368
; NumSgprs: 44
; NumVgprs: 27
; NumAgprs: 0
; TotalNumVgprs: 27
; ScratchSize: 0
; MemoryBound: 0
; FloatMode: 240
; IeeeMode: 1
; LDSByteSize: 16 bytes/workgroup (compile time only)
; SGPRBlocks: 5
; VGPRBlocks: 3
; NumSGPRsForWavesPerEU: 44
; NumVGPRsForWavesPerEU: 27
; AccumOffset: 28
; Occupancy: 8
; WaveLimiterHint : 0
; COMPUTE_PGM_RSRC2:SCRATCH_EN: 0
; COMPUTE_PGM_RSRC2:USER_SGPR: 6
; COMPUTE_PGM_RSRC2:TRAP_HANDLER: 0
; COMPUTE_PGM_RSRC2:TGID_X_EN: 1
; COMPUTE_PGM_RSRC2:TGID_Y_EN: 0
; COMPUTE_PGM_RSRC2:TGID_Z_EN: 0
; COMPUTE_PGM_RSRC2:TIDIG_COMP_CNT: 0
; COMPUTE_PGM_RSRC3_GFX90A:ACCUM_OFFSET: 6
; COMPUTE_PGM_RSRC3_GFX90A:TG_SPLIT: 0
	.section	.text._ZN5aiter24add_rmsnorm_quant_kernelIDF16_DB8_Li256ELi8ELb1ELb1ELb1ELi1EEEvPT0_PT_PfS5_S5_S5_diiiiiiib,"axG",@progbits,_ZN5aiter24add_rmsnorm_quant_kernelIDF16_DB8_Li256ELi8ELb1ELb1ELb1ELi1EEEvPT0_PT_PfS5_S5_S5_diiiiiiib,comdat
	.protected	_ZN5aiter24add_rmsnorm_quant_kernelIDF16_DB8_Li256ELi8ELb1ELb1ELb1ELi1EEEvPT0_PT_PfS5_S5_S5_diiiiiiib ; -- Begin function _ZN5aiter24add_rmsnorm_quant_kernelIDF16_DB8_Li256ELi8ELb1ELb1ELb1ELi1EEEvPT0_PT_PfS5_S5_S5_diiiiiiib
	.globl	_ZN5aiter24add_rmsnorm_quant_kernelIDF16_DB8_Li256ELi8ELb1ELb1ELb1ELi1EEEvPT0_PT_PfS5_S5_S5_diiiiiiib
	.p2align	8
	.type	_ZN5aiter24add_rmsnorm_quant_kernelIDF16_DB8_Li256ELi8ELb1ELb1ELb1ELi1EEEvPT0_PT_PfS5_S5_S5_diiiiiiib,@function
_ZN5aiter24add_rmsnorm_quant_kernelIDF16_DB8_Li256ELi8ELb1ELb1ELb1ELi1EEEvPT0_PT_PfS5_S5_S5_diiiiiiib: ; @_ZN5aiter24add_rmsnorm_quant_kernelIDF16_DB8_Li256ELi8ELb1ELb1ELb1ELi1EEEvPT0_PT_PfS5_S5_S5_diiiiiiib
; %bb.0:
	s_load_dwordx8 s[8:15], s[4:5], 0x38
	s_mov_b32 s7, 0
	s_waitcnt lgkmcnt(0)
	s_ashr_i32 s0, s8, 31
	v_mov_b32_e32 v2, s8
	v_mov_b32_e32 v3, s0
	v_cmp_ge_i64_e32 vcc, s[6:7], v[2:3]
	s_cbranch_vccnz .LBB9_49
; %bb.1:
	s_load_dwordx8 s[16:23], s[4:5], 0x0
	s_load_dwordx8 s[24:31], s[4:5], 0x20
	s_ashr_i32 s0, s10, 31
	s_mul_hi_u32 s1, s10, s6
	s_mul_i32 s0, s0, s6
	s_add_i32 s1, s1, s0
	s_mul_i32 s0, s10, s6
	s_lshl_b64 s[0:1], s[0:1], 1
	s_waitcnt lgkmcnt(0)
	s_add_u32 s0, s22, s0
	s_addc_u32 s1, s23, s1
	s_add_i32 s2, s9, 1
	s_lshr_b32 s3, s2, 31
	s_add_i32 s2, s2, s3
	s_lshl_b32 s2, s2, 1
	s_and_b32 s2, s2, -4
	s_and_b32 s1, s1, 0xffff
	s_mov_b32 s3, 0x20000
	v_lshlrev_b32_e32 v1, 4, v0
	buffer_load_dwordx4 v[6:9], v1, s[0:3], 0 offen glc slc
	s_ashr_i32 s0, s11, 31
	s_mul_hi_u32 s1, s11, s6
	s_mul_i32 s0, s0, s6
	s_add_i32 s1, s1, s0
	s_mul_i32 s0, s11, s6
	s_and_b32 s37, s27, 0xffff
	s_lshl_b64 s[0:1], s[0:1], 1
	s_add_u32 s0, s24, s0
	s_addc_u32 s1, s25, s1
	s_and_b32 s1, s1, 0xffff
	buffer_load_dwordx4 v[10:13], v1, s[0:3], 0 offen glc slc
	s_mov_b32 s39, s3
	s_mov_b32 s36, s26
	;; [unrolled: 1-line block ×3, first 2 shown]
	buffer_load_dwordx4 v[2:5], v1, s[36:39], 0 offen
	s_ashr_i32 s4, s12, 31
	s_mul_hi_u32 s1, s12, s6
	s_mul_i32 s4, s4, s6
	s_mul_i32 s0, s12, s6
	s_add_i32 s1, s1, s4
	s_lshl_b64 s[0:1], s[0:1], 1
	s_add_u32 s0, s18, s0
	s_addc_u32 s1, s19, s1
	s_and_b32 s1, s1, 0xffff
	v_and_b32_e32 v24, 63, v0
	s_waitcnt vmcnt(2)
	v_cvt_f32_f16_e32 v14, v6
	v_cvt_f32_f16_sdwa v15, v6 dst_sel:DWORD dst_unused:UNUSED_PAD src0_sel:WORD_1
	v_cvt_f32_f16_e32 v6, v7
	v_cvt_f32_f16_sdwa v7, v7 dst_sel:DWORD dst_unused:UNUSED_PAD src0_sel:WORD_1
	;; [unrolled: 2-line block ×4, first 2 shown]
	s_waitcnt vmcnt(1)
	v_cvt_f32_f16_e32 v8, v10
	v_cvt_f32_f16_sdwa v9, v10 dst_sel:DWORD dst_unused:UNUSED_PAD src0_sel:WORD_1
	v_cvt_f32_f16_e32 v10, v11
	v_cvt_f32_f16_sdwa v11, v11 dst_sel:DWORD dst_unused:UNUSED_PAD src0_sel:WORD_1
	;; [unrolled: 2-line block ×4, first 2 shown]
	v_pk_add_f32 v[12:13], v[14:15], v[8:9]
	v_pk_add_f32 v[10:11], v[6:7], v[10:11]
	;; [unrolled: 1-line block ×4, first 2 shown]
	v_cvt_f16_f32_e32 v22, v13
	v_cvt_f16_f32_e32 v23, v12
	;; [unrolled: 1-line block ×8, first 2 shown]
	v_pk_mul_f32 v[14:15], v[12:13], v[12:13]
	v_pk_mul_f32 v[16:17], v[10:11], v[10:11]
	v_add_f32_e32 v14, v14, v15
	v_add_f32_e32 v14, v16, v14
	v_pk_mul_f32 v[18:19], v[8:9], v[8:9]
	v_add_f32_e32 v31, v17, v14
	v_pack_b32_f16 v17, v30, v29
	v_pack_b32_f16 v16, v28, v27
	;; [unrolled: 1-line block ×4, first 2 shown]
	v_add_f32_e32 v18, v18, v31
	v_pk_mul_f32 v[20:21], v[6:7], v[6:7]
	buffer_store_dwordx4 v[14:17], v1, s[0:3], 0 offen glc slc
	v_add_f32_e32 v1, v19, v18
	v_add_f32_e32 v1, v20, v1
	;; [unrolled: 1-line block ×3, first 2 shown]
	v_cmp_eq_u32_e64 s[0:1], 63, v24
	;;#ASMSTART
	s_nop 0
	;;#ASMEND
	s_nop 0
	v_mov_b32_dpp v14, v1 quad_perm:[1,0,3,2] row_mask:0xf bank_mask:0xf
	v_add_f32_e32 v1, v1, v14
	s_nop 1
	v_mov_b32_dpp v14, v1 quad_perm:[2,3,0,1] row_mask:0xf bank_mask:0xf
	v_add_f32_e32 v1, v1, v14
	s_nop 1
	v_mov_b32_dpp v14, v1 row_half_mirror row_mask:0xf bank_mask:0xf
	v_add_f32_e32 v1, v1, v14
	s_nop 1
	v_mov_b32_dpp v14, v1 row_mirror row_mask:0xf bank_mask:0xf
	v_add_f32_e32 v1, v1, v14
	s_nop 1
	v_mov_b32_dpp v14, v1 row_bcast:15 row_mask:0xf bank_mask:0xf
	v_add_f32_e32 v1, v1, v14
	s_nop 1
	v_mov_b32_dpp v14, v1 row_bcast:31 row_mask:0xf bank_mask:0xf
	s_and_saveexec_b64 s[2:3], s[0:1]
	s_cbranch_execz .LBB9_3
; %bb.2:
	v_lshrrev_b32_e32 v15, 4, v0
	v_and_b32_e32 v15, 60, v15
	v_add_f32_e32 v1, v1, v14
	ds_write_b32 v15, v1 offset:16
.LBB9_3:
	s_or_b64 exec, exec, s[2:3]
	v_and_b32_e32 v1, 3, v0
	v_lshlrev_b32_e32 v14, 2, v1
	s_waitcnt lgkmcnt(0)
	s_barrier
	ds_read_b32 v1, v14 offset:16
	v_cvt_f32_i32_e32 v15, s9
	s_waitcnt vmcnt(1)
	v_cvt_f32_f16_sdwa v21, v3 dst_sel:DWORD dst_unused:UNUSED_PAD src0_sel:WORD_1
	v_cvt_f32_f16_sdwa v23, v5 dst_sel:DWORD dst_unused:UNUSED_PAD src0_sel:WORD_1
	v_cvt_f32_f16_e32 v22, v5
	s_waitcnt lgkmcnt(0)
	v_mov_b32_dpp v16, v1 quad_perm:[1,0,3,2] row_mask:0xf bank_mask:0xf
	v_add_f32_e32 v1, v1, v16
	s_cmp_lg_u32 s14, 0
	s_nop 0
	v_mov_b32_dpp v16, v1 quad_perm:[2,3,0,1] row_mask:0xf bank_mask:0xf
	v_add_f32_e32 v1, v1, v16
	v_div_scale_f32 v16, s[2:3], v15, v15, v1
	v_rcp_f32_e32 v17, v16
	v_div_scale_f32 v18, vcc, v1, v15, v1
	s_mov_b32 s2, 0x800000
	v_fma_f32 v19, -v16, v17, 1.0
	v_fmac_f32_e32 v17, v19, v17
	v_mul_f32_e32 v19, v18, v17
	v_fma_f32 v20, -v16, v19, v18
	v_fmac_f32_e32 v19, v20, v17
	v_fma_f32 v16, -v16, v19, v18
	v_div_fmas_f32 v16, v16, v17, v19
	v_div_fixup_f32 v1, v16, v15, v1
	v_cvt_f64_f32_e32 v[16:17], v1
	v_add_f64 v[16:17], v[16:17], s[28:29]
	v_cvt_f32_f64_e32 v1, v[16:17]
	v_mul_f32_e32 v15, 0x4b800000, v1
	v_cmp_gt_f32_e32 vcc, s2, v1
	v_cndmask_b32_e32 v1, v1, v15, vcc
	v_rsq_f32_e32 v15, v1
	v_cvt_f32_f16_e32 v20, v3
	v_cvt_f32_f16_sdwa v3, v4 dst_sel:DWORD dst_unused:UNUSED_PAD src0_sel:WORD_1
	v_lshlrev_b32_e32 v1, 3, v0
	v_mul_f32_e32 v16, 0x45800000, v15
	v_cndmask_b32_e32 v16, v15, v16, vcc
	v_mov_b32_e32 v17, v16
	;;#ASMSTART
	v_pk_mul_f32 v[12:13], v[12:13], v[16:17]
	;;#ASMEND
	;;#ASMSTART
	v_pk_mul_f32 v[10:11], v[10:11], v[16:17]
	;;#ASMEND
	;; [unrolled: 3-line block ×4, first 2 shown]
	v_cvt_f32_f16_sdwa v7, v2 dst_sel:DWORD dst_unused:UNUSED_PAD src0_sel:WORD_1
	v_cvt_f32_f16_e32 v6, v2
	v_cvt_f32_f16_e32 v2, v4
	;;#ASMSTART
	v_pk_mul_f32 v[8:9], v[12:13], v[6:7]
	;;#ASMEND
	;;#ASMSTART
	v_pk_mul_f32 v[6:7], v[10:11], v[20:21]
	;;#ASMEND
	v_and_b32_e32 v10, 0x7fffffff, v8
	v_mov_b32_e32 v12, 0x2edbe6ff
	;;#ASMSTART
	v_pk_mul_f32 v[4:5], v[18:19], v[2:3]
	;;#ASMEND
	;;#ASMSTART
	v_pk_mul_f32 v[2:3], v[16:17], v[22:23]
	;;#ASMEND
	v_and_b32_e32 v11, 0x7fffffff, v9
	;;#ASMSTART
	v_max3_f32 v10, v12, v10, v11

	;;#ASMEND
	v_and_b32_e32 v12, 0x7fffffff, v7
	v_and_b32_e32 v11, 0x7fffffff, v6
	;;#ASMSTART
	v_max3_f32 v10, v10, v11, v12

	;;#ASMEND
	v_and_b32_e32 v12, 0x7fffffff, v5
	;; [unrolled: 6-line block ×3, first 2 shown]
	v_and_b32_e32 v11, 0x7fffffff, v2
	;;#ASMSTART
	v_max3_f32 v12, v10, v11, v12

	;;#ASMEND
	s_cbranch_scc0 .LBB9_10
; %bb.4:
	s_ashr_i32 s12, s14, 31
	s_lshr_b32 s2, s12, 29
	s_add_i32 s2, s14, s2
	s_ashr_i32 s10, s2, 3
	s_cmp_lt_i32 s10, 16
	s_cbranch_scc1 .LBB9_11
; %bb.5:
	s_cmp_lt_i32 s10, 32
	s_cbranch_scc1 .LBB9_12
; %bb.6:
	;; [unrolled: 3-line block ×3, first 2 shown]
	s_cmp_eq_u32 s10, 64
	v_mov_b32_e32 v10, v12
	s_cbranch_scc0 .LBB9_9
; %bb.8:
	s_nop 0
	v_mov_b32_dpp v10, v12 quad_perm:[1,0,3,2] row_mask:0xf bank_mask:0xf
	v_cmp_gt_f32_e32 vcc, v12, v10
	v_cndmask_b32_e32 v10, v10, v12, vcc
	v_bfrev_b32_e32 v13, 0.5
	s_nop 0
	v_mov_b32_dpp v11, v10 quad_perm:[2,3,0,1] row_mask:0xf bank_mask:0xf
	v_cmp_gt_f32_e32 vcc, v10, v11
	v_cndmask_b32_e32 v10, v11, v10, vcc
	s_nop 1
	v_mov_b32_dpp v11, v10 row_ror:4 row_mask:0xf bank_mask:0xf
	v_cmp_gt_f32_e32 vcc, v10, v11
	v_cndmask_b32_e32 v10, v11, v10, vcc
	s_nop 1
	v_mov_b32_dpp v11, v10 row_ror:8 row_mask:0xf bank_mask:0xf
	v_cmp_gt_f32_e32 vcc, v10, v11
	v_cndmask_b32_e32 v10, v11, v10, vcc
	s_nop 1
	v_mov_b32_dpp v11, v10 row_bcast:15 row_mask:0xf bank_mask:0xf
	v_cmp_gt_f32_e32 vcc, v10, v11
	v_cndmask_b32_e32 v10, v11, v10, vcc
	s_nop 1
	v_mov_b32_dpp v11, v10 row_bcast:31 row_mask:0xf bank_mask:0xf
	v_cmp_gt_f32_e32 vcc, v10, v11
	v_cndmask_b32_e32 v10, v11, v10, vcc
	v_mbcnt_lo_u32_b32 v11, -1, 0
	v_mbcnt_hi_u32_b32 v11, -1, v11
	v_lshl_or_b32 v11, v11, 2, v13
	ds_bpermute_b32 v10, v11, v10
.LBB9_9:
	s_mov_b64 s[2:3], 0
	s_branch .LBB9_14
.LBB9_10:
	s_mov_b64 s[2:3], 0
                                        ; implicit-def: $vgpr13
                                        ; implicit-def: $vgpr10_vgpr11
	s_cbranch_execnz .LBB9_43
	s_branch .LBB9_46
.LBB9_11:
                                        ; implicit-def: $vgpr10
	s_branch .LBB9_21
.LBB9_12:
                                        ; implicit-def: $vgpr10
	s_branch .LBB9_18
.LBB9_13:
	s_mov_b64 s[2:3], -1
                                        ; implicit-def: $vgpr10
.LBB9_14:
	s_andn2_b64 vcc, exec, s[2:3]
	s_cbranch_vccnz .LBB9_17
; %bb.15:
	s_cmp_eq_u32 s10, 32
	s_waitcnt lgkmcnt(0)
	v_mov_b32_e32 v10, v12
	s_cbranch_scc0 .LBB9_17
; %bb.16:
	s_nop 0
	v_mov_b32_dpp v10, v12 quad_perm:[1,0,3,2] row_mask:0xf bank_mask:0xf
	v_cmp_gt_f32_e32 vcc, v12, v10
	v_cndmask_b32_e32 v10, v10, v12, vcc
	v_mov_b32_e32 v13, 0x7c
	s_nop 0
	v_mov_b32_dpp v11, v10 quad_perm:[2,3,0,1] row_mask:0xf bank_mask:0xf
	v_cmp_gt_f32_e32 vcc, v10, v11
	v_cndmask_b32_e32 v10, v11, v10, vcc
	s_nop 1
	v_mov_b32_dpp v11, v10 row_half_mirror row_mask:0xf bank_mask:0xf
	v_cmp_gt_f32_e32 vcc, v10, v11
	v_cndmask_b32_e32 v10, v11, v10, vcc
	s_nop 1
	v_mov_b32_dpp v11, v10 row_mirror row_mask:0xf bank_mask:0xf
	v_cmp_gt_f32_e32 vcc, v10, v11
	v_cndmask_b32_e32 v10, v11, v10, vcc
	s_nop 1
	v_mov_b32_dpp v11, v10 row_bcast:15 row_mask:0xa bank_mask:0xf
	v_cmp_gt_f32_e32 vcc, v10, v11
	v_cndmask_b32_e32 v10, v11, v10, vcc
	v_mbcnt_lo_u32_b32 v11, -1, 0
	v_mbcnt_hi_u32_b32 v11, -1, v11
	v_lshl_or_b32 v11, v11, 2, v13
	ds_bpermute_b32 v10, v11, v10
.LBB9_17:
	s_cbranch_execnz .LBB9_20
.LBB9_18:
	s_cmp_eq_u32 s10, 16
	s_waitcnt lgkmcnt(0)
	v_mov_b32_e32 v10, v12
	s_cbranch_scc0 .LBB9_20
; %bb.19:
	s_nop 0
	v_mov_b32_dpp v10, v12 quad_perm:[1,0,3,2] row_mask:0xf bank_mask:0xf
	v_cmp_gt_f32_e32 vcc, v12, v10
	v_cndmask_b32_e32 v10, v10, v12, vcc
	s_nop 1
	v_mov_b32_dpp v11, v10 quad_perm:[2,3,0,1] row_mask:0xf bank_mask:0xf
	v_cmp_gt_f32_e32 vcc, v10, v11
	v_cndmask_b32_e32 v10, v11, v10, vcc
	s_nop 1
	v_mov_b32_dpp v11, v10 row_half_mirror row_mask:0xf bank_mask:0xf
	v_cmp_gt_f32_e32 vcc, v10, v11
	v_cndmask_b32_e32 v10, v11, v10, vcc
	s_nop 1
	v_mov_b32_dpp v11, v10 row_mirror row_mask:0xf bank_mask:0xf
	v_cmp_gt_f32_e32 vcc, v10, v11
	v_cndmask_b32_e32 v10, v11, v10, vcc
.LBB9_20:
	s_cbranch_execnz .LBB9_33
.LBB9_21:
	s_cmp_lt_i32 s10, 4
	s_cbranch_scc1 .LBB9_25
; %bb.22:
	s_cmp_lt_i32 s10, 8
	s_cbranch_scc1 .LBB9_26
; %bb.23:
	s_cmp_eq_u32 s10, 8
	s_waitcnt lgkmcnt(0)
	v_mov_b32_e32 v10, v12
	s_cbranch_scc0 .LBB9_27
; %bb.24:
	s_nop 0
	v_mov_b32_dpp v10, v12 quad_perm:[1,0,3,2] row_mask:0xf bank_mask:0xf
	v_cmp_gt_f32_e32 vcc, v12, v10
	v_cndmask_b32_e32 v10, v10, v12, vcc
	s_nop 1
	v_mov_b32_dpp v11, v10 quad_perm:[2,3,0,1] row_mask:0xf bank_mask:0xf
	v_cmp_gt_f32_e32 vcc, v10, v11
	v_cndmask_b32_e32 v10, v11, v10, vcc
	s_nop 1
	v_mov_b32_dpp v11, v10 row_half_mirror row_mask:0xf bank_mask:0xf
	v_cmp_gt_f32_e32 vcc, v10, v11
	v_cndmask_b32_e32 v10, v11, v10, vcc
	s_cbranch_execz .LBB9_28
	s_branch .LBB9_30
.LBB9_25:
                                        ; implicit-def: $vgpr10
	s_branch .LBB9_31
.LBB9_26:
                                        ; implicit-def: $vgpr10
	s_branch .LBB9_28
.LBB9_27:
	s_cbranch_execnz .LBB9_30
.LBB9_28:
	s_cmp_eq_u32 s10, 4
	s_waitcnt lgkmcnt(0)
	v_mov_b32_e32 v10, v12
	s_cbranch_scc0 .LBB9_30
; %bb.29:
	s_nop 0
	v_mov_b32_dpp v10, v12 quad_perm:[1,0,3,2] row_mask:0xf bank_mask:0xf
	v_cmp_gt_f32_e32 vcc, v12, v10
	v_cndmask_b32_e32 v10, v10, v12, vcc
	s_nop 1
	v_mov_b32_dpp v11, v10 quad_perm:[2,3,0,1] row_mask:0xf bank_mask:0xf
	v_cmp_gt_f32_e32 vcc, v10, v11
	v_cndmask_b32_e32 v10, v11, v10, vcc
.LBB9_30:
	s_cbranch_execnz .LBB9_33
.LBB9_31:
	s_cmp_lg_u32 s10, 2
	s_waitcnt lgkmcnt(0)
	v_mov_b32_e32 v10, v12
	s_cbranch_scc1 .LBB9_33
; %bb.32:
	s_nop 0
	v_mov_b32_dpp v10, v12 quad_perm:[1,0,3,2] row_mask:0xf bank_mask:0xf
	v_cmp_gt_f32_e32 vcc, v12, v10
	v_cndmask_b32_e32 v10, v10, v12, vcc
.LBB9_33:
	v_cvt_f32_u32_e32 v11, s10
	s_waitcnt lgkmcnt(0)
	v_mul_f32_e32 v13, 0x3b124925, v10
	s_sub_i32 s2, 0, s10
	v_cmp_gt_u32_e32 vcc, s9, v1
	v_rcp_iflag_f32_e32 v11, v11
	s_mov_b64 s[4:5], 0
	v_mul_f32_e32 v10, 0x4f7ffffe, v11
	v_cvt_u32_f32_e32 v10, v10
	v_mul_lo_u32 v11, s2, v10
	v_mul_hi_u32 v11, v10, v11
	v_add_u32_e32 v10, v10, v11
	v_mul_hi_u32 v10, v0, v10
	v_mul_lo_u32 v11, v10, s10
	v_sub_u32_e32 v11, v0, v11
	v_add_u32_e32 v15, 1, v10
	v_cmp_le_u32_e64 s[2:3], s10, v11
	v_cndmask_b32_e64 v10, v10, v15, s[2:3]
	v_subrev_u32_e32 v15, s10, v11
	v_cndmask_b32_e64 v11, v11, v15, s[2:3]
	v_add_u32_e32 v15, 1, v10
	v_cmp_le_u32_e64 s[2:3], s10, v11
	v_cndmask_b32_e64 v15, v10, v15, s[2:3]
	v_mul_lo_u32 v10, v15, s10
	v_sub_u32_e32 v10, v0, v10
	v_cmp_eq_u32_e64 s[2:3], 0, v10
	s_and_b64 s[10:11], s[2:3], vcc
	s_mov_b64 s[2:3], 0
                                        ; implicit-def: $vgpr10_vgpr11
	s_and_saveexec_b64 s[18:19], s[10:11]
	s_xor_b64 s[10:11], exec, s[18:19]
	s_cbranch_execz .LBB9_42
; %bb.34:
	s_bitcmp0_b32 s15, 0
	s_cbranch_scc0 .LBB9_39
; %bb.35:
	s_ashr_i32 s2, s9, 31
	s_mul_hi_u32 s3, s9, s6
	s_mul_i32 s2, s2, s6
	s_add_i32 s19, s3, s2
	s_mul_i32 s18, s9, s6
	s_mov_b32 s15, s12
	s_or_b64 s[2:3], s[18:19], s[14:15]
	s_mov_b32 s2, 0
	s_cmp_lg_u64 s[2:3], 0
	s_cbranch_scc0 .LBB9_50
; %bb.36:
	s_add_u32 s2, s14, s15
	s_mov_b32 s24, s15
	s_mov_b32 s25, s15
	s_addc_u32 s3, s15, s15
	s_xor_b64 s[26:27], s[2:3], s[24:25]
	v_cvt_f32_u32_e32 v10, s26
	v_cvt_f32_u32_e32 v11, s27
	s_sub_u32 s2, 0, s26
	s_subb_u32 s3, 0, s27
	v_madmk_f32 v10, v11, 0x4f800000, v10
	v_rcp_f32_e32 v10, v10
	v_mul_f32_e32 v10, 0x5f7ffffc, v10
	v_mul_f32_e32 v11, 0x2f800000, v10
	v_trunc_f32_e32 v11, v11
	v_madmk_f32 v10, v11, 0xcf800000, v10
	v_cvt_u32_f32_e32 v11, v11
	v_cvt_u32_f32_e32 v10, v10
	v_readfirstlane_b32 s12, v11
	v_readfirstlane_b32 s15, v10
	s_mul_i32 s28, s2, s12
	s_mul_hi_u32 s30, s2, s15
	s_mul_i32 s29, s3, s15
	s_add_i32 s28, s30, s28
	s_add_i32 s28, s28, s29
	s_mul_i32 s31, s2, s15
	s_mul_hi_u32 s29, s15, s28
	s_mul_i32 s30, s15, s28
	s_mul_hi_u32 s15, s15, s31
	s_add_u32 s15, s15, s30
	s_addc_u32 s29, 0, s29
	s_mul_hi_u32 s33, s12, s31
	s_mul_i32 s31, s12, s31
	s_add_u32 s15, s15, s31
	s_mul_hi_u32 s30, s12, s28
	s_addc_u32 s15, s29, s33
	s_addc_u32 s29, s30, 0
	s_mul_i32 s28, s12, s28
	s_add_u32 s15, s15, s28
	s_addc_u32 s28, 0, s29
	v_add_co_u32_e32 v10, vcc, s15, v10
	s_cmp_lg_u64 vcc, 0
	s_addc_u32 s12, s12, s28
	v_readfirstlane_b32 s28, v10
	s_mul_i32 s15, s2, s12
	s_mul_hi_u32 s29, s2, s28
	s_add_i32 s15, s29, s15
	s_mul_i32 s3, s3, s28
	s_add_i32 s15, s15, s3
	s_mul_i32 s2, s2, s28
	s_mul_hi_u32 s29, s12, s2
	s_mul_i32 s30, s12, s2
	s_mul_i32 s33, s28, s15
	s_mul_hi_u32 s2, s28, s2
	s_mul_hi_u32 s31, s28, s15
	s_add_u32 s2, s2, s33
	s_addc_u32 s28, 0, s31
	s_add_u32 s2, s2, s30
	s_mul_hi_u32 s3, s12, s15
	s_addc_u32 s2, s28, s29
	s_addc_u32 s3, s3, 0
	s_mul_i32 s15, s12, s15
	s_add_u32 s2, s2, s15
	s_addc_u32 s3, 0, s3
	v_add_co_u32_e32 v10, vcc, s2, v10
	s_cmp_lg_u64 vcc, 0
	s_addc_u32 s12, s12, s3
	s_ashr_i32 s28, s19, 31
	s_add_u32 s2, s18, s28
	s_mov_b32 s29, s28
	s_addc_u32 s3, s19, s28
	s_xor_b64 s[30:31], s[2:3], s[28:29]
	v_readfirstlane_b32 s15, v10
	s_mul_i32 s3, s30, s12
	s_mul_hi_u32 s19, s30, s15
	s_mul_hi_u32 s2, s30, s12
	s_add_u32 s3, s19, s3
	s_addc_u32 s2, 0, s2
	s_mul_hi_u32 s33, s31, s15
	s_mul_i32 s15, s31, s15
	s_add_u32 s3, s3, s15
	s_mul_hi_u32 s19, s31, s12
	s_addc_u32 s2, s2, s33
	s_addc_u32 s3, s19, 0
	s_mul_i32 s12, s31, s12
	s_add_u32 s12, s2, s12
	s_addc_u32 s15, 0, s3
	s_mul_i32 s2, s26, s15
	s_mul_hi_u32 s3, s26, s12
	s_add_i32 s2, s3, s2
	s_mul_i32 s3, s27, s12
	s_add_i32 s19, s2, s3
	s_mul_i32 s3, s26, s12
	v_mov_b32_e32 v10, s3
	s_sub_i32 s2, s31, s19
	v_sub_co_u32_e32 v10, vcc, s30, v10
	s_cmp_lg_u64 vcc, 0
	s_subb_u32 s30, s2, s27
	v_subrev_co_u32_e64 v11, s[2:3], s26, v10
	s_cmp_lg_u64 s[2:3], 0
	s_subb_u32 s30, s30, 0
	s_cmp_ge_u32 s30, s27
	s_cselect_b32 s33, -1, 0
	v_cmp_le_u32_e64 s[2:3], s26, v11
	s_cmp_eq_u32 s30, s27
	v_cndmask_b32_e64 v11, 0, -1, s[2:3]
	v_mov_b32_e32 v16, s33
	s_cselect_b64 s[2:3], -1, 0
	v_cndmask_b32_e64 v11, v16, v11, s[2:3]
	s_add_u32 s2, s12, 1
	s_addc_u32 s30, s15, 0
	s_add_u32 s3, s12, 2
	s_addc_u32 s33, s15, 0
	v_mov_b32_e32 v16, s2
	v_mov_b32_e32 v17, s3
	v_cmp_ne_u32_e64 s[2:3], 0, v11
	v_cndmask_b32_e64 v11, v16, v17, s[2:3]
	v_mov_b32_e32 v16, s30
	v_mov_b32_e32 v17, s33
	s_cmp_lg_u64 vcc, 0
	v_cndmask_b32_e64 v16, v16, v17, s[2:3]
	s_subb_u32 s2, s31, s19
	s_cmp_ge_u32 s2, s27
	s_cselect_b32 s3, -1, 0
	v_cmp_le_u32_e32 vcc, s26, v10
	s_cmp_eq_u32 s2, s27
	v_cndmask_b32_e64 v10, 0, -1, vcc
	v_mov_b32_e32 v17, s3
	s_cselect_b64 vcc, -1, 0
	v_cndmask_b32_e32 v10, v17, v10, vcc
	v_mov_b32_e32 v17, s15
	v_cmp_ne_u32_e32 vcc, 0, v10
	v_cndmask_b32_e32 v10, v17, v16, vcc
	v_mov_b32_e32 v16, s12
	v_cndmask_b32_e32 v11, v16, v11, vcc
	s_xor_b64 s[2:3], s[28:29], s[24:25]
	v_xor_b32_e32 v11, s2, v11
	v_xor_b32_e32 v16, s3, v10
	v_mov_b32_e32 v17, s3
	v_subrev_co_u32_e32 v10, vcc, s2, v11
	v_subb_co_u32_e32 v11, vcc, v16, v17, vcc
	s_cbranch_execnz .LBB9_38
.LBB9_37:
	v_cvt_f32_u32_e32 v10, s14
	s_sub_i32 s2, 0, s14
	s_mov_b32 s3, 0
	v_rcp_iflag_f32_e32 v10, v10
	v_mul_f32_e32 v10, 0x4f7ffffe, v10
	v_cvt_u32_f32_e32 v10, v10
	v_readfirstlane_b32 s12, v10
	s_mul_i32 s2, s2, s12
	s_mul_hi_u32 s2, s12, s2
	s_add_i32 s12, s12, s2
	s_mul_hi_u32 s2, s18, s12
	s_mul_i32 s15, s2, s14
	s_sub_i32 s15, s18, s15
	s_add_i32 s12, s2, 1
	s_sub_i32 s18, s15, s14
	s_cmp_ge_u32 s15, s14
	s_cselect_b32 s2, s12, s2
	s_cselect_b32 s15, s18, s15
	s_add_i32 s12, s2, 1
	s_cmp_ge_u32 s15, s14
	s_cselect_b32 s2, s12, s2
	v_pk_mov_b32 v[10:11], s[2:3], s[2:3] op_sel:[0,1]
.LBB9_38:
	v_add_co_u32_e32 v10, vcc, v10, v15
	v_addc_co_u32_e32 v11, vcc, 0, v11, vcc
	s_branch .LBB9_41
.LBB9_39:
                                        ; implicit-def: $vgpr10_vgpr11
	s_cbranch_execz .LBB9_41
; %bb.40:
	v_mul_lo_u32 v10, v15, s8
	v_ashrrev_i32_e32 v11, 31, v10
	v_mov_b32_e32 v15, s7
	v_add_co_u32_e32 v10, vcc, s6, v10
	v_addc_co_u32_e32 v11, vcc, v11, v15, vcc
.LBB9_41:
	s_mov_b64 s[2:3], exec
.LBB9_42:
	s_or_b64 exec, exec, s[10:11]
	s_and_b64 vcc, exec, s[4:5]
	s_cbranch_vccz .LBB9_46
.LBB9_43:
	v_mov_b32_dpp v10, v12 quad_perm:[1,0,3,2] row_mask:0xf bank_mask:0xf
	v_cmp_gt_f32_e32 vcc, v12, v10
	v_cndmask_b32_e32 v10, v10, v12, vcc
	s_nop 1
	v_mov_b32_dpp v11, v10 quad_perm:[2,3,0,1] row_mask:0xf bank_mask:0xf
	v_cmp_gt_f32_e32 vcc, v10, v11
	v_cndmask_b32_e32 v10, v11, v10, vcc
	s_nop 1
	v_mov_b32_dpp v11, v10 row_half_mirror row_mask:0xf bank_mask:0xf
	v_cmp_gt_f32_e32 vcc, v10, v11
	v_cndmask_b32_e32 v10, v11, v10, vcc
	s_nop 1
	v_mov_b32_dpp v11, v10 row_mirror row_mask:0xf bank_mask:0xf
	v_cmp_gt_f32_e32 vcc, v10, v11
	v_cndmask_b32_e32 v10, v11, v10, vcc
	s_nop 1
	v_mov_b32_dpp v11, v10 row_bcast:15 row_mask:0xf bank_mask:0xf
	v_cmp_gt_f32_e32 vcc, v10, v11
	v_cndmask_b32_e32 v10, v11, v10, vcc
	s_nop 1
	v_mov_b32_dpp v11, v10 row_bcast:31 row_mask:0xf bank_mask:0xf
	s_and_saveexec_b64 s[2:3], s[0:1]
	s_cbranch_execz .LBB9_45
; %bb.44:
	v_lshrrev_b32_e32 v12, 4, v0
	v_cmp_gt_f32_e32 vcc, v10, v11
	v_and_b32_e32 v12, 60, v12
	v_cndmask_b32_e32 v10, v11, v10, vcc
	ds_write_b32 v12, v10
.LBB9_45:
	s_or_b64 exec, exec, s[2:3]
	s_waitcnt lgkmcnt(0)
	s_barrier
	ds_read_b32 v10, v14
	v_cmp_eq_u32_e64 s[2:3], 0, v0
	s_waitcnt lgkmcnt(0)
	v_mov_b32_dpp v11, v10 quad_perm:[1,0,3,2] row_mask:0xf bank_mask:0xf
	v_cmp_gt_f32_e32 vcc, v10, v11
	v_cndmask_b32_e32 v10, v11, v10, vcc
	s_nop 1
	v_mov_b32_dpp v11, v10 quad_perm:[2,3,0,1] row_mask:0xf bank_mask:0xf
	v_cmp_gt_f32_e32 vcc, v10, v11
	v_cndmask_b32_e32 v10, v11, v10, vcc
	v_mul_f32_e32 v13, 0x3b124925, v10
	v_pk_mov_b32 v[10:11], s[6:7], s[6:7] op_sel:[0,1]
.LBB9_46:
	s_and_saveexec_b64 s[0:1], s[2:3]
	s_cbranch_execz .LBB9_48
; %bb.47:
	v_lshlrev_b64 v[10:11], 2, v[10:11]
	v_mov_b32_e32 v0, s21
	v_add_co_u32_e32 v10, vcc, s20, v10
	v_addc_co_u32_e32 v11, vcc, v0, v11, vcc
	global_store_dword v[10:11], v13, off
.LBB9_48:
	s_or_b64 exec, exec, s[0:1]
	s_add_i32 s0, s9, 3
	;;#ASMSTART
	v_rcp_f32 v10, v13
	;;#ASMEND
	v_mov_b32_e32 v11, v10
	;;#ASMSTART
	v_pk_mul_f32 v[8:9], v[8:9], v[10:11]
	;;#ASMEND
	s_ashr_i32 s1, s0, 31
	v_mov_b32_e32 v0, 0xc3e00000
	v_mov_b32_e32 v12, 0x43e00000
	;;#ASMSTART
	v_med3_f32 v8, v8, v0, v12
v_med3_f32 v9, v9, v0, v12
v_cvt_pk_fp8_f32 v13, v8, v9
	;;#ASMEND
	;;#ASMSTART
	v_pk_mul_f32 v[6:7], v[6:7], v[10:11]
	;;#ASMEND
	s_lshr_b32 s1, s1, 30
	;;#ASMSTART
	v_med3_f32 v6, v6, v0, v12
v_med3_f32 v7, v7, v0, v12
v_cvt_pk_fp8_f32 v8, v6, v7
	;;#ASMEND
	s_mov_b32 s5, 0x5040100
	s_add_i32 s0, s0, s1
	v_perm_b32 v7, v8, v13, s5
	s_movk_i32 s5, 0xff
	s_and_b32 s2, s0, -4
	s_ashr_i32 s0, s13, 31
	v_and_b32_e32 v6, 0xffffff00, v8
	v_and_b32_sdwa v8, v7, s5 dst_sel:DWORD dst_unused:UNUSED_PAD src0_sel:WORD_1 src1_sel:DWORD
	s_mul_hi_u32 s1, s13, s6
	s_mul_i32 s0, s0, s6
	s_mov_b32 s4, 0xffff
	v_or_b32_sdwa v6, v8, v6 dst_sel:WORD_1 dst_unused:UNUSED_PAD src0_sel:DWORD src1_sel:DWORD
	;;#ASMSTART
	v_pk_mul_f32 v[4:5], v[4:5], v[10:11]
	;;#ASMEND
	s_add_i32 s1, s1, s0
	s_mul_i32 s0, s13, s6
	v_and_or_b32 v6, v7, s4, v6
	;;#ASMSTART
	v_med3_f32 v4, v4, v0, v12
v_med3_f32 v5, v5, v0, v12
v_cvt_pk_fp8_f32 v7, v4, v5
	;;#ASMEND
	;;#ASMSTART
	v_pk_mul_f32 v[2:3], v[2:3], v[10:11]
	;;#ASMEND
	s_add_u32 s0, s16, s0
	;;#ASMSTART
	v_med3_f32 v2, v2, v0, v12
v_med3_f32 v3, v3, v0, v12
v_cvt_pk_fp8_f32 v0, v2, v3
	;;#ASMEND
	s_addc_u32 s1, s17, s1
	v_lshlrev_b32_e32 v0, 16, v0
	s_and_b32 s1, s1, 0xffff
	s_mov_b32 s3, 0x20000
	v_and_or_b32 v7, v7, s4, v0
	buffer_store_dwordx2 v[6:7], v1, s[0:3], 0 offen
	;;#ASMSTART
	s_nop 0
	;;#ASMEND
.LBB9_49:
	s_endpgm
.LBB9_50:
                                        ; implicit-def: $vgpr10_vgpr11
	s_branch .LBB9_37
	.section	.rodata,"a",@progbits
	.p2align	6, 0x0
	.amdhsa_kernel _ZN5aiter24add_rmsnorm_quant_kernelIDF16_DB8_Li256ELi8ELb1ELb1ELb1ELi1EEEvPT0_PT_PfS5_S5_S5_diiiiiiib
		.amdhsa_group_segment_fixed_size 32
		.amdhsa_private_segment_fixed_size 0
		.amdhsa_kernarg_size 88
		.amdhsa_user_sgpr_count 6
		.amdhsa_user_sgpr_private_segment_buffer 1
		.amdhsa_user_sgpr_dispatch_ptr 0
		.amdhsa_user_sgpr_queue_ptr 0
		.amdhsa_user_sgpr_kernarg_segment_ptr 1
		.amdhsa_user_sgpr_dispatch_id 0
		.amdhsa_user_sgpr_flat_scratch_init 0
		.amdhsa_user_sgpr_kernarg_preload_length 0
		.amdhsa_user_sgpr_kernarg_preload_offset 0
		.amdhsa_user_sgpr_private_segment_size 0
		.amdhsa_uses_dynamic_stack 0
		.amdhsa_system_sgpr_private_segment_wavefront_offset 0
		.amdhsa_system_sgpr_workgroup_id_x 1
		.amdhsa_system_sgpr_workgroup_id_y 0
		.amdhsa_system_sgpr_workgroup_id_z 0
		.amdhsa_system_sgpr_workgroup_info 0
		.amdhsa_system_vgpr_workitem_id 0
		.amdhsa_next_free_vgpr 32
		.amdhsa_next_free_sgpr 40
		.amdhsa_accum_offset 32
		.amdhsa_reserve_vcc 1
		.amdhsa_reserve_flat_scratch 0
		.amdhsa_float_round_mode_32 0
		.amdhsa_float_round_mode_16_64 0
		.amdhsa_float_denorm_mode_32 3
		.amdhsa_float_denorm_mode_16_64 3
		.amdhsa_dx10_clamp 1
		.amdhsa_ieee_mode 1
		.amdhsa_fp16_overflow 0
		.amdhsa_tg_split 0
		.amdhsa_exception_fp_ieee_invalid_op 0
		.amdhsa_exception_fp_denorm_src 0
		.amdhsa_exception_fp_ieee_div_zero 0
		.amdhsa_exception_fp_ieee_overflow 0
		.amdhsa_exception_fp_ieee_underflow 0
		.amdhsa_exception_fp_ieee_inexact 0
		.amdhsa_exception_int_div_zero 0
	.end_amdhsa_kernel
	.section	.text._ZN5aiter24add_rmsnorm_quant_kernelIDF16_DB8_Li256ELi8ELb1ELb1ELb1ELi1EEEvPT0_PT_PfS5_S5_S5_diiiiiiib,"axG",@progbits,_ZN5aiter24add_rmsnorm_quant_kernelIDF16_DB8_Li256ELi8ELb1ELb1ELb1ELi1EEEvPT0_PT_PfS5_S5_S5_diiiiiiib,comdat
.Lfunc_end9:
	.size	_ZN5aiter24add_rmsnorm_quant_kernelIDF16_DB8_Li256ELi8ELb1ELb1ELb1ELi1EEEvPT0_PT_PfS5_S5_S5_diiiiiiib, .Lfunc_end9-_ZN5aiter24add_rmsnorm_quant_kernelIDF16_DB8_Li256ELi8ELb1ELb1ELb1ELi1EEEvPT0_PT_PfS5_S5_S5_diiiiiiib
                                        ; -- End function
	.section	.AMDGPU.csdata,"",@progbits
; Kernel info:
; codeLenInByte = 3380
; NumSgprs: 44
; NumVgprs: 32
; NumAgprs: 0
; TotalNumVgprs: 32
; ScratchSize: 0
; MemoryBound: 0
; FloatMode: 240
; IeeeMode: 1
; LDSByteSize: 32 bytes/workgroup (compile time only)
; SGPRBlocks: 5
; VGPRBlocks: 3
; NumSGPRsForWavesPerEU: 44
; NumVGPRsForWavesPerEU: 32
; AccumOffset: 32
; Occupancy: 8
; WaveLimiterHint : 0
; COMPUTE_PGM_RSRC2:SCRATCH_EN: 0
; COMPUTE_PGM_RSRC2:USER_SGPR: 6
; COMPUTE_PGM_RSRC2:TRAP_HANDLER: 0
; COMPUTE_PGM_RSRC2:TGID_X_EN: 1
; COMPUTE_PGM_RSRC2:TGID_Y_EN: 0
; COMPUTE_PGM_RSRC2:TGID_Z_EN: 0
; COMPUTE_PGM_RSRC2:TIDIG_COMP_CNT: 0
; COMPUTE_PGM_RSRC3_GFX90A:ACCUM_OFFSET: 7
; COMPUTE_PGM_RSRC3_GFX90A:TG_SPLIT: 0
	.section	.text._ZN5aiter24add_rmsnorm_quant_kernelItDB8_Li256ELi8ELb1ELb1ELb1ELi1EEEvPT0_PT_PfS5_S5_S5_diiiiiiib,"axG",@progbits,_ZN5aiter24add_rmsnorm_quant_kernelItDB8_Li256ELi8ELb1ELb1ELb1ELi1EEEvPT0_PT_PfS5_S5_S5_diiiiiiib,comdat
	.protected	_ZN5aiter24add_rmsnorm_quant_kernelItDB8_Li256ELi8ELb1ELb1ELb1ELi1EEEvPT0_PT_PfS5_S5_S5_diiiiiiib ; -- Begin function _ZN5aiter24add_rmsnorm_quant_kernelItDB8_Li256ELi8ELb1ELb1ELb1ELi1EEEvPT0_PT_PfS5_S5_S5_diiiiiiib
	.globl	_ZN5aiter24add_rmsnorm_quant_kernelItDB8_Li256ELi8ELb1ELb1ELb1ELi1EEEvPT0_PT_PfS5_S5_S5_diiiiiiib
	.p2align	8
	.type	_ZN5aiter24add_rmsnorm_quant_kernelItDB8_Li256ELi8ELb1ELb1ELb1ELi1EEEvPT0_PT_PfS5_S5_S5_diiiiiiib,@function
_ZN5aiter24add_rmsnorm_quant_kernelItDB8_Li256ELi8ELb1ELb1ELb1ELi1EEEvPT0_PT_PfS5_S5_S5_diiiiiiib: ; @_ZN5aiter24add_rmsnorm_quant_kernelItDB8_Li256ELi8ELb1ELb1ELb1ELi1EEEvPT0_PT_PfS5_S5_S5_diiiiiiib
; %bb.0:
	s_load_dwordx8 s[8:15], s[4:5], 0x38
	s_mov_b32 s7, 0
	s_waitcnt lgkmcnt(0)
	s_ashr_i32 s0, s8, 31
	v_mov_b32_e32 v2, s8
	v_mov_b32_e32 v3, s0
	v_cmp_ge_i64_e32 vcc, s[6:7], v[2:3]
	s_cbranch_vccnz .LBB10_49
; %bb.1:
	s_load_dwordx8 s[16:23], s[4:5], 0x0
	s_load_dwordx8 s[24:31], s[4:5], 0x20
	s_ashr_i32 s0, s10, 31
	s_mul_hi_u32 s1, s10, s6
	s_mul_i32 s0, s0, s6
	s_add_i32 s1, s1, s0
	s_mul_i32 s0, s10, s6
	s_lshl_b64 s[0:1], s[0:1], 1
	s_waitcnt lgkmcnt(0)
	s_add_u32 s0, s22, s0
	s_addc_u32 s1, s23, s1
	s_add_i32 s2, s9, 1
	s_lshr_b32 s3, s2, 31
	s_add_i32 s2, s2, s3
	s_lshl_b32 s2, s2, 1
	s_and_b32 s2, s2, -4
	s_and_b32 s1, s1, 0xffff
	s_mov_b32 s3, 0x20000
	v_lshlrev_b32_e32 v1, 4, v0
	buffer_load_dwordx4 v[6:9], v1, s[0:3], 0 offen glc slc
	s_ashr_i32 s0, s11, 31
	s_mul_hi_u32 s1, s11, s6
	s_mul_i32 s0, s0, s6
	s_add_i32 s1, s1, s0
	s_mul_i32 s0, s11, s6
	s_and_b32 s37, s27, 0xffff
	s_lshl_b64 s[0:1], s[0:1], 1
	s_add_u32 s0, s24, s0
	s_addc_u32 s1, s25, s1
	s_and_b32 s1, s1, 0xffff
	buffer_load_dwordx4 v[10:13], v1, s[0:3], 0 offen glc slc
	s_mov_b32 s39, s3
	s_mov_b32 s36, s26
	s_mov_b32 s38, s2
	buffer_load_dwordx4 v[2:5], v1, s[36:39], 0 offen
	s_ashr_i32 s5, s12, 31
	s_mul_hi_u32 s1, s12, s6
	s_mul_i32 s5, s5, s6
	s_mul_i32 s0, s12, s6
	s_add_i32 s1, s1, s5
	s_lshl_b64 s[0:1], s[0:1], 1
	s_add_u32 s0, s18, s0
	s_mov_b32 s4, 0x7060302
	s_addc_u32 s1, s19, s1
	s_and_b32 s1, s1, 0xffff
	v_and_b32_e32 v26, 63, v0
	s_waitcnt vmcnt(2)
	v_cvt_f32_u32_sdwa v15, v6 dst_sel:DWORD dst_unused:UNUSED_PAD src0_sel:WORD_1
	v_cvt_f32_u32_sdwa v14, v6 dst_sel:DWORD dst_unused:UNUSED_PAD src0_sel:WORD_0
	v_cvt_f32_u32_sdwa v17, v7 dst_sel:DWORD dst_unused:UNUSED_PAD src0_sel:WORD_1
	v_cvt_f32_u32_sdwa v16, v7 dst_sel:DWORD dst_unused:UNUSED_PAD src0_sel:WORD_0
	v_cvt_f32_u32_sdwa v7, v8 dst_sel:DWORD dst_unused:UNUSED_PAD src0_sel:WORD_1
	v_cvt_f32_u32_sdwa v6, v8 dst_sel:DWORD dst_unused:UNUSED_PAD src0_sel:WORD_0
	v_cvt_f32_u32_sdwa v19, v9 dst_sel:DWORD dst_unused:UNUSED_PAD src0_sel:WORD_1
	v_cvt_f32_u32_sdwa v18, v9 dst_sel:DWORD dst_unused:UNUSED_PAD src0_sel:WORD_0
	s_waitcnt vmcnt(1)
	v_cvt_f32_u32_sdwa v9, v10 dst_sel:DWORD dst_unused:UNUSED_PAD src0_sel:WORD_1
	v_cvt_f32_u32_sdwa v8, v10 dst_sel:DWORD dst_unused:UNUSED_PAD src0_sel:WORD_0
	v_cvt_f32_u32_sdwa v21, v11 dst_sel:DWORD dst_unused:UNUSED_PAD src0_sel:WORD_1
	v_cvt_f32_u32_sdwa v20, v11 dst_sel:DWORD dst_unused:UNUSED_PAD src0_sel:WORD_0
	;; [unrolled: 2-line block ×4, first 2 shown]
	v_pk_add_f32 v[12:13], v[14:15], v[8:9]
	v_pk_add_f32 v[10:11], v[16:17], v[20:21]
	;; [unrolled: 1-line block ×4, first 2 shown]
	v_perm_b32 v17, v7, v6, s4
	v_perm_b32 v16, v9, v8, s4
	;; [unrolled: 1-line block ×4, first 2 shown]
	v_pk_mul_f32 v[18:19], v[12:13], v[12:13]
	v_pk_mul_f32 v[20:21], v[10:11], v[10:11]
	buffer_store_dwordx4 v[14:17], v1, s[0:3], 0 offen glc slc
	v_add_f32_e32 v1, v18, v19
	v_add_f32_e32 v1, v20, v1
	v_pk_mul_f32 v[22:23], v[8:9], v[8:9]
	v_add_f32_e32 v1, v21, v1
	v_add_f32_e32 v1, v22, v1
	v_pk_mul_f32 v[24:25], v[6:7], v[6:7]
	v_add_f32_e32 v1, v23, v1
	v_add_f32_e32 v1, v24, v1
	;; [unrolled: 1-line block ×3, first 2 shown]
	v_cmp_eq_u32_e64 s[0:1], 63, v26
	;;#ASMSTART
	s_nop 0
	;;#ASMEND
	s_nop 0
	v_mov_b32_dpp v14, v1 quad_perm:[1,0,3,2] row_mask:0xf bank_mask:0xf
	v_add_f32_e32 v1, v1, v14
	s_nop 1
	v_mov_b32_dpp v14, v1 quad_perm:[2,3,0,1] row_mask:0xf bank_mask:0xf
	v_add_f32_e32 v1, v1, v14
	s_nop 1
	v_mov_b32_dpp v14, v1 row_half_mirror row_mask:0xf bank_mask:0xf
	v_add_f32_e32 v1, v1, v14
	s_nop 1
	v_mov_b32_dpp v14, v1 row_mirror row_mask:0xf bank_mask:0xf
	v_add_f32_e32 v1, v1, v14
	s_nop 1
	v_mov_b32_dpp v14, v1 row_bcast:15 row_mask:0xf bank_mask:0xf
	v_add_f32_e32 v1, v1, v14
	s_nop 1
	v_mov_b32_dpp v14, v1 row_bcast:31 row_mask:0xf bank_mask:0xf
	s_and_saveexec_b64 s[2:3], s[0:1]
	s_cbranch_execz .LBB10_3
; %bb.2:
	v_lshrrev_b32_e32 v15, 4, v0
	v_and_b32_e32 v15, 60, v15
	v_add_f32_e32 v1, v1, v14
	ds_write_b32 v15, v1 offset:16
.LBB10_3:
	s_or_b64 exec, exec, s[2:3]
	v_and_b32_e32 v1, 3, v0
	v_lshlrev_b32_e32 v14, 2, v1
	s_waitcnt lgkmcnt(0)
	s_barrier
	ds_read_b32 v1, v14 offset:16
	v_cvt_f32_i32_e32 v15, s9
	s_waitcnt vmcnt(1)
	v_cvt_f32_u32_sdwa v21, v3 dst_sel:DWORD dst_unused:UNUSED_PAD src0_sel:WORD_1
	v_cvt_f32_u32_sdwa v23, v5 dst_sel:DWORD dst_unused:UNUSED_PAD src0_sel:WORD_1
	v_cvt_f32_u32_sdwa v22, v5 dst_sel:DWORD dst_unused:UNUSED_PAD src0_sel:WORD_0
	s_waitcnt lgkmcnt(0)
	v_mov_b32_dpp v16, v1 quad_perm:[1,0,3,2] row_mask:0xf bank_mask:0xf
	v_add_f32_e32 v1, v1, v16
	s_cmp_lg_u32 s14, 0
	s_nop 0
	v_mov_b32_dpp v16, v1 quad_perm:[2,3,0,1] row_mask:0xf bank_mask:0xf
	v_add_f32_e32 v1, v1, v16
	v_div_scale_f32 v16, s[2:3], v15, v15, v1
	v_rcp_f32_e32 v17, v16
	v_div_scale_f32 v18, vcc, v1, v15, v1
	s_mov_b32 s2, 0x800000
	v_fma_f32 v19, -v16, v17, 1.0
	v_fmac_f32_e32 v17, v19, v17
	v_mul_f32_e32 v19, v18, v17
	v_fma_f32 v20, -v16, v19, v18
	v_fmac_f32_e32 v19, v20, v17
	v_fma_f32 v16, -v16, v19, v18
	v_div_fmas_f32 v16, v16, v17, v19
	v_div_fixup_f32 v1, v16, v15, v1
	v_cvt_f64_f32_e32 v[16:17], v1
	v_add_f64 v[16:17], v[16:17], s[28:29]
	v_cvt_f32_f64_e32 v1, v[16:17]
	v_mul_f32_e32 v15, 0x4b800000, v1
	v_cmp_gt_f32_e32 vcc, s2, v1
	v_cndmask_b32_e32 v1, v1, v15, vcc
	v_rsq_f32_e32 v15, v1
	v_cvt_f32_u32_sdwa v20, v3 dst_sel:DWORD dst_unused:UNUSED_PAD src0_sel:WORD_0
	v_cvt_f32_u32_sdwa v3, v4 dst_sel:DWORD dst_unused:UNUSED_PAD src0_sel:WORD_1
	v_lshlrev_b32_e32 v1, 3, v0
	v_mul_f32_e32 v16, 0x45800000, v15
	v_cndmask_b32_e32 v16, v15, v16, vcc
	v_mov_b32_e32 v17, v16
	;;#ASMSTART
	v_pk_mul_f32 v[12:13], v[12:13], v[16:17]
	;;#ASMEND
	;;#ASMSTART
	v_pk_mul_f32 v[10:11], v[10:11], v[16:17]
	;;#ASMEND
	;; [unrolled: 3-line block ×4, first 2 shown]
	v_cvt_f32_u32_sdwa v7, v2 dst_sel:DWORD dst_unused:UNUSED_PAD src0_sel:WORD_1
	v_cvt_f32_u32_sdwa v6, v2 dst_sel:DWORD dst_unused:UNUSED_PAD src0_sel:WORD_0
	v_cvt_f32_u32_sdwa v2, v4 dst_sel:DWORD dst_unused:UNUSED_PAD src0_sel:WORD_0
	;;#ASMSTART
	v_pk_mul_f32 v[8:9], v[12:13], v[6:7]
	;;#ASMEND
	;;#ASMSTART
	v_pk_mul_f32 v[6:7], v[10:11], v[20:21]
	;;#ASMEND
	v_and_b32_e32 v10, 0x7fffffff, v8
	v_mov_b32_e32 v12, 0x2edbe6ff
	;;#ASMSTART
	v_pk_mul_f32 v[4:5], v[18:19], v[2:3]
	;;#ASMEND
	;;#ASMSTART
	v_pk_mul_f32 v[2:3], v[16:17], v[22:23]
	;;#ASMEND
	v_and_b32_e32 v11, 0x7fffffff, v9
	;;#ASMSTART
	v_max3_f32 v10, v12, v10, v11

	;;#ASMEND
	v_and_b32_e32 v12, 0x7fffffff, v7
	v_and_b32_e32 v11, 0x7fffffff, v6
	;;#ASMSTART
	v_max3_f32 v10, v10, v11, v12

	;;#ASMEND
	v_and_b32_e32 v12, 0x7fffffff, v5
	;; [unrolled: 6-line block ×3, first 2 shown]
	v_and_b32_e32 v11, 0x7fffffff, v2
	;;#ASMSTART
	v_max3_f32 v12, v10, v11, v12

	;;#ASMEND
	s_cbranch_scc0 .LBB10_10
; %bb.4:
	s_ashr_i32 s12, s14, 31
	s_lshr_b32 s2, s12, 29
	s_add_i32 s2, s14, s2
	s_ashr_i32 s10, s2, 3
	s_cmp_lt_i32 s10, 16
	s_cbranch_scc1 .LBB10_11
; %bb.5:
	s_cmp_lt_i32 s10, 32
	s_cbranch_scc1 .LBB10_12
; %bb.6:
	;; [unrolled: 3-line block ×3, first 2 shown]
	s_cmp_eq_u32 s10, 64
	v_mov_b32_e32 v10, v12
	s_cbranch_scc0 .LBB10_9
; %bb.8:
	s_nop 0
	v_mov_b32_dpp v10, v12 quad_perm:[1,0,3,2] row_mask:0xf bank_mask:0xf
	v_cmp_gt_f32_e32 vcc, v12, v10
	v_cndmask_b32_e32 v10, v10, v12, vcc
	v_bfrev_b32_e32 v13, 0.5
	s_nop 0
	v_mov_b32_dpp v11, v10 quad_perm:[2,3,0,1] row_mask:0xf bank_mask:0xf
	v_cmp_gt_f32_e32 vcc, v10, v11
	v_cndmask_b32_e32 v10, v11, v10, vcc
	s_nop 1
	v_mov_b32_dpp v11, v10 row_ror:4 row_mask:0xf bank_mask:0xf
	v_cmp_gt_f32_e32 vcc, v10, v11
	v_cndmask_b32_e32 v10, v11, v10, vcc
	s_nop 1
	v_mov_b32_dpp v11, v10 row_ror:8 row_mask:0xf bank_mask:0xf
	v_cmp_gt_f32_e32 vcc, v10, v11
	v_cndmask_b32_e32 v10, v11, v10, vcc
	s_nop 1
	v_mov_b32_dpp v11, v10 row_bcast:15 row_mask:0xf bank_mask:0xf
	v_cmp_gt_f32_e32 vcc, v10, v11
	v_cndmask_b32_e32 v10, v11, v10, vcc
	s_nop 1
	v_mov_b32_dpp v11, v10 row_bcast:31 row_mask:0xf bank_mask:0xf
	v_cmp_gt_f32_e32 vcc, v10, v11
	v_cndmask_b32_e32 v10, v11, v10, vcc
	v_mbcnt_lo_u32_b32 v11, -1, 0
	v_mbcnt_hi_u32_b32 v11, -1, v11
	v_lshl_or_b32 v11, v11, 2, v13
	ds_bpermute_b32 v10, v11, v10
.LBB10_9:
	s_mov_b64 s[2:3], 0
	s_branch .LBB10_14
.LBB10_10:
	s_mov_b64 s[2:3], 0
                                        ; implicit-def: $vgpr13
                                        ; implicit-def: $vgpr10_vgpr11
	s_cbranch_execnz .LBB10_43
	s_branch .LBB10_46
.LBB10_11:
                                        ; implicit-def: $vgpr10
	s_branch .LBB10_21
.LBB10_12:
                                        ; implicit-def: $vgpr10
	s_branch .LBB10_18
.LBB10_13:
	s_mov_b64 s[2:3], -1
                                        ; implicit-def: $vgpr10
.LBB10_14:
	s_andn2_b64 vcc, exec, s[2:3]
	s_cbranch_vccnz .LBB10_17
; %bb.15:
	s_cmp_eq_u32 s10, 32
	s_waitcnt lgkmcnt(0)
	v_mov_b32_e32 v10, v12
	s_cbranch_scc0 .LBB10_17
; %bb.16:
	s_nop 0
	v_mov_b32_dpp v10, v12 quad_perm:[1,0,3,2] row_mask:0xf bank_mask:0xf
	v_cmp_gt_f32_e32 vcc, v12, v10
	v_cndmask_b32_e32 v10, v10, v12, vcc
	v_mov_b32_e32 v13, 0x7c
	s_nop 0
	v_mov_b32_dpp v11, v10 quad_perm:[2,3,0,1] row_mask:0xf bank_mask:0xf
	v_cmp_gt_f32_e32 vcc, v10, v11
	v_cndmask_b32_e32 v10, v11, v10, vcc
	s_nop 1
	v_mov_b32_dpp v11, v10 row_half_mirror row_mask:0xf bank_mask:0xf
	v_cmp_gt_f32_e32 vcc, v10, v11
	v_cndmask_b32_e32 v10, v11, v10, vcc
	s_nop 1
	v_mov_b32_dpp v11, v10 row_mirror row_mask:0xf bank_mask:0xf
	v_cmp_gt_f32_e32 vcc, v10, v11
	v_cndmask_b32_e32 v10, v11, v10, vcc
	s_nop 1
	v_mov_b32_dpp v11, v10 row_bcast:15 row_mask:0xa bank_mask:0xf
	v_cmp_gt_f32_e32 vcc, v10, v11
	v_cndmask_b32_e32 v10, v11, v10, vcc
	v_mbcnt_lo_u32_b32 v11, -1, 0
	v_mbcnt_hi_u32_b32 v11, -1, v11
	v_lshl_or_b32 v11, v11, 2, v13
	ds_bpermute_b32 v10, v11, v10
.LBB10_17:
	s_cbranch_execnz .LBB10_20
.LBB10_18:
	s_cmp_eq_u32 s10, 16
	s_waitcnt lgkmcnt(0)
	v_mov_b32_e32 v10, v12
	s_cbranch_scc0 .LBB10_20
; %bb.19:
	s_nop 0
	v_mov_b32_dpp v10, v12 quad_perm:[1,0,3,2] row_mask:0xf bank_mask:0xf
	v_cmp_gt_f32_e32 vcc, v12, v10
	v_cndmask_b32_e32 v10, v10, v12, vcc
	s_nop 1
	v_mov_b32_dpp v11, v10 quad_perm:[2,3,0,1] row_mask:0xf bank_mask:0xf
	v_cmp_gt_f32_e32 vcc, v10, v11
	v_cndmask_b32_e32 v10, v11, v10, vcc
	s_nop 1
	v_mov_b32_dpp v11, v10 row_half_mirror row_mask:0xf bank_mask:0xf
	v_cmp_gt_f32_e32 vcc, v10, v11
	v_cndmask_b32_e32 v10, v11, v10, vcc
	s_nop 1
	v_mov_b32_dpp v11, v10 row_mirror row_mask:0xf bank_mask:0xf
	v_cmp_gt_f32_e32 vcc, v10, v11
	v_cndmask_b32_e32 v10, v11, v10, vcc
.LBB10_20:
	s_cbranch_execnz .LBB10_33
.LBB10_21:
	s_cmp_lt_i32 s10, 4
	s_cbranch_scc1 .LBB10_25
; %bb.22:
	s_cmp_lt_i32 s10, 8
	s_cbranch_scc1 .LBB10_26
; %bb.23:
	s_cmp_eq_u32 s10, 8
	s_waitcnt lgkmcnt(0)
	v_mov_b32_e32 v10, v12
	s_cbranch_scc0 .LBB10_27
; %bb.24:
	s_nop 0
	v_mov_b32_dpp v10, v12 quad_perm:[1,0,3,2] row_mask:0xf bank_mask:0xf
	v_cmp_gt_f32_e32 vcc, v12, v10
	v_cndmask_b32_e32 v10, v10, v12, vcc
	s_nop 1
	v_mov_b32_dpp v11, v10 quad_perm:[2,3,0,1] row_mask:0xf bank_mask:0xf
	v_cmp_gt_f32_e32 vcc, v10, v11
	v_cndmask_b32_e32 v10, v11, v10, vcc
	s_nop 1
	v_mov_b32_dpp v11, v10 row_half_mirror row_mask:0xf bank_mask:0xf
	v_cmp_gt_f32_e32 vcc, v10, v11
	v_cndmask_b32_e32 v10, v11, v10, vcc
	s_cbranch_execz .LBB10_28
	s_branch .LBB10_30
.LBB10_25:
                                        ; implicit-def: $vgpr10
	s_branch .LBB10_31
.LBB10_26:
                                        ; implicit-def: $vgpr10
	s_branch .LBB10_28
.LBB10_27:
	s_cbranch_execnz .LBB10_30
.LBB10_28:
	s_cmp_eq_u32 s10, 4
	s_waitcnt lgkmcnt(0)
	v_mov_b32_e32 v10, v12
	s_cbranch_scc0 .LBB10_30
; %bb.29:
	s_nop 0
	v_mov_b32_dpp v10, v12 quad_perm:[1,0,3,2] row_mask:0xf bank_mask:0xf
	v_cmp_gt_f32_e32 vcc, v12, v10
	v_cndmask_b32_e32 v10, v10, v12, vcc
	s_nop 1
	v_mov_b32_dpp v11, v10 quad_perm:[2,3,0,1] row_mask:0xf bank_mask:0xf
	v_cmp_gt_f32_e32 vcc, v10, v11
	v_cndmask_b32_e32 v10, v11, v10, vcc
.LBB10_30:
	s_cbranch_execnz .LBB10_33
.LBB10_31:
	s_cmp_lg_u32 s10, 2
	s_waitcnt lgkmcnt(0)
	v_mov_b32_e32 v10, v12
	s_cbranch_scc1 .LBB10_33
; %bb.32:
	s_nop 0
	v_mov_b32_dpp v10, v12 quad_perm:[1,0,3,2] row_mask:0xf bank_mask:0xf
	v_cmp_gt_f32_e32 vcc, v12, v10
	v_cndmask_b32_e32 v10, v10, v12, vcc
.LBB10_33:
	v_cvt_f32_u32_e32 v11, s10
	s_waitcnt lgkmcnt(0)
	v_mul_f32_e32 v13, 0x3b124925, v10
	s_sub_i32 s2, 0, s10
	v_cmp_gt_u32_e32 vcc, s9, v1
	v_rcp_iflag_f32_e32 v11, v11
	s_mov_b64 s[4:5], 0
	v_mul_f32_e32 v10, 0x4f7ffffe, v11
	v_cvt_u32_f32_e32 v10, v10
	v_mul_lo_u32 v11, s2, v10
	v_mul_hi_u32 v11, v10, v11
	v_add_u32_e32 v10, v10, v11
	v_mul_hi_u32 v10, v0, v10
	v_mul_lo_u32 v11, v10, s10
	v_sub_u32_e32 v11, v0, v11
	v_add_u32_e32 v15, 1, v10
	v_cmp_le_u32_e64 s[2:3], s10, v11
	v_cndmask_b32_e64 v10, v10, v15, s[2:3]
	v_subrev_u32_e32 v15, s10, v11
	v_cndmask_b32_e64 v11, v11, v15, s[2:3]
	v_add_u32_e32 v15, 1, v10
	v_cmp_le_u32_e64 s[2:3], s10, v11
	v_cndmask_b32_e64 v15, v10, v15, s[2:3]
	v_mul_lo_u32 v10, v15, s10
	v_sub_u32_e32 v10, v0, v10
	v_cmp_eq_u32_e64 s[2:3], 0, v10
	s_and_b64 s[10:11], s[2:3], vcc
	s_mov_b64 s[2:3], 0
                                        ; implicit-def: $vgpr10_vgpr11
	s_and_saveexec_b64 s[18:19], s[10:11]
	s_xor_b64 s[10:11], exec, s[18:19]
	s_cbranch_execz .LBB10_42
; %bb.34:
	s_bitcmp0_b32 s15, 0
	s_cbranch_scc0 .LBB10_39
; %bb.35:
	s_ashr_i32 s2, s9, 31
	s_mul_hi_u32 s3, s9, s6
	s_mul_i32 s2, s2, s6
	s_add_i32 s19, s3, s2
	s_mul_i32 s18, s9, s6
	s_mov_b32 s15, s12
	s_or_b64 s[2:3], s[18:19], s[14:15]
	s_mov_b32 s2, 0
	s_cmp_lg_u64 s[2:3], 0
	s_cbranch_scc0 .LBB10_50
; %bb.36:
	s_add_u32 s2, s14, s15
	s_mov_b32 s24, s15
	s_mov_b32 s25, s15
	s_addc_u32 s3, s15, s15
	s_xor_b64 s[26:27], s[2:3], s[24:25]
	v_cvt_f32_u32_e32 v10, s26
	v_cvt_f32_u32_e32 v11, s27
	s_sub_u32 s2, 0, s26
	s_subb_u32 s3, 0, s27
	v_madmk_f32 v10, v11, 0x4f800000, v10
	v_rcp_f32_e32 v10, v10
	v_mul_f32_e32 v10, 0x5f7ffffc, v10
	v_mul_f32_e32 v11, 0x2f800000, v10
	v_trunc_f32_e32 v11, v11
	v_madmk_f32 v10, v11, 0xcf800000, v10
	v_cvt_u32_f32_e32 v11, v11
	v_cvt_u32_f32_e32 v10, v10
	v_readfirstlane_b32 s12, v11
	v_readfirstlane_b32 s15, v10
	s_mul_i32 s28, s2, s12
	s_mul_hi_u32 s30, s2, s15
	s_mul_i32 s29, s3, s15
	s_add_i32 s28, s30, s28
	s_add_i32 s28, s28, s29
	s_mul_i32 s31, s2, s15
	s_mul_hi_u32 s29, s15, s28
	s_mul_i32 s30, s15, s28
	s_mul_hi_u32 s15, s15, s31
	s_add_u32 s15, s15, s30
	s_addc_u32 s29, 0, s29
	s_mul_hi_u32 s33, s12, s31
	s_mul_i32 s31, s12, s31
	s_add_u32 s15, s15, s31
	s_mul_hi_u32 s30, s12, s28
	s_addc_u32 s15, s29, s33
	s_addc_u32 s29, s30, 0
	s_mul_i32 s28, s12, s28
	s_add_u32 s15, s15, s28
	s_addc_u32 s28, 0, s29
	v_add_co_u32_e32 v10, vcc, s15, v10
	s_cmp_lg_u64 vcc, 0
	s_addc_u32 s12, s12, s28
	v_readfirstlane_b32 s28, v10
	s_mul_i32 s15, s2, s12
	s_mul_hi_u32 s29, s2, s28
	s_add_i32 s15, s29, s15
	s_mul_i32 s3, s3, s28
	s_add_i32 s15, s15, s3
	s_mul_i32 s2, s2, s28
	s_mul_hi_u32 s29, s12, s2
	s_mul_i32 s30, s12, s2
	s_mul_i32 s33, s28, s15
	s_mul_hi_u32 s2, s28, s2
	s_mul_hi_u32 s31, s28, s15
	s_add_u32 s2, s2, s33
	s_addc_u32 s28, 0, s31
	s_add_u32 s2, s2, s30
	s_mul_hi_u32 s3, s12, s15
	s_addc_u32 s2, s28, s29
	s_addc_u32 s3, s3, 0
	s_mul_i32 s15, s12, s15
	s_add_u32 s2, s2, s15
	s_addc_u32 s3, 0, s3
	v_add_co_u32_e32 v10, vcc, s2, v10
	s_cmp_lg_u64 vcc, 0
	s_addc_u32 s12, s12, s3
	s_ashr_i32 s28, s19, 31
	s_add_u32 s2, s18, s28
	s_mov_b32 s29, s28
	s_addc_u32 s3, s19, s28
	s_xor_b64 s[30:31], s[2:3], s[28:29]
	v_readfirstlane_b32 s15, v10
	s_mul_i32 s3, s30, s12
	s_mul_hi_u32 s19, s30, s15
	s_mul_hi_u32 s2, s30, s12
	s_add_u32 s3, s19, s3
	s_addc_u32 s2, 0, s2
	s_mul_hi_u32 s33, s31, s15
	s_mul_i32 s15, s31, s15
	s_add_u32 s3, s3, s15
	s_mul_hi_u32 s19, s31, s12
	s_addc_u32 s2, s2, s33
	s_addc_u32 s3, s19, 0
	s_mul_i32 s12, s31, s12
	s_add_u32 s12, s2, s12
	s_addc_u32 s15, 0, s3
	s_mul_i32 s2, s26, s15
	s_mul_hi_u32 s3, s26, s12
	s_add_i32 s2, s3, s2
	s_mul_i32 s3, s27, s12
	s_add_i32 s19, s2, s3
	s_mul_i32 s3, s26, s12
	v_mov_b32_e32 v10, s3
	s_sub_i32 s2, s31, s19
	v_sub_co_u32_e32 v10, vcc, s30, v10
	s_cmp_lg_u64 vcc, 0
	s_subb_u32 s30, s2, s27
	v_subrev_co_u32_e64 v11, s[2:3], s26, v10
	s_cmp_lg_u64 s[2:3], 0
	s_subb_u32 s30, s30, 0
	s_cmp_ge_u32 s30, s27
	s_cselect_b32 s33, -1, 0
	v_cmp_le_u32_e64 s[2:3], s26, v11
	s_cmp_eq_u32 s30, s27
	v_cndmask_b32_e64 v11, 0, -1, s[2:3]
	v_mov_b32_e32 v16, s33
	s_cselect_b64 s[2:3], -1, 0
	v_cndmask_b32_e64 v11, v16, v11, s[2:3]
	s_add_u32 s2, s12, 1
	s_addc_u32 s30, s15, 0
	s_add_u32 s3, s12, 2
	s_addc_u32 s33, s15, 0
	v_mov_b32_e32 v16, s2
	v_mov_b32_e32 v17, s3
	v_cmp_ne_u32_e64 s[2:3], 0, v11
	v_cndmask_b32_e64 v11, v16, v17, s[2:3]
	v_mov_b32_e32 v16, s30
	v_mov_b32_e32 v17, s33
	s_cmp_lg_u64 vcc, 0
	v_cndmask_b32_e64 v16, v16, v17, s[2:3]
	s_subb_u32 s2, s31, s19
	s_cmp_ge_u32 s2, s27
	s_cselect_b32 s3, -1, 0
	v_cmp_le_u32_e32 vcc, s26, v10
	s_cmp_eq_u32 s2, s27
	v_cndmask_b32_e64 v10, 0, -1, vcc
	v_mov_b32_e32 v17, s3
	s_cselect_b64 vcc, -1, 0
	v_cndmask_b32_e32 v10, v17, v10, vcc
	v_mov_b32_e32 v17, s15
	v_cmp_ne_u32_e32 vcc, 0, v10
	v_cndmask_b32_e32 v10, v17, v16, vcc
	v_mov_b32_e32 v16, s12
	v_cndmask_b32_e32 v11, v16, v11, vcc
	s_xor_b64 s[2:3], s[28:29], s[24:25]
	v_xor_b32_e32 v11, s2, v11
	v_xor_b32_e32 v16, s3, v10
	v_mov_b32_e32 v17, s3
	v_subrev_co_u32_e32 v10, vcc, s2, v11
	v_subb_co_u32_e32 v11, vcc, v16, v17, vcc
	s_cbranch_execnz .LBB10_38
.LBB10_37:
	v_cvt_f32_u32_e32 v10, s14
	s_sub_i32 s2, 0, s14
	s_mov_b32 s3, 0
	v_rcp_iflag_f32_e32 v10, v10
	v_mul_f32_e32 v10, 0x4f7ffffe, v10
	v_cvt_u32_f32_e32 v10, v10
	v_readfirstlane_b32 s12, v10
	s_mul_i32 s2, s2, s12
	s_mul_hi_u32 s2, s12, s2
	s_add_i32 s12, s12, s2
	s_mul_hi_u32 s2, s18, s12
	s_mul_i32 s15, s2, s14
	s_sub_i32 s15, s18, s15
	s_add_i32 s12, s2, 1
	s_sub_i32 s18, s15, s14
	s_cmp_ge_u32 s15, s14
	s_cselect_b32 s2, s12, s2
	s_cselect_b32 s15, s18, s15
	s_add_i32 s12, s2, 1
	s_cmp_ge_u32 s15, s14
	s_cselect_b32 s2, s12, s2
	v_pk_mov_b32 v[10:11], s[2:3], s[2:3] op_sel:[0,1]
.LBB10_38:
	v_add_co_u32_e32 v10, vcc, v10, v15
	v_addc_co_u32_e32 v11, vcc, 0, v11, vcc
	s_branch .LBB10_41
.LBB10_39:
                                        ; implicit-def: $vgpr10_vgpr11
	s_cbranch_execz .LBB10_41
; %bb.40:
	v_mul_lo_u32 v10, v15, s8
	v_ashrrev_i32_e32 v11, 31, v10
	v_mov_b32_e32 v15, s7
	v_add_co_u32_e32 v10, vcc, s6, v10
	v_addc_co_u32_e32 v11, vcc, v11, v15, vcc
.LBB10_41:
	s_mov_b64 s[2:3], exec
.LBB10_42:
	s_or_b64 exec, exec, s[10:11]
	s_and_b64 vcc, exec, s[4:5]
	s_cbranch_vccz .LBB10_46
.LBB10_43:
	v_mov_b32_dpp v10, v12 quad_perm:[1,0,3,2] row_mask:0xf bank_mask:0xf
	v_cmp_gt_f32_e32 vcc, v12, v10
	v_cndmask_b32_e32 v10, v10, v12, vcc
	s_nop 1
	v_mov_b32_dpp v11, v10 quad_perm:[2,3,0,1] row_mask:0xf bank_mask:0xf
	v_cmp_gt_f32_e32 vcc, v10, v11
	v_cndmask_b32_e32 v10, v11, v10, vcc
	s_nop 1
	v_mov_b32_dpp v11, v10 row_half_mirror row_mask:0xf bank_mask:0xf
	v_cmp_gt_f32_e32 vcc, v10, v11
	v_cndmask_b32_e32 v10, v11, v10, vcc
	s_nop 1
	v_mov_b32_dpp v11, v10 row_mirror row_mask:0xf bank_mask:0xf
	v_cmp_gt_f32_e32 vcc, v10, v11
	v_cndmask_b32_e32 v10, v11, v10, vcc
	s_nop 1
	v_mov_b32_dpp v11, v10 row_bcast:15 row_mask:0xf bank_mask:0xf
	v_cmp_gt_f32_e32 vcc, v10, v11
	v_cndmask_b32_e32 v10, v11, v10, vcc
	s_nop 1
	v_mov_b32_dpp v11, v10 row_bcast:31 row_mask:0xf bank_mask:0xf
	s_and_saveexec_b64 s[2:3], s[0:1]
	s_cbranch_execz .LBB10_45
; %bb.44:
	v_lshrrev_b32_e32 v12, 4, v0
	v_cmp_gt_f32_e32 vcc, v10, v11
	v_and_b32_e32 v12, 60, v12
	v_cndmask_b32_e32 v10, v11, v10, vcc
	ds_write_b32 v12, v10
.LBB10_45:
	s_or_b64 exec, exec, s[2:3]
	s_waitcnt lgkmcnt(0)
	s_barrier
	ds_read_b32 v10, v14
	v_cmp_eq_u32_e64 s[2:3], 0, v0
	s_waitcnt lgkmcnt(0)
	v_mov_b32_dpp v11, v10 quad_perm:[1,0,3,2] row_mask:0xf bank_mask:0xf
	v_cmp_gt_f32_e32 vcc, v10, v11
	v_cndmask_b32_e32 v10, v11, v10, vcc
	s_nop 1
	v_mov_b32_dpp v11, v10 quad_perm:[2,3,0,1] row_mask:0xf bank_mask:0xf
	v_cmp_gt_f32_e32 vcc, v10, v11
	v_cndmask_b32_e32 v10, v11, v10, vcc
	v_mul_f32_e32 v13, 0x3b124925, v10
	v_pk_mov_b32 v[10:11], s[6:7], s[6:7] op_sel:[0,1]
.LBB10_46:
	s_and_saveexec_b64 s[0:1], s[2:3]
	s_cbranch_execz .LBB10_48
; %bb.47:
	v_lshlrev_b64 v[10:11], 2, v[10:11]
	v_mov_b32_e32 v0, s21
	v_add_co_u32_e32 v10, vcc, s20, v10
	v_addc_co_u32_e32 v11, vcc, v0, v11, vcc
	global_store_dword v[10:11], v13, off
.LBB10_48:
	s_or_b64 exec, exec, s[0:1]
	s_add_i32 s0, s9, 3
	;;#ASMSTART
	v_rcp_f32 v10, v13
	;;#ASMEND
	v_mov_b32_e32 v11, v10
	;;#ASMSTART
	v_pk_mul_f32 v[8:9], v[8:9], v[10:11]
	;;#ASMEND
	s_ashr_i32 s1, s0, 31
	v_mov_b32_e32 v0, 0xc3e00000
	v_mov_b32_e32 v12, 0x43e00000
	;;#ASMSTART
	v_med3_f32 v8, v8, v0, v12
v_med3_f32 v9, v9, v0, v12
v_cvt_pk_fp8_f32 v13, v8, v9
	;;#ASMEND
	;;#ASMSTART
	v_pk_mul_f32 v[6:7], v[6:7], v[10:11]
	;;#ASMEND
	s_lshr_b32 s1, s1, 30
	;;#ASMSTART
	v_med3_f32 v6, v6, v0, v12
v_med3_f32 v7, v7, v0, v12
v_cvt_pk_fp8_f32 v8, v6, v7
	;;#ASMEND
	s_mov_b32 s5, 0x5040100
	s_add_i32 s0, s0, s1
	v_perm_b32 v7, v8, v13, s5
	s_movk_i32 s5, 0xff
	s_and_b32 s2, s0, -4
	s_ashr_i32 s0, s13, 31
	v_and_b32_e32 v6, 0xffffff00, v8
	v_and_b32_sdwa v8, v7, s5 dst_sel:DWORD dst_unused:UNUSED_PAD src0_sel:WORD_1 src1_sel:DWORD
	s_mul_hi_u32 s1, s13, s6
	s_mul_i32 s0, s0, s6
	s_mov_b32 s4, 0xffff
	v_or_b32_sdwa v6, v8, v6 dst_sel:WORD_1 dst_unused:UNUSED_PAD src0_sel:DWORD src1_sel:DWORD
	;;#ASMSTART
	v_pk_mul_f32 v[4:5], v[4:5], v[10:11]
	;;#ASMEND
	s_add_i32 s1, s1, s0
	s_mul_i32 s0, s13, s6
	v_and_or_b32 v6, v7, s4, v6
	;;#ASMSTART
	v_med3_f32 v4, v4, v0, v12
v_med3_f32 v5, v5, v0, v12
v_cvt_pk_fp8_f32 v7, v4, v5
	;;#ASMEND
	;;#ASMSTART
	v_pk_mul_f32 v[2:3], v[2:3], v[10:11]
	;;#ASMEND
	s_add_u32 s0, s16, s0
	;;#ASMSTART
	v_med3_f32 v2, v2, v0, v12
v_med3_f32 v3, v3, v0, v12
v_cvt_pk_fp8_f32 v0, v2, v3
	;;#ASMEND
	s_addc_u32 s1, s17, s1
	v_lshlrev_b32_e32 v0, 16, v0
	s_and_b32 s1, s1, 0xffff
	s_mov_b32 s3, 0x20000
	v_and_or_b32 v7, v7, s4, v0
	buffer_store_dwordx2 v[6:7], v1, s[0:3], 0 offen
	;;#ASMSTART
	s_nop 0
	;;#ASMEND
.LBB10_49:
	s_endpgm
.LBB10_50:
                                        ; implicit-def: $vgpr10_vgpr11
	s_branch .LBB10_37
	.section	.rodata,"a",@progbits
	.p2align	6, 0x0
	.amdhsa_kernel _ZN5aiter24add_rmsnorm_quant_kernelItDB8_Li256ELi8ELb1ELb1ELb1ELi1EEEvPT0_PT_PfS5_S5_S5_diiiiiiib
		.amdhsa_group_segment_fixed_size 32
		.amdhsa_private_segment_fixed_size 0
		.amdhsa_kernarg_size 88
		.amdhsa_user_sgpr_count 6
		.amdhsa_user_sgpr_private_segment_buffer 1
		.amdhsa_user_sgpr_dispatch_ptr 0
		.amdhsa_user_sgpr_queue_ptr 0
		.amdhsa_user_sgpr_kernarg_segment_ptr 1
		.amdhsa_user_sgpr_dispatch_id 0
		.amdhsa_user_sgpr_flat_scratch_init 0
		.amdhsa_user_sgpr_kernarg_preload_length 0
		.amdhsa_user_sgpr_kernarg_preload_offset 0
		.amdhsa_user_sgpr_private_segment_size 0
		.amdhsa_uses_dynamic_stack 0
		.amdhsa_system_sgpr_private_segment_wavefront_offset 0
		.amdhsa_system_sgpr_workgroup_id_x 1
		.amdhsa_system_sgpr_workgroup_id_y 0
		.amdhsa_system_sgpr_workgroup_id_z 0
		.amdhsa_system_sgpr_workgroup_info 0
		.amdhsa_system_vgpr_workitem_id 0
		.amdhsa_next_free_vgpr 27
		.amdhsa_next_free_sgpr 40
		.amdhsa_accum_offset 28
		.amdhsa_reserve_vcc 1
		.amdhsa_reserve_flat_scratch 0
		.amdhsa_float_round_mode_32 0
		.amdhsa_float_round_mode_16_64 0
		.amdhsa_float_denorm_mode_32 3
		.amdhsa_float_denorm_mode_16_64 3
		.amdhsa_dx10_clamp 1
		.amdhsa_ieee_mode 1
		.amdhsa_fp16_overflow 0
		.amdhsa_tg_split 0
		.amdhsa_exception_fp_ieee_invalid_op 0
		.amdhsa_exception_fp_denorm_src 0
		.amdhsa_exception_fp_ieee_div_zero 0
		.amdhsa_exception_fp_ieee_overflow 0
		.amdhsa_exception_fp_ieee_underflow 0
		.amdhsa_exception_fp_ieee_inexact 0
		.amdhsa_exception_int_div_zero 0
	.end_amdhsa_kernel
	.section	.text._ZN5aiter24add_rmsnorm_quant_kernelItDB8_Li256ELi8ELb1ELb1ELb1ELi1EEEvPT0_PT_PfS5_S5_S5_diiiiiiib,"axG",@progbits,_ZN5aiter24add_rmsnorm_quant_kernelItDB8_Li256ELi8ELb1ELb1ELb1ELi1EEEvPT0_PT_PfS5_S5_S5_diiiiiiib,comdat
.Lfunc_end10:
	.size	_ZN5aiter24add_rmsnorm_quant_kernelItDB8_Li256ELi8ELb1ELb1ELb1ELi1EEEvPT0_PT_PfS5_S5_S5_diiiiiiib, .Lfunc_end10-_ZN5aiter24add_rmsnorm_quant_kernelItDB8_Li256ELi8ELb1ELb1ELb1ELi1EEEvPT0_PT_PfS5_S5_S5_diiiiiiib
                                        ; -- End function
	.section	.AMDGPU.csdata,"",@progbits
; Kernel info:
; codeLenInByte = 3404
; NumSgprs: 44
; NumVgprs: 27
; NumAgprs: 0
; TotalNumVgprs: 27
; ScratchSize: 0
; MemoryBound: 0
; FloatMode: 240
; IeeeMode: 1
; LDSByteSize: 32 bytes/workgroup (compile time only)
; SGPRBlocks: 5
; VGPRBlocks: 3
; NumSGPRsForWavesPerEU: 44
; NumVGPRsForWavesPerEU: 27
; AccumOffset: 28
; Occupancy: 8
; WaveLimiterHint : 0
; COMPUTE_PGM_RSRC2:SCRATCH_EN: 0
; COMPUTE_PGM_RSRC2:USER_SGPR: 6
; COMPUTE_PGM_RSRC2:TRAP_HANDLER: 0
; COMPUTE_PGM_RSRC2:TGID_X_EN: 1
; COMPUTE_PGM_RSRC2:TGID_Y_EN: 0
; COMPUTE_PGM_RSRC2:TGID_Z_EN: 0
; COMPUTE_PGM_RSRC2:TIDIG_COMP_CNT: 0
; COMPUTE_PGM_RSRC3_GFX90A:ACCUM_OFFSET: 6
; COMPUTE_PGM_RSRC3_GFX90A:TG_SPLIT: 0
	.section	.text._ZN5aiter24add_rmsnorm_quant_kernelIDF16_DB8_Li256ELi8ELb1ELb1ELb0ELi1EEEvPT0_PT_PfS5_S5_S5_diiiiiiib,"axG",@progbits,_ZN5aiter24add_rmsnorm_quant_kernelIDF16_DB8_Li256ELi8ELb1ELb1ELb0ELi1EEEvPT0_PT_PfS5_S5_S5_diiiiiiib,comdat
	.protected	_ZN5aiter24add_rmsnorm_quant_kernelIDF16_DB8_Li256ELi8ELb1ELb1ELb0ELi1EEEvPT0_PT_PfS5_S5_S5_diiiiiiib ; -- Begin function _ZN5aiter24add_rmsnorm_quant_kernelIDF16_DB8_Li256ELi8ELb1ELb1ELb0ELi1EEEvPT0_PT_PfS5_S5_S5_diiiiiiib
	.globl	_ZN5aiter24add_rmsnorm_quant_kernelIDF16_DB8_Li256ELi8ELb1ELb1ELb0ELi1EEEvPT0_PT_PfS5_S5_S5_diiiiiiib
	.p2align	8
	.type	_ZN5aiter24add_rmsnorm_quant_kernelIDF16_DB8_Li256ELi8ELb1ELb1ELb0ELi1EEEvPT0_PT_PfS5_S5_S5_diiiiiiib,@function
_ZN5aiter24add_rmsnorm_quant_kernelIDF16_DB8_Li256ELi8ELb1ELb1ELb0ELi1EEEvPT0_PT_PfS5_S5_S5_diiiiiiib: ; @_ZN5aiter24add_rmsnorm_quant_kernelIDF16_DB8_Li256ELi8ELb1ELb1ELb0ELi1EEEvPT0_PT_PfS5_S5_S5_diiiiiiib
; %bb.0:
	s_load_dwordx8 s[8:15], s[4:5], 0x38
	s_mov_b32 s7, 0
	s_waitcnt lgkmcnt(0)
	s_ashr_i32 s0, s8, 31
	v_mov_b32_e32 v2, s8
	v_mov_b32_e32 v3, s0
	v_cmp_ge_i64_e32 vcc, s[6:7], v[2:3]
	s_cbranch_vccnz .LBB11_49
; %bb.1:
	s_load_dwordx8 s[16:23], s[4:5], 0x0
	s_load_dwordx8 s[24:31], s[4:5], 0x20
	s_ashr_i32 s0, s10, 31
	s_mul_hi_u32 s1, s10, s6
	s_mul_i32 s0, s0, s6
	s_add_i32 s1, s1, s0
	s_mul_i32 s0, s10, s6
	s_lshl_b64 s[0:1], s[0:1], 1
	s_waitcnt lgkmcnt(0)
	s_add_u32 s0, s22, s0
	s_addc_u32 s1, s23, s1
	s_add_i32 s2, s9, 1
	s_lshr_b32 s3, s2, 31
	s_add_i32 s2, s2, s3
	s_lshl_b32 s2, s2, 1
	s_and_b32 s2, s2, -4
	s_and_b32 s1, s1, 0xffff
	s_mov_b32 s3, 0x20000
	v_lshlrev_b32_e32 v1, 4, v0
	buffer_load_dwordx4 v[6:9], v1, s[0:3], 0 offen glc slc
	s_ashr_i32 s0, s11, 31
	s_mul_hi_u32 s1, s11, s6
	s_mul_i32 s0, s0, s6
	s_add_i32 s1, s1, s0
	s_mul_i32 s0, s11, s6
	s_and_b32 s37, s27, 0xffff
	s_lshl_b64 s[0:1], s[0:1], 1
	s_add_u32 s0, s24, s0
	s_addc_u32 s1, s25, s1
	s_and_b32 s1, s1, 0xffff
	buffer_load_dwordx4 v[10:13], v1, s[0:3], 0 offen glc slc
	s_mov_b32 s39, s3
	s_mov_b32 s36, s26
	;; [unrolled: 1-line block ×3, first 2 shown]
	buffer_load_dwordx4 v[2:5], v1, s[36:39], 0 offen
	s_ashr_i32 s4, s12, 31
	s_mul_hi_u32 s1, s12, s6
	s_mul_i32 s4, s4, s6
	s_mul_i32 s0, s12, s6
	s_add_i32 s1, s1, s4
	s_lshl_b64 s[0:1], s[0:1], 1
	s_add_u32 s0, s18, s0
	s_addc_u32 s1, s19, s1
	s_and_b32 s1, s1, 0xffff
	v_and_b32_e32 v24, 63, v0
	s_waitcnt vmcnt(2)
	v_cvt_f32_f16_e32 v14, v6
	v_cvt_f32_f16_sdwa v15, v6 dst_sel:DWORD dst_unused:UNUSED_PAD src0_sel:WORD_1
	v_cvt_f32_f16_e32 v6, v7
	v_cvt_f32_f16_sdwa v7, v7 dst_sel:DWORD dst_unused:UNUSED_PAD src0_sel:WORD_1
	;; [unrolled: 2-line block ×4, first 2 shown]
	s_waitcnt vmcnt(1)
	v_cvt_f32_f16_e32 v8, v10
	v_cvt_f32_f16_sdwa v9, v10 dst_sel:DWORD dst_unused:UNUSED_PAD src0_sel:WORD_1
	v_cvt_f32_f16_e32 v10, v11
	v_cvt_f32_f16_sdwa v11, v11 dst_sel:DWORD dst_unused:UNUSED_PAD src0_sel:WORD_1
	;; [unrolled: 2-line block ×4, first 2 shown]
	v_pk_add_f32 v[12:13], v[14:15], v[8:9]
	v_pk_add_f32 v[10:11], v[6:7], v[10:11]
	;; [unrolled: 1-line block ×4, first 2 shown]
	v_cvt_f16_f32_e32 v22, v13
	v_cvt_f16_f32_e32 v23, v12
	;; [unrolled: 1-line block ×8, first 2 shown]
	v_pk_mul_f32 v[14:15], v[12:13], v[12:13]
	v_pk_mul_f32 v[16:17], v[10:11], v[10:11]
	v_add_f32_e32 v14, v14, v15
	v_add_f32_e32 v14, v16, v14
	v_pk_mul_f32 v[18:19], v[8:9], v[8:9]
	v_add_f32_e32 v31, v17, v14
	v_pack_b32_f16 v17, v30, v29
	v_pack_b32_f16 v16, v28, v27
	;; [unrolled: 1-line block ×4, first 2 shown]
	v_add_f32_e32 v18, v18, v31
	v_pk_mul_f32 v[20:21], v[6:7], v[6:7]
	buffer_store_dwordx4 v[14:17], v1, s[0:3], 0 offen glc slc
	v_add_f32_e32 v1, v19, v18
	v_add_f32_e32 v1, v20, v1
	;; [unrolled: 1-line block ×3, first 2 shown]
	v_cmp_eq_u32_e64 s[0:1], 63, v24
	;;#ASMSTART
	s_nop 0
	;;#ASMEND
	s_nop 0
	v_mov_b32_dpp v14, v1 quad_perm:[1,0,3,2] row_mask:0xf bank_mask:0xf
	v_add_f32_e32 v1, v1, v14
	s_nop 1
	v_mov_b32_dpp v14, v1 quad_perm:[2,3,0,1] row_mask:0xf bank_mask:0xf
	v_add_f32_e32 v1, v1, v14
	s_nop 1
	v_mov_b32_dpp v14, v1 row_half_mirror row_mask:0xf bank_mask:0xf
	v_add_f32_e32 v1, v1, v14
	s_nop 1
	v_mov_b32_dpp v14, v1 row_mirror row_mask:0xf bank_mask:0xf
	v_add_f32_e32 v1, v1, v14
	s_nop 1
	v_mov_b32_dpp v14, v1 row_bcast:15 row_mask:0xf bank_mask:0xf
	v_add_f32_e32 v1, v1, v14
	s_nop 1
	v_mov_b32_dpp v14, v1 row_bcast:31 row_mask:0xf bank_mask:0xf
	s_and_saveexec_b64 s[2:3], s[0:1]
	s_cbranch_execz .LBB11_3
; %bb.2:
	v_lshrrev_b32_e32 v15, 4, v0
	v_and_b32_e32 v15, 60, v15
	v_add_f32_e32 v1, v1, v14
	ds_write_b32 v15, v1 offset:16
.LBB11_3:
	s_or_b64 exec, exec, s[2:3]
	v_and_b32_e32 v1, 3, v0
	v_lshlrev_b32_e32 v14, 2, v1
	s_waitcnt lgkmcnt(0)
	s_barrier
	ds_read_b32 v1, v14 offset:16
	v_cvt_f32_i32_e32 v15, s9
	s_waitcnt vmcnt(1)
	v_cvt_f32_f16_sdwa v21, v3 dst_sel:DWORD dst_unused:UNUSED_PAD src0_sel:WORD_1
	v_cvt_f32_f16_sdwa v23, v5 dst_sel:DWORD dst_unused:UNUSED_PAD src0_sel:WORD_1
	v_cvt_f32_f16_e32 v22, v5
	s_waitcnt lgkmcnt(0)
	v_mov_b32_dpp v16, v1 quad_perm:[1,0,3,2] row_mask:0xf bank_mask:0xf
	v_add_f32_e32 v1, v1, v16
	s_cmp_lg_u32 s14, 0
	s_nop 0
	v_mov_b32_dpp v16, v1 quad_perm:[2,3,0,1] row_mask:0xf bank_mask:0xf
	v_add_f32_e32 v1, v1, v16
	v_div_scale_f32 v16, s[2:3], v15, v15, v1
	v_rcp_f32_e32 v17, v16
	v_div_scale_f32 v18, vcc, v1, v15, v1
	s_mov_b32 s2, 0x800000
	v_fma_f32 v19, -v16, v17, 1.0
	v_fmac_f32_e32 v17, v19, v17
	v_mul_f32_e32 v19, v18, v17
	v_fma_f32 v20, -v16, v19, v18
	v_fmac_f32_e32 v19, v20, v17
	v_fma_f32 v16, -v16, v19, v18
	v_div_fmas_f32 v16, v16, v17, v19
	v_div_fixup_f32 v1, v16, v15, v1
	v_cvt_f64_f32_e32 v[16:17], v1
	v_add_f64 v[16:17], v[16:17], s[28:29]
	v_cvt_f32_f64_e32 v1, v[16:17]
	v_mul_f32_e32 v15, 0x4b800000, v1
	v_cmp_gt_f32_e32 vcc, s2, v1
	v_cndmask_b32_e32 v1, v1, v15, vcc
	v_rsq_f32_e32 v15, v1
	v_cvt_f32_f16_e32 v20, v3
	v_cvt_f32_f16_sdwa v3, v4 dst_sel:DWORD dst_unused:UNUSED_PAD src0_sel:WORD_1
	v_lshlrev_b32_e32 v1, 3, v0
	v_mul_f32_e32 v16, 0x45800000, v15
	v_cndmask_b32_e32 v16, v15, v16, vcc
	v_mov_b32_e32 v17, v16
	;;#ASMSTART
	v_pk_mul_f32 v[12:13], v[12:13], v[16:17]
	;;#ASMEND
	;;#ASMSTART
	v_pk_mul_f32 v[10:11], v[10:11], v[16:17]
	;;#ASMEND
	;; [unrolled: 3-line block ×4, first 2 shown]
	v_cvt_f32_f16_sdwa v7, v2 dst_sel:DWORD dst_unused:UNUSED_PAD src0_sel:WORD_1
	v_cvt_f32_f16_e32 v6, v2
	v_cvt_f32_f16_e32 v2, v4
	;;#ASMSTART
	v_pk_mul_f32 v[8:9], v[12:13], v[6:7]
	;;#ASMEND
	;;#ASMSTART
	v_pk_mul_f32 v[6:7], v[10:11], v[20:21]
	;;#ASMEND
	v_and_b32_e32 v10, 0x7fffffff, v8
	v_mov_b32_e32 v12, 0x2edbe6ff
	;;#ASMSTART
	v_pk_mul_f32 v[4:5], v[18:19], v[2:3]
	;;#ASMEND
	;;#ASMSTART
	v_pk_mul_f32 v[2:3], v[16:17], v[22:23]
	;;#ASMEND
	v_and_b32_e32 v11, 0x7fffffff, v9
	;;#ASMSTART
	v_max3_f32 v10, v12, v10, v11

	;;#ASMEND
	v_and_b32_e32 v12, 0x7fffffff, v7
	v_and_b32_e32 v11, 0x7fffffff, v6
	;;#ASMSTART
	v_max3_f32 v10, v10, v11, v12

	;;#ASMEND
	v_and_b32_e32 v12, 0x7fffffff, v5
	v_and_b32_e32 v11, 0x7fffffff, v4
	;;#ASMSTART
	v_max3_f32 v10, v10, v11, v12

	;;#ASMEND
	v_and_b32_e32 v12, 0x7fffffff, v3
	v_and_b32_e32 v11, 0x7fffffff, v2
	;;#ASMSTART
	v_max3_f32 v12, v10, v11, v12

	;;#ASMEND
	s_cbranch_scc0 .LBB11_10
; %bb.4:
	s_ashr_i32 s12, s14, 31
	s_lshr_b32 s2, s12, 29
	s_add_i32 s2, s14, s2
	s_ashr_i32 s10, s2, 3
	s_cmp_lt_i32 s10, 16
	s_cbranch_scc1 .LBB11_11
; %bb.5:
	s_cmp_lt_i32 s10, 32
	s_cbranch_scc1 .LBB11_12
; %bb.6:
	;; [unrolled: 3-line block ×3, first 2 shown]
	s_cmp_eq_u32 s10, 64
	v_mov_b32_e32 v10, v12
	s_cbranch_scc0 .LBB11_9
; %bb.8:
	s_nop 0
	v_mov_b32_dpp v10, v12 quad_perm:[1,0,3,2] row_mask:0xf bank_mask:0xf
	v_cmp_gt_f32_e32 vcc, v12, v10
	v_cndmask_b32_e32 v10, v10, v12, vcc
	v_bfrev_b32_e32 v13, 0.5
	s_nop 0
	v_mov_b32_dpp v11, v10 quad_perm:[2,3,0,1] row_mask:0xf bank_mask:0xf
	v_cmp_gt_f32_e32 vcc, v10, v11
	v_cndmask_b32_e32 v10, v11, v10, vcc
	s_nop 1
	v_mov_b32_dpp v11, v10 row_ror:4 row_mask:0xf bank_mask:0xf
	v_cmp_gt_f32_e32 vcc, v10, v11
	v_cndmask_b32_e32 v10, v11, v10, vcc
	s_nop 1
	v_mov_b32_dpp v11, v10 row_ror:8 row_mask:0xf bank_mask:0xf
	v_cmp_gt_f32_e32 vcc, v10, v11
	v_cndmask_b32_e32 v10, v11, v10, vcc
	s_nop 1
	v_mov_b32_dpp v11, v10 row_bcast:15 row_mask:0xf bank_mask:0xf
	v_cmp_gt_f32_e32 vcc, v10, v11
	v_cndmask_b32_e32 v10, v11, v10, vcc
	s_nop 1
	v_mov_b32_dpp v11, v10 row_bcast:31 row_mask:0xf bank_mask:0xf
	v_cmp_gt_f32_e32 vcc, v10, v11
	v_cndmask_b32_e32 v10, v11, v10, vcc
	v_mbcnt_lo_u32_b32 v11, -1, 0
	v_mbcnt_hi_u32_b32 v11, -1, v11
	v_lshl_or_b32 v11, v11, 2, v13
	ds_bpermute_b32 v10, v11, v10
.LBB11_9:
	s_mov_b64 s[2:3], 0
	s_branch .LBB11_14
.LBB11_10:
	s_mov_b64 s[2:3], 0
                                        ; implicit-def: $vgpr13
                                        ; implicit-def: $vgpr10_vgpr11
	s_cbranch_execnz .LBB11_43
	s_branch .LBB11_46
.LBB11_11:
                                        ; implicit-def: $vgpr10
	s_branch .LBB11_21
.LBB11_12:
                                        ; implicit-def: $vgpr10
	s_branch .LBB11_18
.LBB11_13:
	s_mov_b64 s[2:3], -1
                                        ; implicit-def: $vgpr10
.LBB11_14:
	s_andn2_b64 vcc, exec, s[2:3]
	s_cbranch_vccnz .LBB11_17
; %bb.15:
	s_cmp_eq_u32 s10, 32
	s_waitcnt lgkmcnt(0)
	v_mov_b32_e32 v10, v12
	s_cbranch_scc0 .LBB11_17
; %bb.16:
	s_nop 0
	v_mov_b32_dpp v10, v12 quad_perm:[1,0,3,2] row_mask:0xf bank_mask:0xf
	v_cmp_gt_f32_e32 vcc, v12, v10
	v_cndmask_b32_e32 v10, v10, v12, vcc
	v_mov_b32_e32 v13, 0x7c
	s_nop 0
	v_mov_b32_dpp v11, v10 quad_perm:[2,3,0,1] row_mask:0xf bank_mask:0xf
	v_cmp_gt_f32_e32 vcc, v10, v11
	v_cndmask_b32_e32 v10, v11, v10, vcc
	s_nop 1
	v_mov_b32_dpp v11, v10 row_half_mirror row_mask:0xf bank_mask:0xf
	v_cmp_gt_f32_e32 vcc, v10, v11
	v_cndmask_b32_e32 v10, v11, v10, vcc
	s_nop 1
	v_mov_b32_dpp v11, v10 row_mirror row_mask:0xf bank_mask:0xf
	v_cmp_gt_f32_e32 vcc, v10, v11
	v_cndmask_b32_e32 v10, v11, v10, vcc
	s_nop 1
	v_mov_b32_dpp v11, v10 row_bcast:15 row_mask:0xa bank_mask:0xf
	v_cmp_gt_f32_e32 vcc, v10, v11
	v_cndmask_b32_e32 v10, v11, v10, vcc
	v_mbcnt_lo_u32_b32 v11, -1, 0
	v_mbcnt_hi_u32_b32 v11, -1, v11
	v_lshl_or_b32 v11, v11, 2, v13
	ds_bpermute_b32 v10, v11, v10
.LBB11_17:
	s_cbranch_execnz .LBB11_20
.LBB11_18:
	s_cmp_eq_u32 s10, 16
	s_waitcnt lgkmcnt(0)
	v_mov_b32_e32 v10, v12
	s_cbranch_scc0 .LBB11_20
; %bb.19:
	s_nop 0
	v_mov_b32_dpp v10, v12 quad_perm:[1,0,3,2] row_mask:0xf bank_mask:0xf
	v_cmp_gt_f32_e32 vcc, v12, v10
	v_cndmask_b32_e32 v10, v10, v12, vcc
	s_nop 1
	v_mov_b32_dpp v11, v10 quad_perm:[2,3,0,1] row_mask:0xf bank_mask:0xf
	v_cmp_gt_f32_e32 vcc, v10, v11
	v_cndmask_b32_e32 v10, v11, v10, vcc
	s_nop 1
	v_mov_b32_dpp v11, v10 row_half_mirror row_mask:0xf bank_mask:0xf
	v_cmp_gt_f32_e32 vcc, v10, v11
	v_cndmask_b32_e32 v10, v11, v10, vcc
	s_nop 1
	v_mov_b32_dpp v11, v10 row_mirror row_mask:0xf bank_mask:0xf
	v_cmp_gt_f32_e32 vcc, v10, v11
	v_cndmask_b32_e32 v10, v11, v10, vcc
.LBB11_20:
	s_cbranch_execnz .LBB11_33
.LBB11_21:
	s_cmp_lt_i32 s10, 4
	s_cbranch_scc1 .LBB11_25
; %bb.22:
	s_cmp_lt_i32 s10, 8
	s_cbranch_scc1 .LBB11_26
; %bb.23:
	s_cmp_eq_u32 s10, 8
	s_waitcnt lgkmcnt(0)
	v_mov_b32_e32 v10, v12
	s_cbranch_scc0 .LBB11_27
; %bb.24:
	s_nop 0
	v_mov_b32_dpp v10, v12 quad_perm:[1,0,3,2] row_mask:0xf bank_mask:0xf
	v_cmp_gt_f32_e32 vcc, v12, v10
	v_cndmask_b32_e32 v10, v10, v12, vcc
	s_nop 1
	v_mov_b32_dpp v11, v10 quad_perm:[2,3,0,1] row_mask:0xf bank_mask:0xf
	v_cmp_gt_f32_e32 vcc, v10, v11
	v_cndmask_b32_e32 v10, v11, v10, vcc
	s_nop 1
	v_mov_b32_dpp v11, v10 row_half_mirror row_mask:0xf bank_mask:0xf
	v_cmp_gt_f32_e32 vcc, v10, v11
	v_cndmask_b32_e32 v10, v11, v10, vcc
	s_cbranch_execz .LBB11_28
	s_branch .LBB11_30
.LBB11_25:
                                        ; implicit-def: $vgpr10
	s_branch .LBB11_31
.LBB11_26:
                                        ; implicit-def: $vgpr10
	s_branch .LBB11_28
.LBB11_27:
	s_cbranch_execnz .LBB11_30
.LBB11_28:
	s_cmp_eq_u32 s10, 4
	s_waitcnt lgkmcnt(0)
	v_mov_b32_e32 v10, v12
	s_cbranch_scc0 .LBB11_30
; %bb.29:
	s_nop 0
	v_mov_b32_dpp v10, v12 quad_perm:[1,0,3,2] row_mask:0xf bank_mask:0xf
	v_cmp_gt_f32_e32 vcc, v12, v10
	v_cndmask_b32_e32 v10, v10, v12, vcc
	s_nop 1
	v_mov_b32_dpp v11, v10 quad_perm:[2,3,0,1] row_mask:0xf bank_mask:0xf
	v_cmp_gt_f32_e32 vcc, v10, v11
	v_cndmask_b32_e32 v10, v11, v10, vcc
.LBB11_30:
	s_cbranch_execnz .LBB11_33
.LBB11_31:
	s_cmp_lg_u32 s10, 2
	s_waitcnt lgkmcnt(0)
	v_mov_b32_e32 v10, v12
	s_cbranch_scc1 .LBB11_33
; %bb.32:
	s_nop 0
	v_mov_b32_dpp v10, v12 quad_perm:[1,0,3,2] row_mask:0xf bank_mask:0xf
	v_cmp_gt_f32_e32 vcc, v12, v10
	v_cndmask_b32_e32 v10, v10, v12, vcc
.LBB11_33:
	v_cvt_f32_u32_e32 v11, s10
	s_waitcnt lgkmcnt(0)
	v_mul_f32_e32 v13, 0x3b124925, v10
	s_sub_i32 s2, 0, s10
	v_cmp_gt_u32_e32 vcc, s9, v1
	v_rcp_iflag_f32_e32 v11, v11
	s_mov_b64 s[4:5], 0
	v_mul_f32_e32 v10, 0x4f7ffffe, v11
	v_cvt_u32_f32_e32 v10, v10
	v_mul_lo_u32 v11, s2, v10
	v_mul_hi_u32 v11, v10, v11
	v_add_u32_e32 v10, v10, v11
	v_mul_hi_u32 v10, v0, v10
	v_mul_lo_u32 v11, v10, s10
	v_sub_u32_e32 v11, v0, v11
	v_add_u32_e32 v15, 1, v10
	v_cmp_le_u32_e64 s[2:3], s10, v11
	v_cndmask_b32_e64 v10, v10, v15, s[2:3]
	v_subrev_u32_e32 v15, s10, v11
	v_cndmask_b32_e64 v11, v11, v15, s[2:3]
	v_add_u32_e32 v15, 1, v10
	v_cmp_le_u32_e64 s[2:3], s10, v11
	v_cndmask_b32_e64 v15, v10, v15, s[2:3]
	v_mul_lo_u32 v10, v15, s10
	v_sub_u32_e32 v10, v0, v10
	v_cmp_eq_u32_e64 s[2:3], 0, v10
	s_and_b64 s[10:11], s[2:3], vcc
	s_mov_b64 s[2:3], 0
                                        ; implicit-def: $vgpr10_vgpr11
	s_and_saveexec_b64 s[18:19], s[10:11]
	s_xor_b64 s[10:11], exec, s[18:19]
	s_cbranch_execz .LBB11_42
; %bb.34:
	s_bitcmp0_b32 s15, 0
	s_cbranch_scc0 .LBB11_39
; %bb.35:
	s_ashr_i32 s2, s9, 31
	s_mul_hi_u32 s3, s9, s6
	s_mul_i32 s2, s2, s6
	s_add_i32 s19, s3, s2
	s_mul_i32 s18, s9, s6
	s_mov_b32 s15, s12
	s_or_b64 s[2:3], s[18:19], s[14:15]
	s_mov_b32 s2, 0
	s_cmp_lg_u64 s[2:3], 0
	s_cbranch_scc0 .LBB11_50
; %bb.36:
	s_add_u32 s2, s14, s15
	s_mov_b32 s24, s15
	s_mov_b32 s25, s15
	s_addc_u32 s3, s15, s15
	s_xor_b64 s[26:27], s[2:3], s[24:25]
	v_cvt_f32_u32_e32 v10, s26
	v_cvt_f32_u32_e32 v11, s27
	s_sub_u32 s2, 0, s26
	s_subb_u32 s3, 0, s27
	v_madmk_f32 v10, v11, 0x4f800000, v10
	v_rcp_f32_e32 v10, v10
	v_mul_f32_e32 v10, 0x5f7ffffc, v10
	v_mul_f32_e32 v11, 0x2f800000, v10
	v_trunc_f32_e32 v11, v11
	v_madmk_f32 v10, v11, 0xcf800000, v10
	v_cvt_u32_f32_e32 v11, v11
	v_cvt_u32_f32_e32 v10, v10
	v_readfirstlane_b32 s12, v11
	v_readfirstlane_b32 s15, v10
	s_mul_i32 s28, s2, s12
	s_mul_hi_u32 s30, s2, s15
	s_mul_i32 s29, s3, s15
	s_add_i32 s28, s30, s28
	s_add_i32 s28, s28, s29
	s_mul_i32 s31, s2, s15
	s_mul_hi_u32 s29, s15, s28
	s_mul_i32 s30, s15, s28
	s_mul_hi_u32 s15, s15, s31
	s_add_u32 s15, s15, s30
	s_addc_u32 s29, 0, s29
	s_mul_hi_u32 s33, s12, s31
	s_mul_i32 s31, s12, s31
	s_add_u32 s15, s15, s31
	s_mul_hi_u32 s30, s12, s28
	s_addc_u32 s15, s29, s33
	s_addc_u32 s29, s30, 0
	s_mul_i32 s28, s12, s28
	s_add_u32 s15, s15, s28
	s_addc_u32 s28, 0, s29
	v_add_co_u32_e32 v10, vcc, s15, v10
	s_cmp_lg_u64 vcc, 0
	s_addc_u32 s12, s12, s28
	v_readfirstlane_b32 s28, v10
	s_mul_i32 s15, s2, s12
	s_mul_hi_u32 s29, s2, s28
	s_add_i32 s15, s29, s15
	s_mul_i32 s3, s3, s28
	s_add_i32 s15, s15, s3
	s_mul_i32 s2, s2, s28
	s_mul_hi_u32 s29, s12, s2
	s_mul_i32 s30, s12, s2
	s_mul_i32 s33, s28, s15
	s_mul_hi_u32 s2, s28, s2
	s_mul_hi_u32 s31, s28, s15
	s_add_u32 s2, s2, s33
	s_addc_u32 s28, 0, s31
	s_add_u32 s2, s2, s30
	s_mul_hi_u32 s3, s12, s15
	s_addc_u32 s2, s28, s29
	s_addc_u32 s3, s3, 0
	s_mul_i32 s15, s12, s15
	s_add_u32 s2, s2, s15
	s_addc_u32 s3, 0, s3
	v_add_co_u32_e32 v10, vcc, s2, v10
	s_cmp_lg_u64 vcc, 0
	s_addc_u32 s12, s12, s3
	s_ashr_i32 s28, s19, 31
	s_add_u32 s2, s18, s28
	s_mov_b32 s29, s28
	s_addc_u32 s3, s19, s28
	s_xor_b64 s[30:31], s[2:3], s[28:29]
	v_readfirstlane_b32 s15, v10
	s_mul_i32 s3, s30, s12
	s_mul_hi_u32 s19, s30, s15
	s_mul_hi_u32 s2, s30, s12
	s_add_u32 s3, s19, s3
	s_addc_u32 s2, 0, s2
	s_mul_hi_u32 s33, s31, s15
	s_mul_i32 s15, s31, s15
	s_add_u32 s3, s3, s15
	s_mul_hi_u32 s19, s31, s12
	s_addc_u32 s2, s2, s33
	s_addc_u32 s3, s19, 0
	s_mul_i32 s12, s31, s12
	s_add_u32 s12, s2, s12
	s_addc_u32 s15, 0, s3
	s_mul_i32 s2, s26, s15
	s_mul_hi_u32 s3, s26, s12
	s_add_i32 s2, s3, s2
	s_mul_i32 s3, s27, s12
	s_add_i32 s19, s2, s3
	s_mul_i32 s3, s26, s12
	v_mov_b32_e32 v10, s3
	s_sub_i32 s2, s31, s19
	v_sub_co_u32_e32 v10, vcc, s30, v10
	s_cmp_lg_u64 vcc, 0
	s_subb_u32 s30, s2, s27
	v_subrev_co_u32_e64 v11, s[2:3], s26, v10
	s_cmp_lg_u64 s[2:3], 0
	s_subb_u32 s30, s30, 0
	s_cmp_ge_u32 s30, s27
	s_cselect_b32 s33, -1, 0
	v_cmp_le_u32_e64 s[2:3], s26, v11
	s_cmp_eq_u32 s30, s27
	v_cndmask_b32_e64 v11, 0, -1, s[2:3]
	v_mov_b32_e32 v16, s33
	s_cselect_b64 s[2:3], -1, 0
	v_cndmask_b32_e64 v11, v16, v11, s[2:3]
	s_add_u32 s2, s12, 1
	s_addc_u32 s30, s15, 0
	s_add_u32 s3, s12, 2
	s_addc_u32 s33, s15, 0
	v_mov_b32_e32 v16, s2
	v_mov_b32_e32 v17, s3
	v_cmp_ne_u32_e64 s[2:3], 0, v11
	v_cndmask_b32_e64 v11, v16, v17, s[2:3]
	v_mov_b32_e32 v16, s30
	v_mov_b32_e32 v17, s33
	s_cmp_lg_u64 vcc, 0
	v_cndmask_b32_e64 v16, v16, v17, s[2:3]
	s_subb_u32 s2, s31, s19
	s_cmp_ge_u32 s2, s27
	s_cselect_b32 s3, -1, 0
	v_cmp_le_u32_e32 vcc, s26, v10
	s_cmp_eq_u32 s2, s27
	v_cndmask_b32_e64 v10, 0, -1, vcc
	v_mov_b32_e32 v17, s3
	s_cselect_b64 vcc, -1, 0
	v_cndmask_b32_e32 v10, v17, v10, vcc
	v_mov_b32_e32 v17, s15
	v_cmp_ne_u32_e32 vcc, 0, v10
	v_cndmask_b32_e32 v10, v17, v16, vcc
	v_mov_b32_e32 v16, s12
	v_cndmask_b32_e32 v11, v16, v11, vcc
	s_xor_b64 s[2:3], s[28:29], s[24:25]
	v_xor_b32_e32 v11, s2, v11
	v_xor_b32_e32 v16, s3, v10
	v_mov_b32_e32 v17, s3
	v_subrev_co_u32_e32 v10, vcc, s2, v11
	v_subb_co_u32_e32 v11, vcc, v16, v17, vcc
	s_cbranch_execnz .LBB11_38
.LBB11_37:
	v_cvt_f32_u32_e32 v10, s14
	s_sub_i32 s2, 0, s14
	s_mov_b32 s3, 0
	v_rcp_iflag_f32_e32 v10, v10
	v_mul_f32_e32 v10, 0x4f7ffffe, v10
	v_cvt_u32_f32_e32 v10, v10
	v_readfirstlane_b32 s12, v10
	s_mul_i32 s2, s2, s12
	s_mul_hi_u32 s2, s12, s2
	s_add_i32 s12, s12, s2
	s_mul_hi_u32 s2, s18, s12
	s_mul_i32 s15, s2, s14
	s_sub_i32 s15, s18, s15
	s_add_i32 s12, s2, 1
	s_sub_i32 s18, s15, s14
	s_cmp_ge_u32 s15, s14
	s_cselect_b32 s2, s12, s2
	s_cselect_b32 s15, s18, s15
	s_add_i32 s12, s2, 1
	s_cmp_ge_u32 s15, s14
	s_cselect_b32 s2, s12, s2
	v_pk_mov_b32 v[10:11], s[2:3], s[2:3] op_sel:[0,1]
.LBB11_38:
	v_add_co_u32_e32 v10, vcc, v10, v15
	v_addc_co_u32_e32 v11, vcc, 0, v11, vcc
	s_branch .LBB11_41
.LBB11_39:
                                        ; implicit-def: $vgpr10_vgpr11
	s_cbranch_execz .LBB11_41
; %bb.40:
	v_mul_lo_u32 v10, v15, s8
	v_ashrrev_i32_e32 v11, 31, v10
	v_mov_b32_e32 v15, s7
	v_add_co_u32_e32 v10, vcc, s6, v10
	v_addc_co_u32_e32 v11, vcc, v11, v15, vcc
.LBB11_41:
	s_mov_b64 s[2:3], exec
.LBB11_42:
	s_or_b64 exec, exec, s[10:11]
	s_and_b64 vcc, exec, s[4:5]
	s_cbranch_vccz .LBB11_46
.LBB11_43:
	v_mov_b32_dpp v10, v12 quad_perm:[1,0,3,2] row_mask:0xf bank_mask:0xf
	v_cmp_gt_f32_e32 vcc, v12, v10
	v_cndmask_b32_e32 v10, v10, v12, vcc
	s_nop 1
	v_mov_b32_dpp v11, v10 quad_perm:[2,3,0,1] row_mask:0xf bank_mask:0xf
	v_cmp_gt_f32_e32 vcc, v10, v11
	v_cndmask_b32_e32 v10, v11, v10, vcc
	s_nop 1
	v_mov_b32_dpp v11, v10 row_half_mirror row_mask:0xf bank_mask:0xf
	v_cmp_gt_f32_e32 vcc, v10, v11
	v_cndmask_b32_e32 v10, v11, v10, vcc
	s_nop 1
	v_mov_b32_dpp v11, v10 row_mirror row_mask:0xf bank_mask:0xf
	v_cmp_gt_f32_e32 vcc, v10, v11
	v_cndmask_b32_e32 v10, v11, v10, vcc
	s_nop 1
	v_mov_b32_dpp v11, v10 row_bcast:15 row_mask:0xf bank_mask:0xf
	v_cmp_gt_f32_e32 vcc, v10, v11
	v_cndmask_b32_e32 v10, v11, v10, vcc
	s_nop 1
	v_mov_b32_dpp v11, v10 row_bcast:31 row_mask:0xf bank_mask:0xf
	s_and_saveexec_b64 s[2:3], s[0:1]
	s_cbranch_execz .LBB11_45
; %bb.44:
	v_lshrrev_b32_e32 v12, 4, v0
	v_cmp_gt_f32_e32 vcc, v10, v11
	v_and_b32_e32 v12, 60, v12
	v_cndmask_b32_e32 v10, v11, v10, vcc
	ds_write_b32 v12, v10
.LBB11_45:
	s_or_b64 exec, exec, s[2:3]
	s_waitcnt lgkmcnt(0)
	s_barrier
	ds_read_b32 v10, v14
	v_cmp_eq_u32_e64 s[2:3], 0, v0
	s_waitcnt lgkmcnt(0)
	v_mov_b32_dpp v11, v10 quad_perm:[1,0,3,2] row_mask:0xf bank_mask:0xf
	v_cmp_gt_f32_e32 vcc, v10, v11
	v_cndmask_b32_e32 v10, v11, v10, vcc
	s_nop 1
	v_mov_b32_dpp v11, v10 quad_perm:[2,3,0,1] row_mask:0xf bank_mask:0xf
	v_cmp_gt_f32_e32 vcc, v10, v11
	v_cndmask_b32_e32 v10, v11, v10, vcc
	v_mul_f32_e32 v13, 0x3b124925, v10
	v_pk_mov_b32 v[10:11], s[6:7], s[6:7] op_sel:[0,1]
.LBB11_46:
	s_and_saveexec_b64 s[0:1], s[2:3]
	s_cbranch_execz .LBB11_48
; %bb.47:
	v_lshlrev_b64 v[10:11], 2, v[10:11]
	v_mov_b32_e32 v0, s21
	v_add_co_u32_e32 v10, vcc, s20, v10
	v_addc_co_u32_e32 v11, vcc, v0, v11, vcc
	global_store_dword v[10:11], v13, off
.LBB11_48:
	s_or_b64 exec, exec, s[0:1]
	s_add_i32 s0, s9, 3
	;;#ASMSTART
	v_rcp_f32 v10, v13
	;;#ASMEND
	v_mov_b32_e32 v11, v10
	;;#ASMSTART
	v_pk_mul_f32 v[8:9], v[8:9], v[10:11]
	;;#ASMEND
	s_ashr_i32 s1, s0, 31
	v_mov_b32_e32 v0, 0xc3e00000
	v_mov_b32_e32 v12, 0x43e00000
	;;#ASMSTART
	v_med3_f32 v8, v8, v0, v12
v_med3_f32 v9, v9, v0, v12
v_cvt_pk_fp8_f32 v13, v8, v9
	;;#ASMEND
	;;#ASMSTART
	v_pk_mul_f32 v[6:7], v[6:7], v[10:11]
	;;#ASMEND
	s_lshr_b32 s1, s1, 30
	;;#ASMSTART
	v_med3_f32 v6, v6, v0, v12
v_med3_f32 v7, v7, v0, v12
v_cvt_pk_fp8_f32 v8, v6, v7
	;;#ASMEND
	s_mov_b32 s5, 0x5040100
	s_add_i32 s0, s0, s1
	v_perm_b32 v7, v8, v13, s5
	s_movk_i32 s5, 0xff
	s_and_b32 s2, s0, -4
	s_ashr_i32 s0, s13, 31
	v_and_b32_e32 v6, 0xffffff00, v8
	v_and_b32_sdwa v8, v7, s5 dst_sel:DWORD dst_unused:UNUSED_PAD src0_sel:WORD_1 src1_sel:DWORD
	s_mul_hi_u32 s1, s13, s6
	s_mul_i32 s0, s0, s6
	s_mov_b32 s4, 0xffff
	v_or_b32_sdwa v6, v8, v6 dst_sel:WORD_1 dst_unused:UNUSED_PAD src0_sel:DWORD src1_sel:DWORD
	;;#ASMSTART
	v_pk_mul_f32 v[4:5], v[4:5], v[10:11]
	;;#ASMEND
	s_add_i32 s1, s1, s0
	s_mul_i32 s0, s13, s6
	v_and_or_b32 v6, v7, s4, v6
	;;#ASMSTART
	v_med3_f32 v4, v4, v0, v12
v_med3_f32 v5, v5, v0, v12
v_cvt_pk_fp8_f32 v7, v4, v5
	;;#ASMEND
	;;#ASMSTART
	v_pk_mul_f32 v[2:3], v[2:3], v[10:11]
	;;#ASMEND
	s_add_u32 s0, s16, s0
	;;#ASMSTART
	v_med3_f32 v2, v2, v0, v12
v_med3_f32 v3, v3, v0, v12
v_cvt_pk_fp8_f32 v0, v2, v3
	;;#ASMEND
	s_addc_u32 s1, s17, s1
	v_lshlrev_b32_e32 v0, 16, v0
	s_and_b32 s1, s1, 0xffff
	s_mov_b32 s3, 0x20000
	v_and_or_b32 v7, v7, s4, v0
	buffer_store_dwordx2 v[6:7], v1, s[0:3], 0 offen
	;;#ASMSTART
	s_nop 0
	;;#ASMEND
.LBB11_49:
	s_endpgm
.LBB11_50:
                                        ; implicit-def: $vgpr10_vgpr11
	s_branch .LBB11_37
	.section	.rodata,"a",@progbits
	.p2align	6, 0x0
	.amdhsa_kernel _ZN5aiter24add_rmsnorm_quant_kernelIDF16_DB8_Li256ELi8ELb1ELb1ELb0ELi1EEEvPT0_PT_PfS5_S5_S5_diiiiiiib
		.amdhsa_group_segment_fixed_size 32
		.amdhsa_private_segment_fixed_size 0
		.amdhsa_kernarg_size 88
		.amdhsa_user_sgpr_count 6
		.amdhsa_user_sgpr_private_segment_buffer 1
		.amdhsa_user_sgpr_dispatch_ptr 0
		.amdhsa_user_sgpr_queue_ptr 0
		.amdhsa_user_sgpr_kernarg_segment_ptr 1
		.amdhsa_user_sgpr_dispatch_id 0
		.amdhsa_user_sgpr_flat_scratch_init 0
		.amdhsa_user_sgpr_kernarg_preload_length 0
		.amdhsa_user_sgpr_kernarg_preload_offset 0
		.amdhsa_user_sgpr_private_segment_size 0
		.amdhsa_uses_dynamic_stack 0
		.amdhsa_system_sgpr_private_segment_wavefront_offset 0
		.amdhsa_system_sgpr_workgroup_id_x 1
		.amdhsa_system_sgpr_workgroup_id_y 0
		.amdhsa_system_sgpr_workgroup_id_z 0
		.amdhsa_system_sgpr_workgroup_info 0
		.amdhsa_system_vgpr_workitem_id 0
		.amdhsa_next_free_vgpr 32
		.amdhsa_next_free_sgpr 40
		.amdhsa_accum_offset 32
		.amdhsa_reserve_vcc 1
		.amdhsa_reserve_flat_scratch 0
		.amdhsa_float_round_mode_32 0
		.amdhsa_float_round_mode_16_64 0
		.amdhsa_float_denorm_mode_32 3
		.amdhsa_float_denorm_mode_16_64 3
		.amdhsa_dx10_clamp 1
		.amdhsa_ieee_mode 1
		.amdhsa_fp16_overflow 0
		.amdhsa_tg_split 0
		.amdhsa_exception_fp_ieee_invalid_op 0
		.amdhsa_exception_fp_denorm_src 0
		.amdhsa_exception_fp_ieee_div_zero 0
		.amdhsa_exception_fp_ieee_overflow 0
		.amdhsa_exception_fp_ieee_underflow 0
		.amdhsa_exception_fp_ieee_inexact 0
		.amdhsa_exception_int_div_zero 0
	.end_amdhsa_kernel
	.section	.text._ZN5aiter24add_rmsnorm_quant_kernelIDF16_DB8_Li256ELi8ELb1ELb1ELb0ELi1EEEvPT0_PT_PfS5_S5_S5_diiiiiiib,"axG",@progbits,_ZN5aiter24add_rmsnorm_quant_kernelIDF16_DB8_Li256ELi8ELb1ELb1ELb0ELi1EEEvPT0_PT_PfS5_S5_S5_diiiiiiib,comdat
.Lfunc_end11:
	.size	_ZN5aiter24add_rmsnorm_quant_kernelIDF16_DB8_Li256ELi8ELb1ELb1ELb0ELi1EEEvPT0_PT_PfS5_S5_S5_diiiiiiib, .Lfunc_end11-_ZN5aiter24add_rmsnorm_quant_kernelIDF16_DB8_Li256ELi8ELb1ELb1ELb0ELi1EEEvPT0_PT_PfS5_S5_S5_diiiiiiib
                                        ; -- End function
	.section	.AMDGPU.csdata,"",@progbits
; Kernel info:
; codeLenInByte = 3380
; NumSgprs: 44
; NumVgprs: 32
; NumAgprs: 0
; TotalNumVgprs: 32
; ScratchSize: 0
; MemoryBound: 0
; FloatMode: 240
; IeeeMode: 1
; LDSByteSize: 32 bytes/workgroup (compile time only)
; SGPRBlocks: 5
; VGPRBlocks: 3
; NumSGPRsForWavesPerEU: 44
; NumVGPRsForWavesPerEU: 32
; AccumOffset: 32
; Occupancy: 8
; WaveLimiterHint : 0
; COMPUTE_PGM_RSRC2:SCRATCH_EN: 0
; COMPUTE_PGM_RSRC2:USER_SGPR: 6
; COMPUTE_PGM_RSRC2:TRAP_HANDLER: 0
; COMPUTE_PGM_RSRC2:TGID_X_EN: 1
; COMPUTE_PGM_RSRC2:TGID_Y_EN: 0
; COMPUTE_PGM_RSRC2:TGID_Z_EN: 0
; COMPUTE_PGM_RSRC2:TIDIG_COMP_CNT: 0
; COMPUTE_PGM_RSRC3_GFX90A:ACCUM_OFFSET: 7
; COMPUTE_PGM_RSRC3_GFX90A:TG_SPLIT: 0
	.section	.text._ZN5aiter24add_rmsnorm_quant_kernelItDB8_Li256ELi8ELb1ELb1ELb0ELi1EEEvPT0_PT_PfS5_S5_S5_diiiiiiib,"axG",@progbits,_ZN5aiter24add_rmsnorm_quant_kernelItDB8_Li256ELi8ELb1ELb1ELb0ELi1EEEvPT0_PT_PfS5_S5_S5_diiiiiiib,comdat
	.protected	_ZN5aiter24add_rmsnorm_quant_kernelItDB8_Li256ELi8ELb1ELb1ELb0ELi1EEEvPT0_PT_PfS5_S5_S5_diiiiiiib ; -- Begin function _ZN5aiter24add_rmsnorm_quant_kernelItDB8_Li256ELi8ELb1ELb1ELb0ELi1EEEvPT0_PT_PfS5_S5_S5_diiiiiiib
	.globl	_ZN5aiter24add_rmsnorm_quant_kernelItDB8_Li256ELi8ELb1ELb1ELb0ELi1EEEvPT0_PT_PfS5_S5_S5_diiiiiiib
	.p2align	8
	.type	_ZN5aiter24add_rmsnorm_quant_kernelItDB8_Li256ELi8ELb1ELb1ELb0ELi1EEEvPT0_PT_PfS5_S5_S5_diiiiiiib,@function
_ZN5aiter24add_rmsnorm_quant_kernelItDB8_Li256ELi8ELb1ELb1ELb0ELi1EEEvPT0_PT_PfS5_S5_S5_diiiiiiib: ; @_ZN5aiter24add_rmsnorm_quant_kernelItDB8_Li256ELi8ELb1ELb1ELb0ELi1EEEvPT0_PT_PfS5_S5_S5_diiiiiiib
; %bb.0:
	s_load_dwordx8 s[8:15], s[4:5], 0x38
	s_mov_b32 s7, 0
	s_waitcnt lgkmcnt(0)
	s_ashr_i32 s0, s8, 31
	v_mov_b32_e32 v2, s8
	v_mov_b32_e32 v3, s0
	v_cmp_ge_i64_e32 vcc, s[6:7], v[2:3]
	s_cbranch_vccnz .LBB12_49
; %bb.1:
	s_load_dwordx8 s[16:23], s[4:5], 0x0
	s_load_dwordx8 s[24:31], s[4:5], 0x20
	s_ashr_i32 s0, s10, 31
	s_mul_hi_u32 s1, s10, s6
	s_mul_i32 s0, s0, s6
	s_add_i32 s1, s1, s0
	s_mul_i32 s0, s10, s6
	s_lshl_b64 s[0:1], s[0:1], 1
	s_waitcnt lgkmcnt(0)
	s_add_u32 s0, s22, s0
	s_addc_u32 s1, s23, s1
	s_add_i32 s2, s9, 1
	s_lshr_b32 s3, s2, 31
	s_add_i32 s2, s2, s3
	s_lshl_b32 s2, s2, 1
	s_and_b32 s2, s2, -4
	s_and_b32 s1, s1, 0xffff
	s_mov_b32 s3, 0x20000
	v_lshlrev_b32_e32 v1, 4, v0
	buffer_load_dwordx4 v[6:9], v1, s[0:3], 0 offen glc slc
	s_ashr_i32 s0, s11, 31
	s_mul_hi_u32 s1, s11, s6
	s_mul_i32 s0, s0, s6
	s_add_i32 s1, s1, s0
	s_mul_i32 s0, s11, s6
	s_and_b32 s37, s27, 0xffff
	s_lshl_b64 s[0:1], s[0:1], 1
	s_add_u32 s0, s24, s0
	s_addc_u32 s1, s25, s1
	s_and_b32 s1, s1, 0xffff
	buffer_load_dwordx4 v[10:13], v1, s[0:3], 0 offen glc slc
	s_mov_b32 s39, s3
	s_mov_b32 s36, s26
	;; [unrolled: 1-line block ×3, first 2 shown]
	buffer_load_dwordx4 v[2:5], v1, s[36:39], 0 offen
	s_ashr_i32 s5, s12, 31
	s_mul_hi_u32 s1, s12, s6
	s_mul_i32 s5, s5, s6
	s_mul_i32 s0, s12, s6
	s_add_i32 s1, s1, s5
	s_lshl_b64 s[0:1], s[0:1], 1
	s_add_u32 s0, s18, s0
	s_mov_b32 s4, 0x7060302
	s_addc_u32 s1, s19, s1
	s_and_b32 s1, s1, 0xffff
	v_and_b32_e32 v26, 63, v0
	s_waitcnt vmcnt(2)
	v_cvt_f32_u32_sdwa v15, v6 dst_sel:DWORD dst_unused:UNUSED_PAD src0_sel:WORD_1
	v_cvt_f32_u32_sdwa v14, v6 dst_sel:DWORD dst_unused:UNUSED_PAD src0_sel:WORD_0
	v_cvt_f32_u32_sdwa v17, v7 dst_sel:DWORD dst_unused:UNUSED_PAD src0_sel:WORD_1
	v_cvt_f32_u32_sdwa v16, v7 dst_sel:DWORD dst_unused:UNUSED_PAD src0_sel:WORD_0
	;; [unrolled: 2-line block ×4, first 2 shown]
	s_waitcnt vmcnt(1)
	v_cvt_f32_u32_sdwa v9, v10 dst_sel:DWORD dst_unused:UNUSED_PAD src0_sel:WORD_1
	v_cvt_f32_u32_sdwa v8, v10 dst_sel:DWORD dst_unused:UNUSED_PAD src0_sel:WORD_0
	v_cvt_f32_u32_sdwa v21, v11 dst_sel:DWORD dst_unused:UNUSED_PAD src0_sel:WORD_1
	v_cvt_f32_u32_sdwa v20, v11 dst_sel:DWORD dst_unused:UNUSED_PAD src0_sel:WORD_0
	;; [unrolled: 2-line block ×4, first 2 shown]
	v_pk_add_f32 v[12:13], v[14:15], v[8:9]
	v_pk_add_f32 v[10:11], v[16:17], v[20:21]
	;; [unrolled: 1-line block ×4, first 2 shown]
	v_perm_b32 v17, v7, v6, s4
	v_perm_b32 v16, v9, v8, s4
	;; [unrolled: 1-line block ×4, first 2 shown]
	v_pk_mul_f32 v[18:19], v[12:13], v[12:13]
	v_pk_mul_f32 v[20:21], v[10:11], v[10:11]
	buffer_store_dwordx4 v[14:17], v1, s[0:3], 0 offen glc slc
	v_add_f32_e32 v1, v18, v19
	v_add_f32_e32 v1, v20, v1
	v_pk_mul_f32 v[22:23], v[8:9], v[8:9]
	v_add_f32_e32 v1, v21, v1
	v_add_f32_e32 v1, v22, v1
	v_pk_mul_f32 v[24:25], v[6:7], v[6:7]
	v_add_f32_e32 v1, v23, v1
	v_add_f32_e32 v1, v24, v1
	;; [unrolled: 1-line block ×3, first 2 shown]
	v_cmp_eq_u32_e64 s[0:1], 63, v26
	;;#ASMSTART
	s_nop 0
	;;#ASMEND
	s_nop 0
	v_mov_b32_dpp v14, v1 quad_perm:[1,0,3,2] row_mask:0xf bank_mask:0xf
	v_add_f32_e32 v1, v1, v14
	s_nop 1
	v_mov_b32_dpp v14, v1 quad_perm:[2,3,0,1] row_mask:0xf bank_mask:0xf
	v_add_f32_e32 v1, v1, v14
	s_nop 1
	v_mov_b32_dpp v14, v1 row_half_mirror row_mask:0xf bank_mask:0xf
	v_add_f32_e32 v1, v1, v14
	s_nop 1
	v_mov_b32_dpp v14, v1 row_mirror row_mask:0xf bank_mask:0xf
	v_add_f32_e32 v1, v1, v14
	s_nop 1
	v_mov_b32_dpp v14, v1 row_bcast:15 row_mask:0xf bank_mask:0xf
	v_add_f32_e32 v1, v1, v14
	s_nop 1
	v_mov_b32_dpp v14, v1 row_bcast:31 row_mask:0xf bank_mask:0xf
	s_and_saveexec_b64 s[2:3], s[0:1]
	s_cbranch_execz .LBB12_3
; %bb.2:
	v_lshrrev_b32_e32 v15, 4, v0
	v_and_b32_e32 v15, 60, v15
	v_add_f32_e32 v1, v1, v14
	ds_write_b32 v15, v1 offset:16
.LBB12_3:
	s_or_b64 exec, exec, s[2:3]
	v_and_b32_e32 v1, 3, v0
	v_lshlrev_b32_e32 v14, 2, v1
	s_waitcnt lgkmcnt(0)
	s_barrier
	ds_read_b32 v1, v14 offset:16
	v_cvt_f32_i32_e32 v15, s9
	s_waitcnt vmcnt(1)
	v_cvt_f32_u32_sdwa v21, v3 dst_sel:DWORD dst_unused:UNUSED_PAD src0_sel:WORD_1
	v_cvt_f32_u32_sdwa v23, v5 dst_sel:DWORD dst_unused:UNUSED_PAD src0_sel:WORD_1
	v_cvt_f32_u32_sdwa v22, v5 dst_sel:DWORD dst_unused:UNUSED_PAD src0_sel:WORD_0
	s_waitcnt lgkmcnt(0)
	v_mov_b32_dpp v16, v1 quad_perm:[1,0,3,2] row_mask:0xf bank_mask:0xf
	v_add_f32_e32 v1, v1, v16
	s_cmp_lg_u32 s14, 0
	s_nop 0
	v_mov_b32_dpp v16, v1 quad_perm:[2,3,0,1] row_mask:0xf bank_mask:0xf
	v_add_f32_e32 v1, v1, v16
	v_div_scale_f32 v16, s[2:3], v15, v15, v1
	v_rcp_f32_e32 v17, v16
	v_div_scale_f32 v18, vcc, v1, v15, v1
	s_mov_b32 s2, 0x800000
	v_fma_f32 v19, -v16, v17, 1.0
	v_fmac_f32_e32 v17, v19, v17
	v_mul_f32_e32 v19, v18, v17
	v_fma_f32 v20, -v16, v19, v18
	v_fmac_f32_e32 v19, v20, v17
	v_fma_f32 v16, -v16, v19, v18
	v_div_fmas_f32 v16, v16, v17, v19
	v_div_fixup_f32 v1, v16, v15, v1
	v_cvt_f64_f32_e32 v[16:17], v1
	v_add_f64 v[16:17], v[16:17], s[28:29]
	v_cvt_f32_f64_e32 v1, v[16:17]
	v_mul_f32_e32 v15, 0x4b800000, v1
	v_cmp_gt_f32_e32 vcc, s2, v1
	v_cndmask_b32_e32 v1, v1, v15, vcc
	v_rsq_f32_e32 v15, v1
	v_cvt_f32_u32_sdwa v20, v3 dst_sel:DWORD dst_unused:UNUSED_PAD src0_sel:WORD_0
	v_cvt_f32_u32_sdwa v3, v4 dst_sel:DWORD dst_unused:UNUSED_PAD src0_sel:WORD_1
	v_lshlrev_b32_e32 v1, 3, v0
	v_mul_f32_e32 v16, 0x45800000, v15
	v_cndmask_b32_e32 v16, v15, v16, vcc
	v_mov_b32_e32 v17, v16
	;;#ASMSTART
	v_pk_mul_f32 v[12:13], v[12:13], v[16:17]
	;;#ASMEND
	;;#ASMSTART
	v_pk_mul_f32 v[10:11], v[10:11], v[16:17]
	;;#ASMEND
	;; [unrolled: 3-line block ×4, first 2 shown]
	v_cvt_f32_u32_sdwa v7, v2 dst_sel:DWORD dst_unused:UNUSED_PAD src0_sel:WORD_1
	v_cvt_f32_u32_sdwa v6, v2 dst_sel:DWORD dst_unused:UNUSED_PAD src0_sel:WORD_0
	v_cvt_f32_u32_sdwa v2, v4 dst_sel:DWORD dst_unused:UNUSED_PAD src0_sel:WORD_0
	;;#ASMSTART
	v_pk_mul_f32 v[8:9], v[12:13], v[6:7]
	;;#ASMEND
	;;#ASMSTART
	v_pk_mul_f32 v[6:7], v[10:11], v[20:21]
	;;#ASMEND
	v_and_b32_e32 v10, 0x7fffffff, v8
	v_mov_b32_e32 v12, 0x2edbe6ff
	;;#ASMSTART
	v_pk_mul_f32 v[4:5], v[18:19], v[2:3]
	;;#ASMEND
	;;#ASMSTART
	v_pk_mul_f32 v[2:3], v[16:17], v[22:23]
	;;#ASMEND
	v_and_b32_e32 v11, 0x7fffffff, v9
	;;#ASMSTART
	v_max3_f32 v10, v12, v10, v11

	;;#ASMEND
	v_and_b32_e32 v12, 0x7fffffff, v7
	v_and_b32_e32 v11, 0x7fffffff, v6
	;;#ASMSTART
	v_max3_f32 v10, v10, v11, v12

	;;#ASMEND
	v_and_b32_e32 v12, 0x7fffffff, v5
	;; [unrolled: 6-line block ×3, first 2 shown]
	v_and_b32_e32 v11, 0x7fffffff, v2
	;;#ASMSTART
	v_max3_f32 v12, v10, v11, v12

	;;#ASMEND
	s_cbranch_scc0 .LBB12_10
; %bb.4:
	s_ashr_i32 s12, s14, 31
	s_lshr_b32 s2, s12, 29
	s_add_i32 s2, s14, s2
	s_ashr_i32 s10, s2, 3
	s_cmp_lt_i32 s10, 16
	s_cbranch_scc1 .LBB12_11
; %bb.5:
	s_cmp_lt_i32 s10, 32
	s_cbranch_scc1 .LBB12_12
; %bb.6:
	;; [unrolled: 3-line block ×3, first 2 shown]
	s_cmp_eq_u32 s10, 64
	v_mov_b32_e32 v10, v12
	s_cbranch_scc0 .LBB12_9
; %bb.8:
	s_nop 0
	v_mov_b32_dpp v10, v12 quad_perm:[1,0,3,2] row_mask:0xf bank_mask:0xf
	v_cmp_gt_f32_e32 vcc, v12, v10
	v_cndmask_b32_e32 v10, v10, v12, vcc
	v_bfrev_b32_e32 v13, 0.5
	s_nop 0
	v_mov_b32_dpp v11, v10 quad_perm:[2,3,0,1] row_mask:0xf bank_mask:0xf
	v_cmp_gt_f32_e32 vcc, v10, v11
	v_cndmask_b32_e32 v10, v11, v10, vcc
	s_nop 1
	v_mov_b32_dpp v11, v10 row_ror:4 row_mask:0xf bank_mask:0xf
	v_cmp_gt_f32_e32 vcc, v10, v11
	v_cndmask_b32_e32 v10, v11, v10, vcc
	s_nop 1
	v_mov_b32_dpp v11, v10 row_ror:8 row_mask:0xf bank_mask:0xf
	v_cmp_gt_f32_e32 vcc, v10, v11
	v_cndmask_b32_e32 v10, v11, v10, vcc
	s_nop 1
	v_mov_b32_dpp v11, v10 row_bcast:15 row_mask:0xf bank_mask:0xf
	v_cmp_gt_f32_e32 vcc, v10, v11
	v_cndmask_b32_e32 v10, v11, v10, vcc
	s_nop 1
	v_mov_b32_dpp v11, v10 row_bcast:31 row_mask:0xf bank_mask:0xf
	v_cmp_gt_f32_e32 vcc, v10, v11
	v_cndmask_b32_e32 v10, v11, v10, vcc
	v_mbcnt_lo_u32_b32 v11, -1, 0
	v_mbcnt_hi_u32_b32 v11, -1, v11
	v_lshl_or_b32 v11, v11, 2, v13
	ds_bpermute_b32 v10, v11, v10
.LBB12_9:
	s_mov_b64 s[2:3], 0
	s_branch .LBB12_14
.LBB12_10:
	s_mov_b64 s[2:3], 0
                                        ; implicit-def: $vgpr13
                                        ; implicit-def: $vgpr10_vgpr11
	s_cbranch_execnz .LBB12_43
	s_branch .LBB12_46
.LBB12_11:
                                        ; implicit-def: $vgpr10
	s_branch .LBB12_21
.LBB12_12:
                                        ; implicit-def: $vgpr10
	s_branch .LBB12_18
.LBB12_13:
	s_mov_b64 s[2:3], -1
                                        ; implicit-def: $vgpr10
.LBB12_14:
	s_andn2_b64 vcc, exec, s[2:3]
	s_cbranch_vccnz .LBB12_17
; %bb.15:
	s_cmp_eq_u32 s10, 32
	s_waitcnt lgkmcnt(0)
	v_mov_b32_e32 v10, v12
	s_cbranch_scc0 .LBB12_17
; %bb.16:
	s_nop 0
	v_mov_b32_dpp v10, v12 quad_perm:[1,0,3,2] row_mask:0xf bank_mask:0xf
	v_cmp_gt_f32_e32 vcc, v12, v10
	v_cndmask_b32_e32 v10, v10, v12, vcc
	v_mov_b32_e32 v13, 0x7c
	s_nop 0
	v_mov_b32_dpp v11, v10 quad_perm:[2,3,0,1] row_mask:0xf bank_mask:0xf
	v_cmp_gt_f32_e32 vcc, v10, v11
	v_cndmask_b32_e32 v10, v11, v10, vcc
	s_nop 1
	v_mov_b32_dpp v11, v10 row_half_mirror row_mask:0xf bank_mask:0xf
	v_cmp_gt_f32_e32 vcc, v10, v11
	v_cndmask_b32_e32 v10, v11, v10, vcc
	s_nop 1
	v_mov_b32_dpp v11, v10 row_mirror row_mask:0xf bank_mask:0xf
	v_cmp_gt_f32_e32 vcc, v10, v11
	v_cndmask_b32_e32 v10, v11, v10, vcc
	s_nop 1
	v_mov_b32_dpp v11, v10 row_bcast:15 row_mask:0xa bank_mask:0xf
	v_cmp_gt_f32_e32 vcc, v10, v11
	v_cndmask_b32_e32 v10, v11, v10, vcc
	v_mbcnt_lo_u32_b32 v11, -1, 0
	v_mbcnt_hi_u32_b32 v11, -1, v11
	v_lshl_or_b32 v11, v11, 2, v13
	ds_bpermute_b32 v10, v11, v10
.LBB12_17:
	s_cbranch_execnz .LBB12_20
.LBB12_18:
	s_cmp_eq_u32 s10, 16
	s_waitcnt lgkmcnt(0)
	v_mov_b32_e32 v10, v12
	s_cbranch_scc0 .LBB12_20
; %bb.19:
	s_nop 0
	v_mov_b32_dpp v10, v12 quad_perm:[1,0,3,2] row_mask:0xf bank_mask:0xf
	v_cmp_gt_f32_e32 vcc, v12, v10
	v_cndmask_b32_e32 v10, v10, v12, vcc
	s_nop 1
	v_mov_b32_dpp v11, v10 quad_perm:[2,3,0,1] row_mask:0xf bank_mask:0xf
	v_cmp_gt_f32_e32 vcc, v10, v11
	v_cndmask_b32_e32 v10, v11, v10, vcc
	s_nop 1
	v_mov_b32_dpp v11, v10 row_half_mirror row_mask:0xf bank_mask:0xf
	v_cmp_gt_f32_e32 vcc, v10, v11
	v_cndmask_b32_e32 v10, v11, v10, vcc
	s_nop 1
	v_mov_b32_dpp v11, v10 row_mirror row_mask:0xf bank_mask:0xf
	v_cmp_gt_f32_e32 vcc, v10, v11
	v_cndmask_b32_e32 v10, v11, v10, vcc
.LBB12_20:
	s_cbranch_execnz .LBB12_33
.LBB12_21:
	s_cmp_lt_i32 s10, 4
	s_cbranch_scc1 .LBB12_25
; %bb.22:
	s_cmp_lt_i32 s10, 8
	s_cbranch_scc1 .LBB12_26
; %bb.23:
	s_cmp_eq_u32 s10, 8
	s_waitcnt lgkmcnt(0)
	v_mov_b32_e32 v10, v12
	s_cbranch_scc0 .LBB12_27
; %bb.24:
	s_nop 0
	v_mov_b32_dpp v10, v12 quad_perm:[1,0,3,2] row_mask:0xf bank_mask:0xf
	v_cmp_gt_f32_e32 vcc, v12, v10
	v_cndmask_b32_e32 v10, v10, v12, vcc
	s_nop 1
	v_mov_b32_dpp v11, v10 quad_perm:[2,3,0,1] row_mask:0xf bank_mask:0xf
	v_cmp_gt_f32_e32 vcc, v10, v11
	v_cndmask_b32_e32 v10, v11, v10, vcc
	s_nop 1
	v_mov_b32_dpp v11, v10 row_half_mirror row_mask:0xf bank_mask:0xf
	v_cmp_gt_f32_e32 vcc, v10, v11
	v_cndmask_b32_e32 v10, v11, v10, vcc
	s_cbranch_execz .LBB12_28
	s_branch .LBB12_30
.LBB12_25:
                                        ; implicit-def: $vgpr10
	s_branch .LBB12_31
.LBB12_26:
                                        ; implicit-def: $vgpr10
	s_branch .LBB12_28
.LBB12_27:
	s_cbranch_execnz .LBB12_30
.LBB12_28:
	s_cmp_eq_u32 s10, 4
	s_waitcnt lgkmcnt(0)
	v_mov_b32_e32 v10, v12
	s_cbranch_scc0 .LBB12_30
; %bb.29:
	s_nop 0
	v_mov_b32_dpp v10, v12 quad_perm:[1,0,3,2] row_mask:0xf bank_mask:0xf
	v_cmp_gt_f32_e32 vcc, v12, v10
	v_cndmask_b32_e32 v10, v10, v12, vcc
	s_nop 1
	v_mov_b32_dpp v11, v10 quad_perm:[2,3,0,1] row_mask:0xf bank_mask:0xf
	v_cmp_gt_f32_e32 vcc, v10, v11
	v_cndmask_b32_e32 v10, v11, v10, vcc
.LBB12_30:
	s_cbranch_execnz .LBB12_33
.LBB12_31:
	s_cmp_lg_u32 s10, 2
	s_waitcnt lgkmcnt(0)
	v_mov_b32_e32 v10, v12
	s_cbranch_scc1 .LBB12_33
; %bb.32:
	s_nop 0
	v_mov_b32_dpp v10, v12 quad_perm:[1,0,3,2] row_mask:0xf bank_mask:0xf
	v_cmp_gt_f32_e32 vcc, v12, v10
	v_cndmask_b32_e32 v10, v10, v12, vcc
.LBB12_33:
	v_cvt_f32_u32_e32 v11, s10
	s_waitcnt lgkmcnt(0)
	v_mul_f32_e32 v13, 0x3b124925, v10
	s_sub_i32 s2, 0, s10
	v_cmp_gt_u32_e32 vcc, s9, v1
	v_rcp_iflag_f32_e32 v11, v11
	s_mov_b64 s[4:5], 0
	v_mul_f32_e32 v10, 0x4f7ffffe, v11
	v_cvt_u32_f32_e32 v10, v10
	v_mul_lo_u32 v11, s2, v10
	v_mul_hi_u32 v11, v10, v11
	v_add_u32_e32 v10, v10, v11
	v_mul_hi_u32 v10, v0, v10
	v_mul_lo_u32 v11, v10, s10
	v_sub_u32_e32 v11, v0, v11
	v_add_u32_e32 v15, 1, v10
	v_cmp_le_u32_e64 s[2:3], s10, v11
	v_cndmask_b32_e64 v10, v10, v15, s[2:3]
	v_subrev_u32_e32 v15, s10, v11
	v_cndmask_b32_e64 v11, v11, v15, s[2:3]
	v_add_u32_e32 v15, 1, v10
	v_cmp_le_u32_e64 s[2:3], s10, v11
	v_cndmask_b32_e64 v15, v10, v15, s[2:3]
	v_mul_lo_u32 v10, v15, s10
	v_sub_u32_e32 v10, v0, v10
	v_cmp_eq_u32_e64 s[2:3], 0, v10
	s_and_b64 s[10:11], s[2:3], vcc
	s_mov_b64 s[2:3], 0
                                        ; implicit-def: $vgpr10_vgpr11
	s_and_saveexec_b64 s[18:19], s[10:11]
	s_xor_b64 s[10:11], exec, s[18:19]
	s_cbranch_execz .LBB12_42
; %bb.34:
	s_bitcmp0_b32 s15, 0
	s_cbranch_scc0 .LBB12_39
; %bb.35:
	s_ashr_i32 s2, s9, 31
	s_mul_hi_u32 s3, s9, s6
	s_mul_i32 s2, s2, s6
	s_add_i32 s19, s3, s2
	s_mul_i32 s18, s9, s6
	s_mov_b32 s15, s12
	s_or_b64 s[2:3], s[18:19], s[14:15]
	s_mov_b32 s2, 0
	s_cmp_lg_u64 s[2:3], 0
	s_cbranch_scc0 .LBB12_50
; %bb.36:
	s_add_u32 s2, s14, s15
	s_mov_b32 s24, s15
	s_mov_b32 s25, s15
	s_addc_u32 s3, s15, s15
	s_xor_b64 s[26:27], s[2:3], s[24:25]
	v_cvt_f32_u32_e32 v10, s26
	v_cvt_f32_u32_e32 v11, s27
	s_sub_u32 s2, 0, s26
	s_subb_u32 s3, 0, s27
	v_madmk_f32 v10, v11, 0x4f800000, v10
	v_rcp_f32_e32 v10, v10
	v_mul_f32_e32 v10, 0x5f7ffffc, v10
	v_mul_f32_e32 v11, 0x2f800000, v10
	v_trunc_f32_e32 v11, v11
	v_madmk_f32 v10, v11, 0xcf800000, v10
	v_cvt_u32_f32_e32 v11, v11
	v_cvt_u32_f32_e32 v10, v10
	v_readfirstlane_b32 s12, v11
	v_readfirstlane_b32 s15, v10
	s_mul_i32 s28, s2, s12
	s_mul_hi_u32 s30, s2, s15
	s_mul_i32 s29, s3, s15
	s_add_i32 s28, s30, s28
	s_add_i32 s28, s28, s29
	s_mul_i32 s31, s2, s15
	s_mul_hi_u32 s29, s15, s28
	s_mul_i32 s30, s15, s28
	s_mul_hi_u32 s15, s15, s31
	s_add_u32 s15, s15, s30
	s_addc_u32 s29, 0, s29
	s_mul_hi_u32 s33, s12, s31
	s_mul_i32 s31, s12, s31
	s_add_u32 s15, s15, s31
	s_mul_hi_u32 s30, s12, s28
	s_addc_u32 s15, s29, s33
	s_addc_u32 s29, s30, 0
	s_mul_i32 s28, s12, s28
	s_add_u32 s15, s15, s28
	s_addc_u32 s28, 0, s29
	v_add_co_u32_e32 v10, vcc, s15, v10
	s_cmp_lg_u64 vcc, 0
	s_addc_u32 s12, s12, s28
	v_readfirstlane_b32 s28, v10
	s_mul_i32 s15, s2, s12
	s_mul_hi_u32 s29, s2, s28
	s_add_i32 s15, s29, s15
	s_mul_i32 s3, s3, s28
	s_add_i32 s15, s15, s3
	s_mul_i32 s2, s2, s28
	s_mul_hi_u32 s29, s12, s2
	s_mul_i32 s30, s12, s2
	s_mul_i32 s33, s28, s15
	s_mul_hi_u32 s2, s28, s2
	s_mul_hi_u32 s31, s28, s15
	s_add_u32 s2, s2, s33
	s_addc_u32 s28, 0, s31
	s_add_u32 s2, s2, s30
	s_mul_hi_u32 s3, s12, s15
	s_addc_u32 s2, s28, s29
	s_addc_u32 s3, s3, 0
	s_mul_i32 s15, s12, s15
	s_add_u32 s2, s2, s15
	s_addc_u32 s3, 0, s3
	v_add_co_u32_e32 v10, vcc, s2, v10
	s_cmp_lg_u64 vcc, 0
	s_addc_u32 s12, s12, s3
	s_ashr_i32 s28, s19, 31
	s_add_u32 s2, s18, s28
	s_mov_b32 s29, s28
	s_addc_u32 s3, s19, s28
	s_xor_b64 s[30:31], s[2:3], s[28:29]
	v_readfirstlane_b32 s15, v10
	s_mul_i32 s3, s30, s12
	s_mul_hi_u32 s19, s30, s15
	s_mul_hi_u32 s2, s30, s12
	s_add_u32 s3, s19, s3
	s_addc_u32 s2, 0, s2
	s_mul_hi_u32 s33, s31, s15
	s_mul_i32 s15, s31, s15
	s_add_u32 s3, s3, s15
	s_mul_hi_u32 s19, s31, s12
	s_addc_u32 s2, s2, s33
	s_addc_u32 s3, s19, 0
	s_mul_i32 s12, s31, s12
	s_add_u32 s12, s2, s12
	s_addc_u32 s15, 0, s3
	s_mul_i32 s2, s26, s15
	s_mul_hi_u32 s3, s26, s12
	s_add_i32 s2, s3, s2
	s_mul_i32 s3, s27, s12
	s_add_i32 s19, s2, s3
	s_mul_i32 s3, s26, s12
	v_mov_b32_e32 v10, s3
	s_sub_i32 s2, s31, s19
	v_sub_co_u32_e32 v10, vcc, s30, v10
	s_cmp_lg_u64 vcc, 0
	s_subb_u32 s30, s2, s27
	v_subrev_co_u32_e64 v11, s[2:3], s26, v10
	s_cmp_lg_u64 s[2:3], 0
	s_subb_u32 s30, s30, 0
	s_cmp_ge_u32 s30, s27
	s_cselect_b32 s33, -1, 0
	v_cmp_le_u32_e64 s[2:3], s26, v11
	s_cmp_eq_u32 s30, s27
	v_cndmask_b32_e64 v11, 0, -1, s[2:3]
	v_mov_b32_e32 v16, s33
	s_cselect_b64 s[2:3], -1, 0
	v_cndmask_b32_e64 v11, v16, v11, s[2:3]
	s_add_u32 s2, s12, 1
	s_addc_u32 s30, s15, 0
	s_add_u32 s3, s12, 2
	s_addc_u32 s33, s15, 0
	v_mov_b32_e32 v16, s2
	v_mov_b32_e32 v17, s3
	v_cmp_ne_u32_e64 s[2:3], 0, v11
	v_cndmask_b32_e64 v11, v16, v17, s[2:3]
	v_mov_b32_e32 v16, s30
	v_mov_b32_e32 v17, s33
	s_cmp_lg_u64 vcc, 0
	v_cndmask_b32_e64 v16, v16, v17, s[2:3]
	s_subb_u32 s2, s31, s19
	s_cmp_ge_u32 s2, s27
	s_cselect_b32 s3, -1, 0
	v_cmp_le_u32_e32 vcc, s26, v10
	s_cmp_eq_u32 s2, s27
	v_cndmask_b32_e64 v10, 0, -1, vcc
	v_mov_b32_e32 v17, s3
	s_cselect_b64 vcc, -1, 0
	v_cndmask_b32_e32 v10, v17, v10, vcc
	v_mov_b32_e32 v17, s15
	v_cmp_ne_u32_e32 vcc, 0, v10
	v_cndmask_b32_e32 v10, v17, v16, vcc
	v_mov_b32_e32 v16, s12
	v_cndmask_b32_e32 v11, v16, v11, vcc
	s_xor_b64 s[2:3], s[28:29], s[24:25]
	v_xor_b32_e32 v11, s2, v11
	v_xor_b32_e32 v16, s3, v10
	v_mov_b32_e32 v17, s3
	v_subrev_co_u32_e32 v10, vcc, s2, v11
	v_subb_co_u32_e32 v11, vcc, v16, v17, vcc
	s_cbranch_execnz .LBB12_38
.LBB12_37:
	v_cvt_f32_u32_e32 v10, s14
	s_sub_i32 s2, 0, s14
	s_mov_b32 s3, 0
	v_rcp_iflag_f32_e32 v10, v10
	v_mul_f32_e32 v10, 0x4f7ffffe, v10
	v_cvt_u32_f32_e32 v10, v10
	v_readfirstlane_b32 s12, v10
	s_mul_i32 s2, s2, s12
	s_mul_hi_u32 s2, s12, s2
	s_add_i32 s12, s12, s2
	s_mul_hi_u32 s2, s18, s12
	s_mul_i32 s15, s2, s14
	s_sub_i32 s15, s18, s15
	s_add_i32 s12, s2, 1
	s_sub_i32 s18, s15, s14
	s_cmp_ge_u32 s15, s14
	s_cselect_b32 s2, s12, s2
	s_cselect_b32 s15, s18, s15
	s_add_i32 s12, s2, 1
	s_cmp_ge_u32 s15, s14
	s_cselect_b32 s2, s12, s2
	v_pk_mov_b32 v[10:11], s[2:3], s[2:3] op_sel:[0,1]
.LBB12_38:
	v_add_co_u32_e32 v10, vcc, v10, v15
	v_addc_co_u32_e32 v11, vcc, 0, v11, vcc
	s_branch .LBB12_41
.LBB12_39:
                                        ; implicit-def: $vgpr10_vgpr11
	s_cbranch_execz .LBB12_41
; %bb.40:
	v_mul_lo_u32 v10, v15, s8
	v_ashrrev_i32_e32 v11, 31, v10
	v_mov_b32_e32 v15, s7
	v_add_co_u32_e32 v10, vcc, s6, v10
	v_addc_co_u32_e32 v11, vcc, v11, v15, vcc
.LBB12_41:
	s_mov_b64 s[2:3], exec
.LBB12_42:
	s_or_b64 exec, exec, s[10:11]
	s_and_b64 vcc, exec, s[4:5]
	s_cbranch_vccz .LBB12_46
.LBB12_43:
	v_mov_b32_dpp v10, v12 quad_perm:[1,0,3,2] row_mask:0xf bank_mask:0xf
	v_cmp_gt_f32_e32 vcc, v12, v10
	v_cndmask_b32_e32 v10, v10, v12, vcc
	s_nop 1
	v_mov_b32_dpp v11, v10 quad_perm:[2,3,0,1] row_mask:0xf bank_mask:0xf
	v_cmp_gt_f32_e32 vcc, v10, v11
	v_cndmask_b32_e32 v10, v11, v10, vcc
	s_nop 1
	v_mov_b32_dpp v11, v10 row_half_mirror row_mask:0xf bank_mask:0xf
	v_cmp_gt_f32_e32 vcc, v10, v11
	v_cndmask_b32_e32 v10, v11, v10, vcc
	s_nop 1
	v_mov_b32_dpp v11, v10 row_mirror row_mask:0xf bank_mask:0xf
	v_cmp_gt_f32_e32 vcc, v10, v11
	v_cndmask_b32_e32 v10, v11, v10, vcc
	s_nop 1
	v_mov_b32_dpp v11, v10 row_bcast:15 row_mask:0xf bank_mask:0xf
	v_cmp_gt_f32_e32 vcc, v10, v11
	v_cndmask_b32_e32 v10, v11, v10, vcc
	s_nop 1
	v_mov_b32_dpp v11, v10 row_bcast:31 row_mask:0xf bank_mask:0xf
	s_and_saveexec_b64 s[2:3], s[0:1]
	s_cbranch_execz .LBB12_45
; %bb.44:
	v_lshrrev_b32_e32 v12, 4, v0
	v_cmp_gt_f32_e32 vcc, v10, v11
	v_and_b32_e32 v12, 60, v12
	v_cndmask_b32_e32 v10, v11, v10, vcc
	ds_write_b32 v12, v10
.LBB12_45:
	s_or_b64 exec, exec, s[2:3]
	s_waitcnt lgkmcnt(0)
	s_barrier
	ds_read_b32 v10, v14
	v_cmp_eq_u32_e64 s[2:3], 0, v0
	s_waitcnt lgkmcnt(0)
	v_mov_b32_dpp v11, v10 quad_perm:[1,0,3,2] row_mask:0xf bank_mask:0xf
	v_cmp_gt_f32_e32 vcc, v10, v11
	v_cndmask_b32_e32 v10, v11, v10, vcc
	s_nop 1
	v_mov_b32_dpp v11, v10 quad_perm:[2,3,0,1] row_mask:0xf bank_mask:0xf
	v_cmp_gt_f32_e32 vcc, v10, v11
	v_cndmask_b32_e32 v10, v11, v10, vcc
	v_mul_f32_e32 v13, 0x3b124925, v10
	v_pk_mov_b32 v[10:11], s[6:7], s[6:7] op_sel:[0,1]
.LBB12_46:
	s_and_saveexec_b64 s[0:1], s[2:3]
	s_cbranch_execz .LBB12_48
; %bb.47:
	v_lshlrev_b64 v[10:11], 2, v[10:11]
	v_mov_b32_e32 v0, s21
	v_add_co_u32_e32 v10, vcc, s20, v10
	v_addc_co_u32_e32 v11, vcc, v0, v11, vcc
	global_store_dword v[10:11], v13, off
.LBB12_48:
	s_or_b64 exec, exec, s[0:1]
	s_add_i32 s0, s9, 3
	;;#ASMSTART
	v_rcp_f32 v10, v13
	;;#ASMEND
	v_mov_b32_e32 v11, v10
	;;#ASMSTART
	v_pk_mul_f32 v[8:9], v[8:9], v[10:11]
	;;#ASMEND
	s_ashr_i32 s1, s0, 31
	v_mov_b32_e32 v0, 0xc3e00000
	v_mov_b32_e32 v12, 0x43e00000
	;;#ASMSTART
	v_med3_f32 v8, v8, v0, v12
v_med3_f32 v9, v9, v0, v12
v_cvt_pk_fp8_f32 v13, v8, v9
	;;#ASMEND
	;;#ASMSTART
	v_pk_mul_f32 v[6:7], v[6:7], v[10:11]
	;;#ASMEND
	s_lshr_b32 s1, s1, 30
	;;#ASMSTART
	v_med3_f32 v6, v6, v0, v12
v_med3_f32 v7, v7, v0, v12
v_cvt_pk_fp8_f32 v8, v6, v7
	;;#ASMEND
	s_mov_b32 s5, 0x5040100
	s_add_i32 s0, s0, s1
	v_perm_b32 v7, v8, v13, s5
	s_movk_i32 s5, 0xff
	s_and_b32 s2, s0, -4
	s_ashr_i32 s0, s13, 31
	v_and_b32_e32 v6, 0xffffff00, v8
	v_and_b32_sdwa v8, v7, s5 dst_sel:DWORD dst_unused:UNUSED_PAD src0_sel:WORD_1 src1_sel:DWORD
	s_mul_hi_u32 s1, s13, s6
	s_mul_i32 s0, s0, s6
	s_mov_b32 s4, 0xffff
	v_or_b32_sdwa v6, v8, v6 dst_sel:WORD_1 dst_unused:UNUSED_PAD src0_sel:DWORD src1_sel:DWORD
	;;#ASMSTART
	v_pk_mul_f32 v[4:5], v[4:5], v[10:11]
	;;#ASMEND
	s_add_i32 s1, s1, s0
	s_mul_i32 s0, s13, s6
	v_and_or_b32 v6, v7, s4, v6
	;;#ASMSTART
	v_med3_f32 v4, v4, v0, v12
v_med3_f32 v5, v5, v0, v12
v_cvt_pk_fp8_f32 v7, v4, v5
	;;#ASMEND
	;;#ASMSTART
	v_pk_mul_f32 v[2:3], v[2:3], v[10:11]
	;;#ASMEND
	s_add_u32 s0, s16, s0
	;;#ASMSTART
	v_med3_f32 v2, v2, v0, v12
v_med3_f32 v3, v3, v0, v12
v_cvt_pk_fp8_f32 v0, v2, v3
	;;#ASMEND
	s_addc_u32 s1, s17, s1
	v_lshlrev_b32_e32 v0, 16, v0
	s_and_b32 s1, s1, 0xffff
	s_mov_b32 s3, 0x20000
	v_and_or_b32 v7, v7, s4, v0
	buffer_store_dwordx2 v[6:7], v1, s[0:3], 0 offen
	;;#ASMSTART
	s_nop 0
	;;#ASMEND
.LBB12_49:
	s_endpgm
.LBB12_50:
                                        ; implicit-def: $vgpr10_vgpr11
	s_branch .LBB12_37
	.section	.rodata,"a",@progbits
	.p2align	6, 0x0
	.amdhsa_kernel _ZN5aiter24add_rmsnorm_quant_kernelItDB8_Li256ELi8ELb1ELb1ELb0ELi1EEEvPT0_PT_PfS5_S5_S5_diiiiiiib
		.amdhsa_group_segment_fixed_size 32
		.amdhsa_private_segment_fixed_size 0
		.amdhsa_kernarg_size 88
		.amdhsa_user_sgpr_count 6
		.amdhsa_user_sgpr_private_segment_buffer 1
		.amdhsa_user_sgpr_dispatch_ptr 0
		.amdhsa_user_sgpr_queue_ptr 0
		.amdhsa_user_sgpr_kernarg_segment_ptr 1
		.amdhsa_user_sgpr_dispatch_id 0
		.amdhsa_user_sgpr_flat_scratch_init 0
		.amdhsa_user_sgpr_kernarg_preload_length 0
		.amdhsa_user_sgpr_kernarg_preload_offset 0
		.amdhsa_user_sgpr_private_segment_size 0
		.amdhsa_uses_dynamic_stack 0
		.amdhsa_system_sgpr_private_segment_wavefront_offset 0
		.amdhsa_system_sgpr_workgroup_id_x 1
		.amdhsa_system_sgpr_workgroup_id_y 0
		.amdhsa_system_sgpr_workgroup_id_z 0
		.amdhsa_system_sgpr_workgroup_info 0
		.amdhsa_system_vgpr_workitem_id 0
		.amdhsa_next_free_vgpr 27
		.amdhsa_next_free_sgpr 40
		.amdhsa_accum_offset 28
		.amdhsa_reserve_vcc 1
		.amdhsa_reserve_flat_scratch 0
		.amdhsa_float_round_mode_32 0
		.amdhsa_float_round_mode_16_64 0
		.amdhsa_float_denorm_mode_32 3
		.amdhsa_float_denorm_mode_16_64 3
		.amdhsa_dx10_clamp 1
		.amdhsa_ieee_mode 1
		.amdhsa_fp16_overflow 0
		.amdhsa_tg_split 0
		.amdhsa_exception_fp_ieee_invalid_op 0
		.amdhsa_exception_fp_denorm_src 0
		.amdhsa_exception_fp_ieee_div_zero 0
		.amdhsa_exception_fp_ieee_overflow 0
		.amdhsa_exception_fp_ieee_underflow 0
		.amdhsa_exception_fp_ieee_inexact 0
		.amdhsa_exception_int_div_zero 0
	.end_amdhsa_kernel
	.section	.text._ZN5aiter24add_rmsnorm_quant_kernelItDB8_Li256ELi8ELb1ELb1ELb0ELi1EEEvPT0_PT_PfS5_S5_S5_diiiiiiib,"axG",@progbits,_ZN5aiter24add_rmsnorm_quant_kernelItDB8_Li256ELi8ELb1ELb1ELb0ELi1EEEvPT0_PT_PfS5_S5_S5_diiiiiiib,comdat
.Lfunc_end12:
	.size	_ZN5aiter24add_rmsnorm_quant_kernelItDB8_Li256ELi8ELb1ELb1ELb0ELi1EEEvPT0_PT_PfS5_S5_S5_diiiiiiib, .Lfunc_end12-_ZN5aiter24add_rmsnorm_quant_kernelItDB8_Li256ELi8ELb1ELb1ELb0ELi1EEEvPT0_PT_PfS5_S5_S5_diiiiiiib
                                        ; -- End function
	.section	.AMDGPU.csdata,"",@progbits
; Kernel info:
; codeLenInByte = 3404
; NumSgprs: 44
; NumVgprs: 27
; NumAgprs: 0
; TotalNumVgprs: 27
; ScratchSize: 0
; MemoryBound: 0
; FloatMode: 240
; IeeeMode: 1
; LDSByteSize: 32 bytes/workgroup (compile time only)
; SGPRBlocks: 5
; VGPRBlocks: 3
; NumSGPRsForWavesPerEU: 44
; NumVGPRsForWavesPerEU: 27
; AccumOffset: 28
; Occupancy: 8
; WaveLimiterHint : 0
; COMPUTE_PGM_RSRC2:SCRATCH_EN: 0
; COMPUTE_PGM_RSRC2:USER_SGPR: 6
; COMPUTE_PGM_RSRC2:TRAP_HANDLER: 0
; COMPUTE_PGM_RSRC2:TGID_X_EN: 1
; COMPUTE_PGM_RSRC2:TGID_Y_EN: 0
; COMPUTE_PGM_RSRC2:TGID_Z_EN: 0
; COMPUTE_PGM_RSRC2:TIDIG_COMP_CNT: 0
; COMPUTE_PGM_RSRC3_GFX90A:ACCUM_OFFSET: 6
; COMPUTE_PGM_RSRC3_GFX90A:TG_SPLIT: 0
	.section	.text._ZN5aiter24add_rmsnorm_quant_kernelIDF16_DB8_Li256ELi16ELb1ELb1ELb1ELi1EEEvPT0_PT_PfS5_S5_S5_diiiiiiib,"axG",@progbits,_ZN5aiter24add_rmsnorm_quant_kernelIDF16_DB8_Li256ELi16ELb1ELb1ELb1ELi1EEEvPT0_PT_PfS5_S5_S5_diiiiiiib,comdat
	.protected	_ZN5aiter24add_rmsnorm_quant_kernelIDF16_DB8_Li256ELi16ELb1ELb1ELb1ELi1EEEvPT0_PT_PfS5_S5_S5_diiiiiiib ; -- Begin function _ZN5aiter24add_rmsnorm_quant_kernelIDF16_DB8_Li256ELi16ELb1ELb1ELb1ELi1EEEvPT0_PT_PfS5_S5_S5_diiiiiiib
	.globl	_ZN5aiter24add_rmsnorm_quant_kernelIDF16_DB8_Li256ELi16ELb1ELb1ELb1ELi1EEEvPT0_PT_PfS5_S5_S5_diiiiiiib
	.p2align	8
	.type	_ZN5aiter24add_rmsnorm_quant_kernelIDF16_DB8_Li256ELi16ELb1ELb1ELb1ELi1EEEvPT0_PT_PfS5_S5_S5_diiiiiiib,@function
_ZN5aiter24add_rmsnorm_quant_kernelIDF16_DB8_Li256ELi16ELb1ELb1ELb1ELi1EEEvPT0_PT_PfS5_S5_S5_diiiiiiib: ; @_ZN5aiter24add_rmsnorm_quant_kernelIDF16_DB8_Li256ELi16ELb1ELb1ELb1ELi1EEEvPT0_PT_PfS5_S5_S5_diiiiiiib
; %bb.0:
	s_load_dwordx8 s[8:15], s[4:5], 0x38
	s_mov_b32 s7, 0
	s_waitcnt lgkmcnt(0)
	s_ashr_i32 s0, s8, 31
	v_mov_b32_e32 v2, s8
	v_mov_b32_e32 v3, s0
	v_cmp_ge_i64_e32 vcc, s[6:7], v[2:3]
	s_cbranch_vccnz .LBB13_49
; %bb.1:
	s_load_dwordx8 s[16:23], s[4:5], 0x0
	s_ashr_i32 s0, s10, 31
	s_mul_hi_u32 s1, s10, s6
	s_mul_i32 s0, s0, s6
	s_add_i32 s1, s1, s0
	s_mul_i32 s0, s10, s6
	s_lshl_b64 s[0:1], s[0:1], 1
	s_waitcnt lgkmcnt(0)
	s_add_u32 s0, s22, s0
	s_addc_u32 s1, s23, s1
	s_add_i32 s2, s9, 1
	s_lshr_b32 s3, s2, 31
	v_lshlrev_b32_e32 v27, 4, v0
	s_add_i32 s2, s2, s3
	v_lshlrev_b32_e32 v1, 3, v0
	v_and_b32_e32 v2, 0x3c00, v27
	s_movk_i32 s10, 0x1f8
	s_lshl_b32 s2, s2, 1
	v_and_or_b32 v1, v1, s10, v2
	s_load_dwordx8 s[24:31], s[4:5], 0x20
	s_and_b32 s2, s2, -4
	s_and_b32 s1, s1, 0xffff
	s_mov_b32 s3, 0x20000
	v_lshlrev_b32_e32 v26, 1, v1
	s_movk_i32 s10, 0x400
	buffer_load_dwordx4 v[10:13], v26, s[0:3], s10 offen glc slc
	buffer_load_dwordx4 v[14:17], v26, s[0:3], 0 offen glc slc
	s_ashr_i32 s0, s11, 31
	s_mul_hi_u32 s1, s11, s6
	s_mul_i32 s0, s0, s6
	s_add_i32 s1, s1, s0
	s_mul_i32 s0, s11, s6
	s_waitcnt lgkmcnt(0)
	s_and_b32 s37, s27, 0xffff
	s_lshl_b64 s[0:1], s[0:1], 1
	s_add_u32 s0, s24, s0
	s_addc_u32 s1, s25, s1
	s_and_b32 s1, s1, 0xffff
	buffer_load_dwordx4 v[18:21], v26, s[0:3], s10 offen glc slc
	buffer_load_dwordx4 v[22:25], v26, s[0:3], 0 offen glc slc
	s_mov_b32 s39, s3
	s_mov_b32 s36, s26
	;; [unrolled: 1-line block ×3, first 2 shown]
	buffer_load_dwordx4 v[6:9], v26, s[36:39], 0 offen
	buffer_load_dwordx4 v[2:5], v26, s[36:39], s10 offen
	s_ashr_i32 s4, s12, 31
	s_mul_hi_u32 s1, s12, s6
	s_mul_i32 s4, s4, s6
	s_mul_i32 s0, s12, s6
	s_add_i32 s1, s1, s4
	s_lshl_b64 s[0:1], s[0:1], 1
	s_add_u32 s0, s18, s0
	s_addc_u32 s1, s19, s1
	s_and_b32 s1, s1, 0xffff
	s_waitcnt vmcnt(5)
	v_cvt_f32_f16_e32 v28, v10
	v_cvt_f32_f16_sdwa v29, v10 dst_sel:DWORD dst_unused:UNUSED_PAD src0_sel:WORD_1
	v_cvt_f32_f16_e32 v10, v11
	v_cvt_f32_f16_sdwa v11, v11 dst_sel:DWORD dst_unused:UNUSED_PAD src0_sel:WORD_1
	v_cvt_f32_f16_e32 v30, v12
	v_cvt_f32_f16_sdwa v31, v12 dst_sel:DWORD dst_unused:UNUSED_PAD src0_sel:WORD_1
	v_cvt_f32_f16_e32 v32, v13
	v_cvt_f32_f16_sdwa v33, v13 dst_sel:DWORD dst_unused:UNUSED_PAD src0_sel:WORD_1
	s_waitcnt vmcnt(4)
	v_cvt_f32_f16_e32 v34, v14
	v_cvt_f32_f16_sdwa v35, v14 dst_sel:DWORD dst_unused:UNUSED_PAD src0_sel:WORD_1
	v_cvt_f32_f16_e32 v36, v15
	v_cvt_f32_f16_sdwa v37, v15 dst_sel:DWORD dst_unused:UNUSED_PAD src0_sel:WORD_1
	v_cvt_f32_f16_e32 v38, v16
	v_cvt_f32_f16_sdwa v39, v16 dst_sel:DWORD dst_unused:UNUSED_PAD src0_sel:WORD_1
	v_cvt_f32_f16_e32 v40, v17
	v_cvt_f32_f16_sdwa v41, v17 dst_sel:DWORD dst_unused:UNUSED_PAD src0_sel:WORD_1
	;; [unrolled: 9-line block ×4, first 2 shown]
	v_pk_add_f32 v[16:17], v[28:29], v[12:13]
	v_pk_add_f32 v[14:15], v[10:11], v[14:15]
	;; [unrolled: 1-line block ×8, first 2 shown]
	v_cvt_f16_f32_e32 v28, v25
	v_cvt_f16_f32_e32 v29, v21
	;; [unrolled: 1-line block ×8, first 2 shown]
	v_pack_b32_f16 v31, v32, v31
	v_pack_b32_f16 v30, v33, v30
	;; [unrolled: 1-line block ×4, first 2 shown]
	buffer_store_dwordx4 v[28:31], v26, s[0:3], 0 offen glc slc
	v_cvt_f16_f32_e32 v32, v11
	v_cvt_f16_f32_e32 v28, v16
	;; [unrolled: 1-line block ×8, first 2 shown]
	v_pack_b32_f16 v31, v31, v32
	v_pack_b32_f16 v30, v30, v33
	;; [unrolled: 1-line block ×4, first 2 shown]
	;;#ASMSTART
	s_nop 0
	;;#ASMEND
	buffer_store_dwordx4 v[28:31], v26, s[0:3], s10 offen glc slc
	v_pk_mul_f32 v[28:29], v[24:25], v[24:25]
	v_pk_mul_f32 v[30:31], v[20:21], v[20:21]
	v_add_f32_e32 v26, v28, v29
	v_add_f32_e32 v26, v30, v26
	v_pk_mul_f32 v[32:33], v[18:19], v[18:19]
	v_add_f32_e32 v26, v31, v26
	v_add_f32_e32 v26, v32, v26
	;; [unrolled: 3-line block ×7, first 2 shown]
	v_add_f32_e32 v26, v43, v26
	v_and_b32_e32 v29, 63, v0
	v_cmp_eq_u32_e64 s[0:1], 63, v29
	v_mov_b32_dpp v28, v26 quad_perm:[1,0,3,2] row_mask:0xf bank_mask:0xf
	v_add_f32_e32 v26, v26, v28
	;;#ASMSTART
	s_nop 0
	;;#ASMEND
	s_nop 1
	v_mov_b32_dpp v28, v26 quad_perm:[2,3,0,1] row_mask:0xf bank_mask:0xf
	v_add_f32_e32 v26, v26, v28
	s_nop 1
	v_mov_b32_dpp v28, v26 row_half_mirror row_mask:0xf bank_mask:0xf
	v_add_f32_e32 v26, v26, v28
	s_nop 1
	v_mov_b32_dpp v28, v26 row_mirror row_mask:0xf bank_mask:0xf
	v_add_f32_e32 v26, v26, v28
	s_nop 1
	v_mov_b32_dpp v28, v26 row_bcast:15 row_mask:0xf bank_mask:0xf
	v_add_f32_e32 v26, v26, v28
	s_nop 1
	v_mov_b32_dpp v28, v26 row_bcast:31 row_mask:0xf bank_mask:0xf
	s_and_saveexec_b64 s[2:3], s[0:1]
	s_cbranch_execz .LBB13_3
; %bb.2:
	v_lshrrev_b32_e32 v29, 4, v0
	v_and_b32_e32 v29, 60, v29
	v_add_f32_e32 v26, v26, v28
	ds_write_b32 v29, v26 offset:16
.LBB13_3:
	s_or_b64 exec, exec, s[2:3]
	v_and_b32_e32 v26, 3, v0
	v_lshlrev_b32_e32 v26, 2, v26
	s_waitcnt lgkmcnt(0)
	s_barrier
	ds_read_b32 v28, v26 offset:16
	v_cvt_f32_i32_e32 v29, s9
	s_waitcnt vmcnt(3)
	v_cvt_f32_f16_sdwa v37, v9 dst_sel:DWORD dst_unused:UNUSED_PAD src0_sel:WORD_1
	v_cvt_f32_f16_e32 v36, v9
	s_cmp_lg_u32 s14, 0
	s_waitcnt lgkmcnt(0)
	v_mov_b32_dpp v30, v28 quad_perm:[1,0,3,2] row_mask:0xf bank_mask:0xf
	v_add_f32_e32 v28, v28, v30
	s_nop 1
	v_mov_b32_dpp v30, v28 quad_perm:[2,3,0,1] row_mask:0xf bank_mask:0xf
	v_add_f32_e32 v28, v28, v30
	v_div_scale_f32 v30, s[2:3], v29, v29, v28
	v_rcp_f32_e32 v31, v30
	v_div_scale_f32 v32, vcc, v28, v29, v28
	s_mov_b32 s2, 0x800000
	v_fma_f32 v33, -v30, v31, 1.0
	v_fmac_f32_e32 v31, v33, v31
	v_mul_f32_e32 v33, v32, v31
	v_fma_f32 v34, -v30, v33, v32
	v_fmac_f32_e32 v33, v34, v31
	v_fma_f32 v30, -v30, v33, v32
	v_div_fmas_f32 v30, v30, v31, v33
	v_div_fixup_f32 v28, v30, v29, v28
	v_cvt_f64_f32_e32 v[28:29], v28
	v_add_f64 v[28:29], v[28:29], s[28:29]
	v_cvt_f32_f64_e32 v28, v[28:29]
	v_mul_f32_e32 v29, 0x4b800000, v28
	v_cmp_gt_f32_e32 vcc, s2, v28
	v_cndmask_b32_e32 v28, v28, v29, vcc
	v_rsq_f32_e32 v28, v28
	v_mul_f32_e32 v29, 0x45800000, v28
	v_cndmask_b32_e32 v28, v28, v29, vcc
	v_mov_b32_e32 v29, v28
	;;#ASMSTART
	v_pk_mul_f32 v[24:25], v[24:25], v[28:29]
	;;#ASMEND
	;;#ASMSTART
	v_pk_mul_f32 v[20:21], v[20:21], v[28:29]
	;;#ASMEND
	;; [unrolled: 3-line block ×8, first 2 shown]
	v_cvt_f32_f16_sdwa v11, v6 dst_sel:DWORD dst_unused:UNUSED_PAD src0_sel:WORD_1
	v_cvt_f32_f16_e32 v10, v6
	v_cvt_f32_f16_sdwa v13, v7 dst_sel:DWORD dst_unused:UNUSED_PAD src0_sel:WORD_1
	v_cvt_f32_f16_e32 v12, v7
	;; [unrolled: 2-line block ×3, first 2 shown]
	;;#ASMSTART
	v_pk_mul_f32 v[16:17], v[24:25], v[10:11]
	;;#ASMEND
	;;#ASMSTART
	v_pk_mul_f32 v[14:15], v[20:21], v[12:13]
	;;#ASMEND
	;; [unrolled: 3-line block ×3, first 2 shown]
	s_waitcnt vmcnt(2)
	v_cvt_f32_f16_sdwa v7, v2 dst_sel:DWORD dst_unused:UNUSED_PAD src0_sel:WORD_1
	v_cvt_f32_f16_e32 v6, v2
	v_cvt_f32_f16_sdwa v19, v3 dst_sel:DWORD dst_unused:UNUSED_PAD src0_sel:WORD_1
	v_cvt_f32_f16_e32 v18, v3
	;; [unrolled: 2-line block ×3, first 2 shown]
	v_cvt_f32_f16_e32 v20, v5
	;;#ASMSTART
	v_pk_mul_f32 v[8:9], v[22:23], v[36:37]
	;;#ASMEND
	v_cvt_f32_f16_sdwa v21, v5 dst_sel:DWORD dst_unused:UNUSED_PAD src0_sel:WORD_1
	;;#ASMSTART
	v_pk_mul_f32 v[10:11], v[30:31], v[6:7]
	;;#ASMEND
	;;#ASMSTART
	v_pk_mul_f32 v[6:7], v[32:33], v[18:19]
	;;#ASMEND
	;; [unrolled: 3-line block ×4, first 2 shown]
	v_and_b32_e32 v18, 0x7fffffff, v16
	v_mov_b32_e32 v20, 0x2edbe6ff
	v_and_b32_e32 v19, 0x7fffffff, v17
	;;#ASMSTART
	v_max3_f32 v18, v20, v18, v19

	;;#ASMEND
	v_and_b32_e32 v20, 0x7fffffff, v15
	v_and_b32_e32 v19, 0x7fffffff, v14
	;;#ASMSTART
	v_max3_f32 v18, v18, v19, v20

	;;#ASMEND
	v_and_b32_e32 v20, 0x7fffffff, v13
	v_and_b32_e32 v19, 0x7fffffff, v12
	;;#ASMSTART
	v_max3_f32 v18, v18, v19, v20

	;;#ASMEND
	v_and_b32_e32 v20, 0x7fffffff, v9
	v_and_b32_e32 v19, 0x7fffffff, v8
	;;#ASMSTART
	v_max3_f32 v18, v18, v19, v20

	;;#ASMEND
	v_and_b32_e32 v20, 0x7fffffff, v11
	v_and_b32_e32 v19, 0x7fffffff, v10
	;;#ASMSTART
	v_max3_f32 v18, v18, v19, v20

	;;#ASMEND
	v_and_b32_e32 v20, 0x7fffffff, v7
	v_and_b32_e32 v19, 0x7fffffff, v6
	;;#ASMSTART
	v_max3_f32 v18, v18, v19, v20

	;;#ASMEND
	v_and_b32_e32 v20, 0x7fffffff, v5
	v_and_b32_e32 v19, 0x7fffffff, v4
	;;#ASMSTART
	v_max3_f32 v18, v18, v19, v20

	;;#ASMEND
	v_and_b32_e32 v20, 0x7fffffff, v3
	v_and_b32_e32 v19, 0x7fffffff, v2
	;;#ASMSTART
	v_max3_f32 v20, v18, v19, v20

	;;#ASMEND
	s_cbranch_scc0 .LBB13_10
; %bb.4:
	s_ashr_i32 s12, s14, 31
	s_lshr_b32 s2, s12, 28
	s_add_i32 s2, s14, s2
	s_ashr_i32 s10, s2, 4
	s_cmp_lt_i32 s10, 16
	s_cbranch_scc1 .LBB13_11
; %bb.5:
	s_cmp_lt_i32 s10, 32
	s_cbranch_scc1 .LBB13_12
; %bb.6:
	;; [unrolled: 3-line block ×3, first 2 shown]
	s_cmp_eq_u32 s10, 64
	v_mov_b32_e32 v18, v20
	s_cbranch_scc0 .LBB13_9
; %bb.8:
	s_nop 0
	v_mov_b32_dpp v18, v20 quad_perm:[1,0,3,2] row_mask:0xf bank_mask:0xf
	v_cmp_gt_f32_e32 vcc, v20, v18
	v_cndmask_b32_e32 v18, v18, v20, vcc
	v_bfrev_b32_e32 v21, 0.5
	s_nop 0
	v_mov_b32_dpp v19, v18 quad_perm:[2,3,0,1] row_mask:0xf bank_mask:0xf
	v_cmp_gt_f32_e32 vcc, v18, v19
	v_cndmask_b32_e32 v18, v19, v18, vcc
	s_nop 1
	v_mov_b32_dpp v19, v18 row_ror:4 row_mask:0xf bank_mask:0xf
	v_cmp_gt_f32_e32 vcc, v18, v19
	v_cndmask_b32_e32 v18, v19, v18, vcc
	s_nop 1
	v_mov_b32_dpp v19, v18 row_ror:8 row_mask:0xf bank_mask:0xf
	v_cmp_gt_f32_e32 vcc, v18, v19
	v_cndmask_b32_e32 v18, v19, v18, vcc
	s_nop 1
	v_mov_b32_dpp v19, v18 row_bcast:15 row_mask:0xf bank_mask:0xf
	v_cmp_gt_f32_e32 vcc, v18, v19
	v_cndmask_b32_e32 v18, v19, v18, vcc
	s_nop 1
	v_mov_b32_dpp v19, v18 row_bcast:31 row_mask:0xf bank_mask:0xf
	v_cmp_gt_f32_e32 vcc, v18, v19
	v_cndmask_b32_e32 v18, v19, v18, vcc
	v_mbcnt_lo_u32_b32 v19, -1, 0
	v_mbcnt_hi_u32_b32 v19, -1, v19
	v_lshl_or_b32 v19, v19, 2, v21
	ds_bpermute_b32 v18, v19, v18
.LBB13_9:
	s_mov_b64 s[2:3], 0
	s_branch .LBB13_14
.LBB13_10:
	s_mov_b64 s[2:3], 0
                                        ; implicit-def: $vgpr21
                                        ; implicit-def: $vgpr18_vgpr19
	s_cbranch_execnz .LBB13_43
	s_branch .LBB13_46
.LBB13_11:
                                        ; implicit-def: $vgpr18
	s_branch .LBB13_21
.LBB13_12:
                                        ; implicit-def: $vgpr18
	s_branch .LBB13_18
.LBB13_13:
	s_mov_b64 s[2:3], -1
                                        ; implicit-def: $vgpr18
.LBB13_14:
	s_andn2_b64 vcc, exec, s[2:3]
	s_cbranch_vccnz .LBB13_17
; %bb.15:
	s_cmp_eq_u32 s10, 32
	s_waitcnt lgkmcnt(0)
	v_mov_b32_e32 v18, v20
	s_cbranch_scc0 .LBB13_17
; %bb.16:
	s_nop 0
	v_mov_b32_dpp v18, v20 quad_perm:[1,0,3,2] row_mask:0xf bank_mask:0xf
	v_cmp_gt_f32_e32 vcc, v20, v18
	v_cndmask_b32_e32 v18, v18, v20, vcc
	v_mov_b32_e32 v21, 0x7c
	s_nop 0
	v_mov_b32_dpp v19, v18 quad_perm:[2,3,0,1] row_mask:0xf bank_mask:0xf
	v_cmp_gt_f32_e32 vcc, v18, v19
	v_cndmask_b32_e32 v18, v19, v18, vcc
	s_nop 1
	v_mov_b32_dpp v19, v18 row_half_mirror row_mask:0xf bank_mask:0xf
	v_cmp_gt_f32_e32 vcc, v18, v19
	v_cndmask_b32_e32 v18, v19, v18, vcc
	s_nop 1
	v_mov_b32_dpp v19, v18 row_mirror row_mask:0xf bank_mask:0xf
	v_cmp_gt_f32_e32 vcc, v18, v19
	v_cndmask_b32_e32 v18, v19, v18, vcc
	s_nop 1
	v_mov_b32_dpp v19, v18 row_bcast:15 row_mask:0xa bank_mask:0xf
	v_cmp_gt_f32_e32 vcc, v18, v19
	v_cndmask_b32_e32 v18, v19, v18, vcc
	v_mbcnt_lo_u32_b32 v19, -1, 0
	v_mbcnt_hi_u32_b32 v19, -1, v19
	v_lshl_or_b32 v19, v19, 2, v21
	ds_bpermute_b32 v18, v19, v18
.LBB13_17:
	s_cbranch_execnz .LBB13_20
.LBB13_18:
	s_cmp_eq_u32 s10, 16
	s_waitcnt lgkmcnt(0)
	v_mov_b32_e32 v18, v20
	s_cbranch_scc0 .LBB13_20
; %bb.19:
	s_nop 0
	v_mov_b32_dpp v18, v20 quad_perm:[1,0,3,2] row_mask:0xf bank_mask:0xf
	v_cmp_gt_f32_e32 vcc, v20, v18
	v_cndmask_b32_e32 v18, v18, v20, vcc
	s_nop 1
	v_mov_b32_dpp v19, v18 quad_perm:[2,3,0,1] row_mask:0xf bank_mask:0xf
	v_cmp_gt_f32_e32 vcc, v18, v19
	v_cndmask_b32_e32 v18, v19, v18, vcc
	s_nop 1
	v_mov_b32_dpp v19, v18 row_half_mirror row_mask:0xf bank_mask:0xf
	v_cmp_gt_f32_e32 vcc, v18, v19
	v_cndmask_b32_e32 v18, v19, v18, vcc
	s_nop 1
	v_mov_b32_dpp v19, v18 row_mirror row_mask:0xf bank_mask:0xf
	v_cmp_gt_f32_e32 vcc, v18, v19
	v_cndmask_b32_e32 v18, v19, v18, vcc
.LBB13_20:
	s_cbranch_execnz .LBB13_33
.LBB13_21:
	s_cmp_lt_i32 s10, 4
	s_cbranch_scc1 .LBB13_25
; %bb.22:
	s_cmp_lt_i32 s10, 8
	s_cbranch_scc1 .LBB13_26
; %bb.23:
	s_cmp_eq_u32 s10, 8
	s_waitcnt lgkmcnt(0)
	v_mov_b32_e32 v18, v20
	s_cbranch_scc0 .LBB13_27
; %bb.24:
	s_nop 0
	v_mov_b32_dpp v18, v20 quad_perm:[1,0,3,2] row_mask:0xf bank_mask:0xf
	v_cmp_gt_f32_e32 vcc, v20, v18
	v_cndmask_b32_e32 v18, v18, v20, vcc
	s_nop 1
	v_mov_b32_dpp v19, v18 quad_perm:[2,3,0,1] row_mask:0xf bank_mask:0xf
	v_cmp_gt_f32_e32 vcc, v18, v19
	v_cndmask_b32_e32 v18, v19, v18, vcc
	s_nop 1
	v_mov_b32_dpp v19, v18 row_half_mirror row_mask:0xf bank_mask:0xf
	v_cmp_gt_f32_e32 vcc, v18, v19
	v_cndmask_b32_e32 v18, v19, v18, vcc
	s_cbranch_execz .LBB13_28
	s_branch .LBB13_30
.LBB13_25:
                                        ; implicit-def: $vgpr18
	s_branch .LBB13_31
.LBB13_26:
                                        ; implicit-def: $vgpr18
	s_branch .LBB13_28
.LBB13_27:
	s_cbranch_execnz .LBB13_30
.LBB13_28:
	s_cmp_eq_u32 s10, 4
	s_waitcnt lgkmcnt(0)
	v_mov_b32_e32 v18, v20
	s_cbranch_scc0 .LBB13_30
; %bb.29:
	s_nop 0
	v_mov_b32_dpp v18, v20 quad_perm:[1,0,3,2] row_mask:0xf bank_mask:0xf
	v_cmp_gt_f32_e32 vcc, v20, v18
	v_cndmask_b32_e32 v18, v18, v20, vcc
	s_nop 1
	v_mov_b32_dpp v19, v18 quad_perm:[2,3,0,1] row_mask:0xf bank_mask:0xf
	v_cmp_gt_f32_e32 vcc, v18, v19
	v_cndmask_b32_e32 v18, v19, v18, vcc
.LBB13_30:
	s_cbranch_execnz .LBB13_33
.LBB13_31:
	s_cmp_lg_u32 s10, 2
	s_waitcnt lgkmcnt(0)
	v_mov_b32_e32 v18, v20
	s_cbranch_scc1 .LBB13_33
; %bb.32:
	s_nop 0
	v_mov_b32_dpp v18, v20 quad_perm:[1,0,3,2] row_mask:0xf bank_mask:0xf
	v_cmp_gt_f32_e32 vcc, v20, v18
	v_cndmask_b32_e32 v18, v18, v20, vcc
.LBB13_33:
	v_cvt_f32_u32_e32 v19, s10
	s_waitcnt lgkmcnt(0)
	v_mul_f32_e32 v21, 0x3b124925, v18
	s_sub_i32 s2, 0, s10
	v_cmp_gt_u32_e32 vcc, s9, v27
	v_rcp_iflag_f32_e32 v19, v19
	s_mov_b64 s[4:5], 0
	v_mul_f32_e32 v18, 0x4f7ffffe, v19
	v_cvt_u32_f32_e32 v18, v18
	v_mul_lo_u32 v19, s2, v18
	v_mul_hi_u32 v19, v18, v19
	v_add_u32_e32 v18, v18, v19
	v_mul_hi_u32 v18, v0, v18
	v_mul_lo_u32 v19, v18, s10
	v_sub_u32_e32 v19, v0, v19
	v_add_u32_e32 v22, 1, v18
	v_cmp_le_u32_e64 s[2:3], s10, v19
	v_cndmask_b32_e64 v18, v18, v22, s[2:3]
	v_subrev_u32_e32 v22, s10, v19
	v_cndmask_b32_e64 v19, v19, v22, s[2:3]
	v_add_u32_e32 v22, 1, v18
	v_cmp_le_u32_e64 s[2:3], s10, v19
	v_cndmask_b32_e64 v22, v18, v22, s[2:3]
	v_mul_lo_u32 v18, v22, s10
	v_sub_u32_e32 v18, v0, v18
	v_cmp_eq_u32_e64 s[2:3], 0, v18
	s_and_b64 s[10:11], s[2:3], vcc
	s_mov_b64 s[2:3], 0
                                        ; implicit-def: $vgpr18_vgpr19
	s_and_saveexec_b64 s[18:19], s[10:11]
	s_xor_b64 s[10:11], exec, s[18:19]
	s_cbranch_execz .LBB13_42
; %bb.34:
	s_bitcmp0_b32 s15, 0
	s_cbranch_scc0 .LBB13_39
; %bb.35:
	s_ashr_i32 s2, s9, 31
	s_mul_hi_u32 s3, s9, s6
	s_mul_i32 s2, s2, s6
	s_add_i32 s19, s3, s2
	s_mul_i32 s18, s9, s6
	s_mov_b32 s15, s12
	s_or_b64 s[2:3], s[18:19], s[14:15]
	s_mov_b32 s2, 0
	s_cmp_lg_u64 s[2:3], 0
	s_cbranch_scc0 .LBB13_50
; %bb.36:
	s_add_u32 s2, s14, s15
	s_mov_b32 s24, s15
	s_mov_b32 s25, s15
	s_addc_u32 s3, s15, s15
	s_xor_b64 s[26:27], s[2:3], s[24:25]
	v_cvt_f32_u32_e32 v18, s26
	v_cvt_f32_u32_e32 v19, s27
	s_sub_u32 s2, 0, s26
	s_subb_u32 s3, 0, s27
	v_madmk_f32 v18, v19, 0x4f800000, v18
	v_rcp_f32_e32 v18, v18
	v_mul_f32_e32 v18, 0x5f7ffffc, v18
	v_mul_f32_e32 v19, 0x2f800000, v18
	v_trunc_f32_e32 v19, v19
	v_madmk_f32 v18, v19, 0xcf800000, v18
	v_cvt_u32_f32_e32 v19, v19
	v_cvt_u32_f32_e32 v18, v18
	v_readfirstlane_b32 s12, v19
	v_readfirstlane_b32 s15, v18
	s_mul_i32 s28, s2, s12
	s_mul_hi_u32 s30, s2, s15
	s_mul_i32 s29, s3, s15
	s_add_i32 s28, s30, s28
	s_add_i32 s28, s28, s29
	s_mul_i32 s31, s2, s15
	s_mul_hi_u32 s29, s15, s28
	s_mul_i32 s30, s15, s28
	s_mul_hi_u32 s15, s15, s31
	s_add_u32 s15, s15, s30
	s_addc_u32 s29, 0, s29
	s_mul_hi_u32 s33, s12, s31
	s_mul_i32 s31, s12, s31
	s_add_u32 s15, s15, s31
	s_mul_hi_u32 s30, s12, s28
	s_addc_u32 s15, s29, s33
	s_addc_u32 s29, s30, 0
	s_mul_i32 s28, s12, s28
	s_add_u32 s15, s15, s28
	s_addc_u32 s28, 0, s29
	v_add_co_u32_e32 v18, vcc, s15, v18
	s_cmp_lg_u64 vcc, 0
	s_addc_u32 s12, s12, s28
	v_readfirstlane_b32 s28, v18
	s_mul_i32 s15, s2, s12
	s_mul_hi_u32 s29, s2, s28
	s_add_i32 s15, s29, s15
	s_mul_i32 s3, s3, s28
	s_add_i32 s15, s15, s3
	s_mul_i32 s2, s2, s28
	s_mul_hi_u32 s29, s12, s2
	s_mul_i32 s30, s12, s2
	s_mul_i32 s33, s28, s15
	s_mul_hi_u32 s2, s28, s2
	s_mul_hi_u32 s31, s28, s15
	s_add_u32 s2, s2, s33
	s_addc_u32 s28, 0, s31
	s_add_u32 s2, s2, s30
	s_mul_hi_u32 s3, s12, s15
	s_addc_u32 s2, s28, s29
	s_addc_u32 s3, s3, 0
	s_mul_i32 s15, s12, s15
	s_add_u32 s2, s2, s15
	s_addc_u32 s3, 0, s3
	v_add_co_u32_e32 v18, vcc, s2, v18
	s_cmp_lg_u64 vcc, 0
	s_addc_u32 s12, s12, s3
	s_ashr_i32 s28, s19, 31
	s_add_u32 s2, s18, s28
	s_mov_b32 s29, s28
	s_addc_u32 s3, s19, s28
	s_xor_b64 s[30:31], s[2:3], s[28:29]
	v_readfirstlane_b32 s15, v18
	s_mul_i32 s3, s30, s12
	s_mul_hi_u32 s19, s30, s15
	s_mul_hi_u32 s2, s30, s12
	s_add_u32 s3, s19, s3
	s_addc_u32 s2, 0, s2
	s_mul_hi_u32 s33, s31, s15
	s_mul_i32 s15, s31, s15
	s_add_u32 s3, s3, s15
	s_mul_hi_u32 s19, s31, s12
	s_addc_u32 s2, s2, s33
	s_addc_u32 s3, s19, 0
	s_mul_i32 s12, s31, s12
	s_add_u32 s12, s2, s12
	s_addc_u32 s15, 0, s3
	s_mul_i32 s2, s26, s15
	s_mul_hi_u32 s3, s26, s12
	s_add_i32 s2, s3, s2
	s_mul_i32 s3, s27, s12
	s_add_i32 s19, s2, s3
	s_mul_i32 s3, s26, s12
	v_mov_b32_e32 v18, s3
	s_sub_i32 s2, s31, s19
	v_sub_co_u32_e32 v18, vcc, s30, v18
	s_cmp_lg_u64 vcc, 0
	s_subb_u32 s30, s2, s27
	v_subrev_co_u32_e64 v19, s[2:3], s26, v18
	s_cmp_lg_u64 s[2:3], 0
	s_subb_u32 s30, s30, 0
	s_cmp_ge_u32 s30, s27
	s_cselect_b32 s33, -1, 0
	v_cmp_le_u32_e64 s[2:3], s26, v19
	s_cmp_eq_u32 s30, s27
	v_cndmask_b32_e64 v19, 0, -1, s[2:3]
	v_mov_b32_e32 v23, s33
	s_cselect_b64 s[2:3], -1, 0
	v_cndmask_b32_e64 v19, v23, v19, s[2:3]
	s_add_u32 s2, s12, 1
	s_addc_u32 s30, s15, 0
	s_add_u32 s3, s12, 2
	s_addc_u32 s33, s15, 0
	v_mov_b32_e32 v23, s2
	v_mov_b32_e32 v24, s3
	v_cmp_ne_u32_e64 s[2:3], 0, v19
	v_cndmask_b32_e64 v19, v23, v24, s[2:3]
	v_mov_b32_e32 v23, s30
	v_mov_b32_e32 v24, s33
	s_cmp_lg_u64 vcc, 0
	v_cndmask_b32_e64 v23, v23, v24, s[2:3]
	s_subb_u32 s2, s31, s19
	s_cmp_ge_u32 s2, s27
	s_cselect_b32 s3, -1, 0
	v_cmp_le_u32_e32 vcc, s26, v18
	s_cmp_eq_u32 s2, s27
	v_cndmask_b32_e64 v18, 0, -1, vcc
	v_mov_b32_e32 v24, s3
	s_cselect_b64 vcc, -1, 0
	v_cndmask_b32_e32 v18, v24, v18, vcc
	v_mov_b32_e32 v24, s15
	v_cmp_ne_u32_e32 vcc, 0, v18
	v_cndmask_b32_e32 v18, v24, v23, vcc
	v_mov_b32_e32 v23, s12
	v_cndmask_b32_e32 v19, v23, v19, vcc
	s_xor_b64 s[2:3], s[28:29], s[24:25]
	v_xor_b32_e32 v19, s2, v19
	v_xor_b32_e32 v23, s3, v18
	v_mov_b32_e32 v24, s3
	v_subrev_co_u32_e32 v18, vcc, s2, v19
	v_subb_co_u32_e32 v19, vcc, v23, v24, vcc
	s_cbranch_execnz .LBB13_38
.LBB13_37:
	v_cvt_f32_u32_e32 v18, s14
	s_sub_i32 s2, 0, s14
	s_mov_b32 s3, 0
	v_rcp_iflag_f32_e32 v18, v18
	v_mul_f32_e32 v18, 0x4f7ffffe, v18
	v_cvt_u32_f32_e32 v18, v18
	v_readfirstlane_b32 s12, v18
	s_mul_i32 s2, s2, s12
	s_mul_hi_u32 s2, s12, s2
	s_add_i32 s12, s12, s2
	s_mul_hi_u32 s2, s18, s12
	s_mul_i32 s15, s2, s14
	s_sub_i32 s15, s18, s15
	s_add_i32 s12, s2, 1
	s_sub_i32 s18, s15, s14
	s_cmp_ge_u32 s15, s14
	s_cselect_b32 s2, s12, s2
	s_cselect_b32 s15, s18, s15
	s_add_i32 s12, s2, 1
	s_cmp_ge_u32 s15, s14
	s_cselect_b32 s2, s12, s2
	v_pk_mov_b32 v[18:19], s[2:3], s[2:3] op_sel:[0,1]
.LBB13_38:
	v_add_co_u32_e32 v18, vcc, v18, v22
	v_addc_co_u32_e32 v19, vcc, 0, v19, vcc
	s_branch .LBB13_41
.LBB13_39:
                                        ; implicit-def: $vgpr18_vgpr19
	s_cbranch_execz .LBB13_41
; %bb.40:
	v_mul_lo_u32 v18, v22, s8
	v_ashrrev_i32_e32 v19, 31, v18
	v_mov_b32_e32 v22, s7
	v_add_co_u32_e32 v18, vcc, s6, v18
	v_addc_co_u32_e32 v19, vcc, v19, v22, vcc
.LBB13_41:
	s_mov_b64 s[2:3], exec
.LBB13_42:
	s_or_b64 exec, exec, s[10:11]
	s_and_b64 vcc, exec, s[4:5]
	s_cbranch_vccz .LBB13_46
.LBB13_43:
	v_mov_b32_dpp v18, v20 quad_perm:[1,0,3,2] row_mask:0xf bank_mask:0xf
	v_cmp_gt_f32_e32 vcc, v20, v18
	v_cndmask_b32_e32 v18, v18, v20, vcc
	s_nop 1
	v_mov_b32_dpp v19, v18 quad_perm:[2,3,0,1] row_mask:0xf bank_mask:0xf
	v_cmp_gt_f32_e32 vcc, v18, v19
	v_cndmask_b32_e32 v18, v19, v18, vcc
	s_nop 1
	v_mov_b32_dpp v19, v18 row_half_mirror row_mask:0xf bank_mask:0xf
	v_cmp_gt_f32_e32 vcc, v18, v19
	v_cndmask_b32_e32 v18, v19, v18, vcc
	s_nop 1
	v_mov_b32_dpp v19, v18 row_mirror row_mask:0xf bank_mask:0xf
	v_cmp_gt_f32_e32 vcc, v18, v19
	v_cndmask_b32_e32 v18, v19, v18, vcc
	s_nop 1
	v_mov_b32_dpp v19, v18 row_bcast:15 row_mask:0xf bank_mask:0xf
	v_cmp_gt_f32_e32 vcc, v18, v19
	v_cndmask_b32_e32 v18, v19, v18, vcc
	s_nop 1
	v_mov_b32_dpp v19, v18 row_bcast:31 row_mask:0xf bank_mask:0xf
	s_and_saveexec_b64 s[2:3], s[0:1]
	s_cbranch_execz .LBB13_45
; %bb.44:
	v_lshrrev_b32_e32 v20, 4, v0
	v_cmp_gt_f32_e32 vcc, v18, v19
	v_and_b32_e32 v20, 60, v20
	v_cndmask_b32_e32 v18, v19, v18, vcc
	ds_write_b32 v20, v18
.LBB13_45:
	s_or_b64 exec, exec, s[2:3]
	s_waitcnt lgkmcnt(0)
	s_barrier
	ds_read_b32 v18, v26
	v_cmp_eq_u32_e64 s[2:3], 0, v0
	s_waitcnt lgkmcnt(0)
	v_mov_b32_dpp v19, v18 quad_perm:[1,0,3,2] row_mask:0xf bank_mask:0xf
	v_cmp_gt_f32_e32 vcc, v18, v19
	v_cndmask_b32_e32 v18, v19, v18, vcc
	s_nop 1
	v_mov_b32_dpp v19, v18 quad_perm:[2,3,0,1] row_mask:0xf bank_mask:0xf
	v_cmp_gt_f32_e32 vcc, v18, v19
	v_cndmask_b32_e32 v18, v19, v18, vcc
	v_mul_f32_e32 v21, 0x3b124925, v18
	v_pk_mov_b32 v[18:19], s[6:7], s[6:7] op_sel:[0,1]
.LBB13_46:
	s_and_saveexec_b64 s[0:1], s[2:3]
	s_cbranch_execz .LBB13_48
; %bb.47:
	v_lshlrev_b64 v[18:19], 2, v[18:19]
	v_mov_b32_e32 v0, s21
	v_add_co_u32_e32 v18, vcc, s20, v18
	v_addc_co_u32_e32 v19, vcc, v0, v19, vcc
	global_store_dword v[18:19], v21, off
.LBB13_48:
	s_or_b64 exec, exec, s[0:1]
	s_add_i32 s0, s9, 3
	s_ashr_i32 s1, s0, 31
	s_lshr_b32 s1, s1, 30
	s_add_i32 s0, s0, s1
	;;#ASMSTART
	v_rcp_f32 v18, v21
	;;#ASMEND
	v_mov_b32_e32 v19, v18
	;;#ASMSTART
	v_pk_mul_f32 v[16:17], v[16:17], v[18:19]
	;;#ASMEND
	s_and_b32 s2, s0, -4
	s_ashr_i32 s0, s13, 31
	v_mov_b32_e32 v0, 0xc3e00000
	v_mov_b32_e32 v20, 0x43e00000
	;;#ASMSTART
	v_med3_f32 v16, v16, v0, v20
v_med3_f32 v17, v17, v0, v20
v_cvt_pk_fp8_f32 v21, v16, v17
	;;#ASMEND
	;;#ASMSTART
	v_pk_mul_f32 v[14:15], v[14:15], v[18:19]
	;;#ASMEND
	s_mul_hi_u32 s1, s13, s6
	s_mul_i32 s0, s0, s6
	;;#ASMSTART
	v_med3_f32 v14, v14, v0, v20
v_med3_f32 v15, v15, v0, v20
v_cvt_pk_fp8_f32 v16, v14, v15
	;;#ASMEND
	s_mov_b32 s5, 0x5040100
	s_add_i32 s1, s1, s0
	s_mul_i32 s0, s13, s6
	v_perm_b32 v15, v16, v21, s5
	s_movk_i32 s6, 0xff
	v_and_b32_e32 v14, 0xffffff00, v16
	v_and_b32_sdwa v16, v15, s6 dst_sel:DWORD dst_unused:UNUSED_PAD src0_sel:WORD_1 src1_sel:DWORD
	s_mov_b32 s4, 0xffff
	v_or_b32_sdwa v14, v16, v14 dst_sel:WORD_1 dst_unused:UNUSED_PAD src0_sel:DWORD src1_sel:DWORD
	;;#ASMSTART
	v_pk_mul_f32 v[12:13], v[12:13], v[18:19]
	;;#ASMEND
	v_and_or_b32 v14, v15, s4, v14
	;;#ASMSTART
	v_med3_f32 v12, v12, v0, v20
v_med3_f32 v13, v13, v0, v20
v_cvt_pk_fp8_f32 v15, v12, v13
	;;#ASMEND
	;;#ASMSTART
	v_pk_mul_f32 v[8:9], v[8:9], v[18:19]
	;;#ASMEND
	s_add_u32 s0, s16, s0
	;;#ASMSTART
	v_med3_f32 v8, v8, v0, v20
v_med3_f32 v9, v9, v0, v20
v_cvt_pk_fp8_f32 v12, v8, v9
	;;#ASMEND
	s_addc_u32 s1, s17, s1
	v_lshlrev_b32_e32 v8, 16, v12
	s_and_b32 s1, s1, 0xffff
	s_mov_b32 s3, 0x20000
	v_and_or_b32 v15, v15, s4, v8
	buffer_store_dwordx2 v[14:15], v1, s[0:3], 0 offen
	;;#ASMSTART
	s_nop 0
	;;#ASMEND
	;;#ASMSTART
	v_pk_mul_f32 v[8:9], v[10:11], v[18:19]
	;;#ASMEND
	;;#ASMSTART
	v_med3_f32 v8, v8, v0, v20
v_med3_f32 v9, v9, v0, v20
v_cvt_pk_fp8_f32 v10, v8, v9
	;;#ASMEND
	;;#ASMSTART
	v_pk_mul_f32 v[6:7], v[6:7], v[18:19]
	;;#ASMEND
	;;#ASMSTART
	v_med3_f32 v6, v6, v0, v20
v_med3_f32 v7, v7, v0, v20
v_cvt_pk_fp8_f32 v8, v6, v7
	;;#ASMEND
	v_perm_b32 v7, v8, v10, s5
	v_and_b32_e32 v6, 0xffffff00, v8
	v_and_b32_sdwa v8, v7, s6 dst_sel:DWORD dst_unused:UNUSED_PAD src0_sel:WORD_1 src1_sel:DWORD
	v_or_b32_sdwa v6, v8, v6 dst_sel:WORD_1 dst_unused:UNUSED_PAD src0_sel:DWORD src1_sel:DWORD
	;;#ASMSTART
	v_pk_mul_f32 v[4:5], v[4:5], v[18:19]
	;;#ASMEND
	v_and_or_b32 v6, v7, s4, v6
	;;#ASMSTART
	v_med3_f32 v4, v4, v0, v20
v_med3_f32 v5, v5, v0, v20
v_cvt_pk_fp8_f32 v7, v4, v5
	;;#ASMEND
	;;#ASMSTART
	v_pk_mul_f32 v[2:3], v[2:3], v[18:19]
	;;#ASMEND
	;;#ASMSTART
	v_med3_f32 v2, v2, v0, v20
v_med3_f32 v3, v3, v0, v20
v_cvt_pk_fp8_f32 v0, v2, v3
	;;#ASMEND
	v_lshlrev_b32_e32 v0, 16, v0
	v_and_or_b32 v7, v7, s4, v0
	s_movk_i32 s4, 0x200
	buffer_store_dwordx2 v[6:7], v1, s[0:3], s4 offen
	;;#ASMSTART
	s_nop 0
	;;#ASMEND
.LBB13_49:
	s_endpgm
.LBB13_50:
                                        ; implicit-def: $vgpr18_vgpr19
	s_branch .LBB13_37
	.section	.rodata,"a",@progbits
	.p2align	6, 0x0
	.amdhsa_kernel _ZN5aiter24add_rmsnorm_quant_kernelIDF16_DB8_Li256ELi16ELb1ELb1ELb1ELi1EEEvPT0_PT_PfS5_S5_S5_diiiiiiib
		.amdhsa_group_segment_fixed_size 32
		.amdhsa_private_segment_fixed_size 0
		.amdhsa_kernarg_size 88
		.amdhsa_user_sgpr_count 6
		.amdhsa_user_sgpr_private_segment_buffer 1
		.amdhsa_user_sgpr_dispatch_ptr 0
		.amdhsa_user_sgpr_queue_ptr 0
		.amdhsa_user_sgpr_kernarg_segment_ptr 1
		.amdhsa_user_sgpr_dispatch_id 0
		.amdhsa_user_sgpr_flat_scratch_init 0
		.amdhsa_user_sgpr_kernarg_preload_length 0
		.amdhsa_user_sgpr_kernarg_preload_offset 0
		.amdhsa_user_sgpr_private_segment_size 0
		.amdhsa_uses_dynamic_stack 0
		.amdhsa_system_sgpr_private_segment_wavefront_offset 0
		.amdhsa_system_sgpr_workgroup_id_x 1
		.amdhsa_system_sgpr_workgroup_id_y 0
		.amdhsa_system_sgpr_workgroup_id_z 0
		.amdhsa_system_sgpr_workgroup_info 0
		.amdhsa_system_vgpr_workitem_id 0
		.amdhsa_next_free_vgpr 48
		.amdhsa_next_free_sgpr 40
		.amdhsa_accum_offset 48
		.amdhsa_reserve_vcc 1
		.amdhsa_reserve_flat_scratch 0
		.amdhsa_float_round_mode_32 0
		.amdhsa_float_round_mode_16_64 0
		.amdhsa_float_denorm_mode_32 3
		.amdhsa_float_denorm_mode_16_64 3
		.amdhsa_dx10_clamp 1
		.amdhsa_ieee_mode 1
		.amdhsa_fp16_overflow 0
		.amdhsa_tg_split 0
		.amdhsa_exception_fp_ieee_invalid_op 0
		.amdhsa_exception_fp_denorm_src 0
		.amdhsa_exception_fp_ieee_div_zero 0
		.amdhsa_exception_fp_ieee_overflow 0
		.amdhsa_exception_fp_ieee_underflow 0
		.amdhsa_exception_fp_ieee_inexact 0
		.amdhsa_exception_int_div_zero 0
	.end_amdhsa_kernel
	.section	.text._ZN5aiter24add_rmsnorm_quant_kernelIDF16_DB8_Li256ELi16ELb1ELb1ELb1ELi1EEEvPT0_PT_PfS5_S5_S5_diiiiiiib,"axG",@progbits,_ZN5aiter24add_rmsnorm_quant_kernelIDF16_DB8_Li256ELi16ELb1ELb1ELb1ELi1EEEvPT0_PT_PfS5_S5_S5_diiiiiiib,comdat
.Lfunc_end13:
	.size	_ZN5aiter24add_rmsnorm_quant_kernelIDF16_DB8_Li256ELi16ELb1ELb1ELb1ELi1EEEvPT0_PT_PfS5_S5_S5_diiiiiiib, .Lfunc_end13-_ZN5aiter24add_rmsnorm_quant_kernelIDF16_DB8_Li256ELi16ELb1ELb1ELb1ELi1EEEvPT0_PT_PfS5_S5_S5_diiiiiiib
                                        ; -- End function
	.section	.AMDGPU.csdata,"",@progbits
; Kernel info:
; codeLenInByte = 4124
; NumSgprs: 44
; NumVgprs: 48
; NumAgprs: 0
; TotalNumVgprs: 48
; ScratchSize: 0
; MemoryBound: 0
; FloatMode: 240
; IeeeMode: 1
; LDSByteSize: 32 bytes/workgroup (compile time only)
; SGPRBlocks: 5
; VGPRBlocks: 5
; NumSGPRsForWavesPerEU: 44
; NumVGPRsForWavesPerEU: 48
; AccumOffset: 48
; Occupancy: 8
; WaveLimiterHint : 0
; COMPUTE_PGM_RSRC2:SCRATCH_EN: 0
; COMPUTE_PGM_RSRC2:USER_SGPR: 6
; COMPUTE_PGM_RSRC2:TRAP_HANDLER: 0
; COMPUTE_PGM_RSRC2:TGID_X_EN: 1
; COMPUTE_PGM_RSRC2:TGID_Y_EN: 0
; COMPUTE_PGM_RSRC2:TGID_Z_EN: 0
; COMPUTE_PGM_RSRC2:TIDIG_COMP_CNT: 0
; COMPUTE_PGM_RSRC3_GFX90A:ACCUM_OFFSET: 11
; COMPUTE_PGM_RSRC3_GFX90A:TG_SPLIT: 0
	.section	.text._ZN5aiter24add_rmsnorm_quant_kernelItDB8_Li256ELi16ELb1ELb1ELb1ELi1EEEvPT0_PT_PfS5_S5_S5_diiiiiiib,"axG",@progbits,_ZN5aiter24add_rmsnorm_quant_kernelItDB8_Li256ELi16ELb1ELb1ELb1ELi1EEEvPT0_PT_PfS5_S5_S5_diiiiiiib,comdat
	.protected	_ZN5aiter24add_rmsnorm_quant_kernelItDB8_Li256ELi16ELb1ELb1ELb1ELi1EEEvPT0_PT_PfS5_S5_S5_diiiiiiib ; -- Begin function _ZN5aiter24add_rmsnorm_quant_kernelItDB8_Li256ELi16ELb1ELb1ELb1ELi1EEEvPT0_PT_PfS5_S5_S5_diiiiiiib
	.globl	_ZN5aiter24add_rmsnorm_quant_kernelItDB8_Li256ELi16ELb1ELb1ELb1ELi1EEEvPT0_PT_PfS5_S5_S5_diiiiiiib
	.p2align	8
	.type	_ZN5aiter24add_rmsnorm_quant_kernelItDB8_Li256ELi16ELb1ELb1ELb1ELi1EEEvPT0_PT_PfS5_S5_S5_diiiiiiib,@function
_ZN5aiter24add_rmsnorm_quant_kernelItDB8_Li256ELi16ELb1ELb1ELb1ELi1EEEvPT0_PT_PfS5_S5_S5_diiiiiiib: ; @_ZN5aiter24add_rmsnorm_quant_kernelItDB8_Li256ELi16ELb1ELb1ELb1ELi1EEEvPT0_PT_PfS5_S5_S5_diiiiiiib
; %bb.0:
	s_load_dwordx8 s[8:15], s[4:5], 0x38
	s_mov_b32 s7, 0
	s_waitcnt lgkmcnt(0)
	s_ashr_i32 s0, s8, 31
	v_mov_b32_e32 v2, s8
	v_mov_b32_e32 v3, s0
	v_cmp_ge_i64_e32 vcc, s[6:7], v[2:3]
	s_cbranch_vccnz .LBB14_49
; %bb.1:
	s_load_dwordx8 s[16:23], s[4:5], 0x0
	s_ashr_i32 s0, s10, 31
	s_mul_hi_u32 s1, s10, s6
	s_mul_i32 s0, s0, s6
	s_add_i32 s1, s1, s0
	s_mul_i32 s0, s10, s6
	s_lshl_b64 s[0:1], s[0:1], 1
	s_waitcnt lgkmcnt(0)
	s_add_u32 s0, s22, s0
	s_addc_u32 s1, s23, s1
	s_add_i32 s2, s9, 1
	s_lshr_b32 s3, s2, 31
	v_lshlrev_b32_e32 v27, 4, v0
	s_add_i32 s2, s2, s3
	v_lshlrev_b32_e32 v1, 3, v0
	v_and_b32_e32 v2, 0x3c00, v27
	s_movk_i32 s10, 0x1f8
	s_lshl_b32 s2, s2, 1
	v_and_or_b32 v1, v1, s10, v2
	s_load_dwordx8 s[24:31], s[4:5], 0x20
	s_and_b32 s2, s2, -4
	s_and_b32 s1, s1, 0xffff
	s_mov_b32 s3, 0x20000
	v_lshlrev_b32_e32 v26, 1, v1
	s_movk_i32 s10, 0x400
	buffer_load_dwordx4 v[18:21], v26, s[0:3], s10 offen glc slc
	buffer_load_dwordx4 v[10:13], v26, s[0:3], 0 offen glc slc
	s_ashr_i32 s0, s11, 31
	s_mul_hi_u32 s1, s11, s6
	s_mul_i32 s0, s0, s6
	s_add_i32 s1, s1, s0
	s_mul_i32 s0, s11, s6
	s_waitcnt lgkmcnt(0)
	s_and_b32 s37, s27, 0xffff
	s_lshl_b64 s[0:1], s[0:1], 1
	s_add_u32 s0, s24, s0
	s_addc_u32 s1, s25, s1
	s_and_b32 s1, s1, 0xffff
	buffer_load_dwordx4 v[22:25], v26, s[0:3], s10 offen glc slc
	buffer_load_dwordx4 v[14:17], v26, s[0:3], 0 offen glc slc
	s_mov_b32 s39, s3
	s_mov_b32 s36, s26
	;; [unrolled: 1-line block ×3, first 2 shown]
	buffer_load_dwordx4 v[6:9], v26, s[36:39], 0 offen
	buffer_load_dwordx4 v[2:5], v26, s[36:39], s10 offen
	s_ashr_i32 s5, s12, 31
	s_mul_hi_u32 s1, s12, s6
	s_mul_i32 s5, s5, s6
	s_mul_i32 s0, s12, s6
	s_add_i32 s1, s1, s5
	s_lshl_b64 s[0:1], s[0:1], 1
	s_add_u32 s0, s18, s0
	s_mov_b32 s4, 0x7060302
	s_addc_u32 s1, s19, s1
	s_and_b32 s1, s1, 0xffff
	s_waitcnt vmcnt(5)
	v_cvt_f32_u32_sdwa v29, v18 dst_sel:DWORD dst_unused:UNUSED_PAD src0_sel:WORD_1
	v_cvt_f32_u32_sdwa v28, v18 dst_sel:DWORD dst_unused:UNUSED_PAD src0_sel:WORD_0
	v_cvt_f32_u32_sdwa v31, v19 dst_sel:DWORD dst_unused:UNUSED_PAD src0_sel:WORD_1
	v_cvt_f32_u32_sdwa v30, v19 dst_sel:DWORD dst_unused:UNUSED_PAD src0_sel:WORD_0
	v_cvt_f32_u32_sdwa v19, v20 dst_sel:DWORD dst_unused:UNUSED_PAD src0_sel:WORD_1
	v_cvt_f32_u32_sdwa v18, v20 dst_sel:DWORD dst_unused:UNUSED_PAD src0_sel:WORD_0
	v_cvt_f32_u32_sdwa v33, v21 dst_sel:DWORD dst_unused:UNUSED_PAD src0_sel:WORD_1
	v_cvt_f32_u32_sdwa v32, v21 dst_sel:DWORD dst_unused:UNUSED_PAD src0_sel:WORD_0
	s_waitcnt vmcnt(4)
	v_cvt_f32_u32_sdwa v21, v10 dst_sel:DWORD dst_unused:UNUSED_PAD src0_sel:WORD_1
	v_cvt_f32_u32_sdwa v20, v10 dst_sel:DWORD dst_unused:UNUSED_PAD src0_sel:WORD_0
	v_cvt_f32_u32_sdwa v35, v11 dst_sel:DWORD dst_unused:UNUSED_PAD src0_sel:WORD_1
	v_cvt_f32_u32_sdwa v34, v11 dst_sel:DWORD dst_unused:UNUSED_PAD src0_sel:WORD_0
	v_cvt_f32_u32_sdwa v37, v12 dst_sel:DWORD dst_unused:UNUSED_PAD src0_sel:WORD_1
	v_cvt_f32_u32_sdwa v36, v12 dst_sel:DWORD dst_unused:UNUSED_PAD src0_sel:WORD_0
	v_cvt_f32_u32_sdwa v39, v13 dst_sel:DWORD dst_unused:UNUSED_PAD src0_sel:WORD_1
	v_cvt_f32_u32_sdwa v38, v13 dst_sel:DWORD dst_unused:UNUSED_PAD src0_sel:WORD_0
	;; [unrolled: 9-line block ×4, first 2 shown]
	v_pk_add_f32 v[14:15], v[30:31], v[12:13]
	v_pk_add_f32 v[12:13], v[18:19], v[22:23]
	;; [unrolled: 1-line block ×8, first 2 shown]
	v_perm_b32 v31, v19, v18, s4
	v_perm_b32 v30, v21, v20, s4
	;; [unrolled: 1-line block ×6, first 2 shown]
	buffer_store_dwordx4 v[28:31], v26, s[0:3], 0 offen glc slc
	;;#ASMSTART
	s_nop 0
	;;#ASMEND
	v_pk_mul_f32 v[34:35], v[18:19], v[18:19]
	v_perm_b32 v31, v15, v14, s4
	v_perm_b32 v30, v17, v16, s4
	v_pk_mul_f32 v[28:29], v[24:25], v[24:25]
	buffer_store_dwordx4 v[30:33], v26, s[0:3], s10 offen glc slc
	v_pk_mul_f32 v[30:31], v[22:23], v[22:23]
	v_add_f32_e32 v26, v28, v29
	v_add_f32_e32 v26, v30, v26
	v_pk_mul_f32 v[32:33], v[20:21], v[20:21]
	v_add_f32_e32 v26, v31, v26
	v_add_f32_e32 v26, v32, v26
	;; [unrolled: 1-line block ×4, first 2 shown]
	v_pk_mul_f32 v[36:37], v[16:17], v[16:17]
	v_add_f32_e32 v26, v35, v26
	v_add_f32_e32 v26, v36, v26
	v_pk_mul_f32 v[38:39], v[14:15], v[14:15]
	v_add_f32_e32 v26, v37, v26
	v_add_f32_e32 v26, v38, v26
	;; [unrolled: 3-line block ×4, first 2 shown]
	v_add_f32_e32 v26, v43, v26
	v_and_b32_e32 v29, 63, v0
	v_cmp_eq_u32_e64 s[0:1], 63, v29
	v_mov_b32_dpp v28, v26 quad_perm:[1,0,3,2] row_mask:0xf bank_mask:0xf
	v_add_f32_e32 v26, v26, v28
	;;#ASMSTART
	s_nop 0
	;;#ASMEND
	s_nop 1
	v_mov_b32_dpp v28, v26 quad_perm:[2,3,0,1] row_mask:0xf bank_mask:0xf
	v_add_f32_e32 v26, v26, v28
	s_nop 1
	v_mov_b32_dpp v28, v26 row_half_mirror row_mask:0xf bank_mask:0xf
	v_add_f32_e32 v26, v26, v28
	s_nop 1
	v_mov_b32_dpp v28, v26 row_mirror row_mask:0xf bank_mask:0xf
	v_add_f32_e32 v26, v26, v28
	s_nop 1
	v_mov_b32_dpp v28, v26 row_bcast:15 row_mask:0xf bank_mask:0xf
	v_add_f32_e32 v26, v26, v28
	s_nop 1
	v_mov_b32_dpp v28, v26 row_bcast:31 row_mask:0xf bank_mask:0xf
	s_and_saveexec_b64 s[2:3], s[0:1]
	s_cbranch_execz .LBB14_3
; %bb.2:
	v_lshrrev_b32_e32 v29, 4, v0
	v_and_b32_e32 v29, 60, v29
	v_add_f32_e32 v26, v26, v28
	ds_write_b32 v29, v26 offset:16
.LBB14_3:
	s_or_b64 exec, exec, s[2:3]
	v_and_b32_e32 v26, 3, v0
	v_lshlrev_b32_e32 v26, 2, v26
	s_waitcnt lgkmcnt(0)
	s_barrier
	ds_read_b32 v28, v26 offset:16
	v_cvt_f32_i32_e32 v29, s9
	s_waitcnt vmcnt(3)
	v_cvt_f32_u32_sdwa v37, v9 dst_sel:DWORD dst_unused:UNUSED_PAD src0_sel:WORD_1
	v_cvt_f32_u32_sdwa v36, v9 dst_sel:DWORD dst_unused:UNUSED_PAD src0_sel:WORD_0
	s_cmp_lg_u32 s14, 0
	s_waitcnt lgkmcnt(0)
	v_mov_b32_dpp v30, v28 quad_perm:[1,0,3,2] row_mask:0xf bank_mask:0xf
	v_add_f32_e32 v28, v28, v30
	s_nop 1
	v_mov_b32_dpp v30, v28 quad_perm:[2,3,0,1] row_mask:0xf bank_mask:0xf
	v_add_f32_e32 v28, v28, v30
	v_div_scale_f32 v30, s[2:3], v29, v29, v28
	v_rcp_f32_e32 v31, v30
	v_div_scale_f32 v32, vcc, v28, v29, v28
	s_mov_b32 s2, 0x800000
	v_fma_f32 v33, -v30, v31, 1.0
	v_fmac_f32_e32 v31, v33, v31
	v_mul_f32_e32 v33, v32, v31
	v_fma_f32 v34, -v30, v33, v32
	v_fmac_f32_e32 v33, v34, v31
	v_fma_f32 v30, -v30, v33, v32
	v_div_fmas_f32 v30, v30, v31, v33
	v_div_fixup_f32 v28, v30, v29, v28
	v_cvt_f64_f32_e32 v[28:29], v28
	v_add_f64 v[28:29], v[28:29], s[28:29]
	v_cvt_f32_f64_e32 v28, v[28:29]
	v_mul_f32_e32 v29, 0x4b800000, v28
	v_cmp_gt_f32_e32 vcc, s2, v28
	v_cndmask_b32_e32 v28, v28, v29, vcc
	v_rsq_f32_e32 v28, v28
	v_mul_f32_e32 v29, 0x45800000, v28
	v_cndmask_b32_e32 v28, v28, v29, vcc
	v_mov_b32_e32 v29, v28
	;;#ASMSTART
	v_pk_mul_f32 v[24:25], v[24:25], v[28:29]
	;;#ASMEND
	;;#ASMSTART
	v_pk_mul_f32 v[22:23], v[22:23], v[28:29]
	;;#ASMEND
	;; [unrolled: 3-line block ×8, first 2 shown]
	v_cvt_f32_u32_sdwa v11, v6 dst_sel:DWORD dst_unused:UNUSED_PAD src0_sel:WORD_1
	v_cvt_f32_u32_sdwa v10, v6 dst_sel:DWORD dst_unused:UNUSED_PAD src0_sel:WORD_0
	v_cvt_f32_u32_sdwa v13, v7 dst_sel:DWORD dst_unused:UNUSED_PAD src0_sel:WORD_1
	v_cvt_f32_u32_sdwa v12, v7 dst_sel:DWORD dst_unused:UNUSED_PAD src0_sel:WORD_0
	;; [unrolled: 2-line block ×3, first 2 shown]
	;;#ASMSTART
	v_pk_mul_f32 v[16:17], v[24:25], v[10:11]
	;;#ASMEND
	;;#ASMSTART
	v_pk_mul_f32 v[14:15], v[22:23], v[12:13]
	;;#ASMEND
	;; [unrolled: 3-line block ×4, first 2 shown]
	s_waitcnt vmcnt(2)
	v_cvt_f32_u32_sdwa v7, v2 dst_sel:DWORD dst_unused:UNUSED_PAD src0_sel:WORD_1
	v_cvt_f32_u32_sdwa v6, v2 dst_sel:DWORD dst_unused:UNUSED_PAD src0_sel:WORD_0
	v_cvt_f32_u32_sdwa v19, v3 dst_sel:DWORD dst_unused:UNUSED_PAD src0_sel:WORD_1
	v_cvt_f32_u32_sdwa v18, v3 dst_sel:DWORD dst_unused:UNUSED_PAD src0_sel:WORD_0
	;; [unrolled: 2-line block ×3, first 2 shown]
	v_cvt_f32_u32_sdwa v20, v5 dst_sel:DWORD dst_unused:UNUSED_PAD src0_sel:WORD_0
	v_cvt_f32_u32_sdwa v21, v5 dst_sel:DWORD dst_unused:UNUSED_PAD src0_sel:WORD_1
	;;#ASMSTART
	v_pk_mul_f32 v[10:11], v[30:31], v[6:7]
	;;#ASMEND
	;;#ASMSTART
	v_pk_mul_f32 v[6:7], v[32:33], v[18:19]
	;;#ASMEND
	;;#ASMSTART
	v_pk_mul_f32 v[4:5], v[34:35], v[2:3]
	;;#ASMEND
	;;#ASMSTART
	v_pk_mul_f32 v[2:3], v[28:29], v[20:21]
	;;#ASMEND
	v_and_b32_e32 v18, 0x7fffffff, v16
	v_mov_b32_e32 v20, 0x2edbe6ff
	v_and_b32_e32 v19, 0x7fffffff, v17
	;;#ASMSTART
	v_max3_f32 v18, v20, v18, v19

	;;#ASMEND
	v_and_b32_e32 v20, 0x7fffffff, v15
	v_and_b32_e32 v19, 0x7fffffff, v14
	;;#ASMSTART
	v_max3_f32 v18, v18, v19, v20

	;;#ASMEND
	v_and_b32_e32 v20, 0x7fffffff, v13
	;; [unrolled: 6-line block ×7, first 2 shown]
	v_and_b32_e32 v19, 0x7fffffff, v2
	;;#ASMSTART
	v_max3_f32 v20, v18, v19, v20

	;;#ASMEND
	s_cbranch_scc0 .LBB14_10
; %bb.4:
	s_ashr_i32 s12, s14, 31
	s_lshr_b32 s2, s12, 28
	s_add_i32 s2, s14, s2
	s_ashr_i32 s10, s2, 4
	s_cmp_lt_i32 s10, 16
	s_cbranch_scc1 .LBB14_11
; %bb.5:
	s_cmp_lt_i32 s10, 32
	s_cbranch_scc1 .LBB14_12
; %bb.6:
	;; [unrolled: 3-line block ×3, first 2 shown]
	s_cmp_eq_u32 s10, 64
	v_mov_b32_e32 v18, v20
	s_cbranch_scc0 .LBB14_9
; %bb.8:
	s_nop 0
	v_mov_b32_dpp v18, v20 quad_perm:[1,0,3,2] row_mask:0xf bank_mask:0xf
	v_cmp_gt_f32_e32 vcc, v20, v18
	v_cndmask_b32_e32 v18, v18, v20, vcc
	v_bfrev_b32_e32 v21, 0.5
	s_nop 0
	v_mov_b32_dpp v19, v18 quad_perm:[2,3,0,1] row_mask:0xf bank_mask:0xf
	v_cmp_gt_f32_e32 vcc, v18, v19
	v_cndmask_b32_e32 v18, v19, v18, vcc
	s_nop 1
	v_mov_b32_dpp v19, v18 row_ror:4 row_mask:0xf bank_mask:0xf
	v_cmp_gt_f32_e32 vcc, v18, v19
	v_cndmask_b32_e32 v18, v19, v18, vcc
	s_nop 1
	v_mov_b32_dpp v19, v18 row_ror:8 row_mask:0xf bank_mask:0xf
	v_cmp_gt_f32_e32 vcc, v18, v19
	v_cndmask_b32_e32 v18, v19, v18, vcc
	s_nop 1
	v_mov_b32_dpp v19, v18 row_bcast:15 row_mask:0xf bank_mask:0xf
	v_cmp_gt_f32_e32 vcc, v18, v19
	v_cndmask_b32_e32 v18, v19, v18, vcc
	s_nop 1
	v_mov_b32_dpp v19, v18 row_bcast:31 row_mask:0xf bank_mask:0xf
	v_cmp_gt_f32_e32 vcc, v18, v19
	v_cndmask_b32_e32 v18, v19, v18, vcc
	v_mbcnt_lo_u32_b32 v19, -1, 0
	v_mbcnt_hi_u32_b32 v19, -1, v19
	v_lshl_or_b32 v19, v19, 2, v21
	ds_bpermute_b32 v18, v19, v18
.LBB14_9:
	s_mov_b64 s[2:3], 0
	s_branch .LBB14_14
.LBB14_10:
	s_mov_b64 s[2:3], 0
                                        ; implicit-def: $vgpr21
                                        ; implicit-def: $vgpr18_vgpr19
	s_cbranch_execnz .LBB14_43
	s_branch .LBB14_46
.LBB14_11:
                                        ; implicit-def: $vgpr18
	s_branch .LBB14_21
.LBB14_12:
                                        ; implicit-def: $vgpr18
	s_branch .LBB14_18
.LBB14_13:
	s_mov_b64 s[2:3], -1
                                        ; implicit-def: $vgpr18
.LBB14_14:
	s_andn2_b64 vcc, exec, s[2:3]
	s_cbranch_vccnz .LBB14_17
; %bb.15:
	s_cmp_eq_u32 s10, 32
	s_waitcnt lgkmcnt(0)
	v_mov_b32_e32 v18, v20
	s_cbranch_scc0 .LBB14_17
; %bb.16:
	s_nop 0
	v_mov_b32_dpp v18, v20 quad_perm:[1,0,3,2] row_mask:0xf bank_mask:0xf
	v_cmp_gt_f32_e32 vcc, v20, v18
	v_cndmask_b32_e32 v18, v18, v20, vcc
	v_mov_b32_e32 v21, 0x7c
	s_nop 0
	v_mov_b32_dpp v19, v18 quad_perm:[2,3,0,1] row_mask:0xf bank_mask:0xf
	v_cmp_gt_f32_e32 vcc, v18, v19
	v_cndmask_b32_e32 v18, v19, v18, vcc
	s_nop 1
	v_mov_b32_dpp v19, v18 row_half_mirror row_mask:0xf bank_mask:0xf
	v_cmp_gt_f32_e32 vcc, v18, v19
	v_cndmask_b32_e32 v18, v19, v18, vcc
	s_nop 1
	v_mov_b32_dpp v19, v18 row_mirror row_mask:0xf bank_mask:0xf
	v_cmp_gt_f32_e32 vcc, v18, v19
	v_cndmask_b32_e32 v18, v19, v18, vcc
	s_nop 1
	v_mov_b32_dpp v19, v18 row_bcast:15 row_mask:0xa bank_mask:0xf
	v_cmp_gt_f32_e32 vcc, v18, v19
	v_cndmask_b32_e32 v18, v19, v18, vcc
	v_mbcnt_lo_u32_b32 v19, -1, 0
	v_mbcnt_hi_u32_b32 v19, -1, v19
	v_lshl_or_b32 v19, v19, 2, v21
	ds_bpermute_b32 v18, v19, v18
.LBB14_17:
	s_cbranch_execnz .LBB14_20
.LBB14_18:
	s_cmp_eq_u32 s10, 16
	s_waitcnt lgkmcnt(0)
	v_mov_b32_e32 v18, v20
	s_cbranch_scc0 .LBB14_20
; %bb.19:
	s_nop 0
	v_mov_b32_dpp v18, v20 quad_perm:[1,0,3,2] row_mask:0xf bank_mask:0xf
	v_cmp_gt_f32_e32 vcc, v20, v18
	v_cndmask_b32_e32 v18, v18, v20, vcc
	s_nop 1
	v_mov_b32_dpp v19, v18 quad_perm:[2,3,0,1] row_mask:0xf bank_mask:0xf
	v_cmp_gt_f32_e32 vcc, v18, v19
	v_cndmask_b32_e32 v18, v19, v18, vcc
	s_nop 1
	v_mov_b32_dpp v19, v18 row_half_mirror row_mask:0xf bank_mask:0xf
	v_cmp_gt_f32_e32 vcc, v18, v19
	v_cndmask_b32_e32 v18, v19, v18, vcc
	s_nop 1
	v_mov_b32_dpp v19, v18 row_mirror row_mask:0xf bank_mask:0xf
	v_cmp_gt_f32_e32 vcc, v18, v19
	v_cndmask_b32_e32 v18, v19, v18, vcc
.LBB14_20:
	s_cbranch_execnz .LBB14_33
.LBB14_21:
	s_cmp_lt_i32 s10, 4
	s_cbranch_scc1 .LBB14_25
; %bb.22:
	s_cmp_lt_i32 s10, 8
	s_cbranch_scc1 .LBB14_26
; %bb.23:
	s_cmp_eq_u32 s10, 8
	s_waitcnt lgkmcnt(0)
	v_mov_b32_e32 v18, v20
	s_cbranch_scc0 .LBB14_27
; %bb.24:
	s_nop 0
	v_mov_b32_dpp v18, v20 quad_perm:[1,0,3,2] row_mask:0xf bank_mask:0xf
	v_cmp_gt_f32_e32 vcc, v20, v18
	v_cndmask_b32_e32 v18, v18, v20, vcc
	s_nop 1
	v_mov_b32_dpp v19, v18 quad_perm:[2,3,0,1] row_mask:0xf bank_mask:0xf
	v_cmp_gt_f32_e32 vcc, v18, v19
	v_cndmask_b32_e32 v18, v19, v18, vcc
	s_nop 1
	v_mov_b32_dpp v19, v18 row_half_mirror row_mask:0xf bank_mask:0xf
	v_cmp_gt_f32_e32 vcc, v18, v19
	v_cndmask_b32_e32 v18, v19, v18, vcc
	s_cbranch_execz .LBB14_28
	s_branch .LBB14_30
.LBB14_25:
                                        ; implicit-def: $vgpr18
	s_branch .LBB14_31
.LBB14_26:
                                        ; implicit-def: $vgpr18
	s_branch .LBB14_28
.LBB14_27:
	s_cbranch_execnz .LBB14_30
.LBB14_28:
	s_cmp_eq_u32 s10, 4
	s_waitcnt lgkmcnt(0)
	v_mov_b32_e32 v18, v20
	s_cbranch_scc0 .LBB14_30
; %bb.29:
	s_nop 0
	v_mov_b32_dpp v18, v20 quad_perm:[1,0,3,2] row_mask:0xf bank_mask:0xf
	v_cmp_gt_f32_e32 vcc, v20, v18
	v_cndmask_b32_e32 v18, v18, v20, vcc
	s_nop 1
	v_mov_b32_dpp v19, v18 quad_perm:[2,3,0,1] row_mask:0xf bank_mask:0xf
	v_cmp_gt_f32_e32 vcc, v18, v19
	v_cndmask_b32_e32 v18, v19, v18, vcc
.LBB14_30:
	s_cbranch_execnz .LBB14_33
.LBB14_31:
	s_cmp_lg_u32 s10, 2
	s_waitcnt lgkmcnt(0)
	v_mov_b32_e32 v18, v20
	s_cbranch_scc1 .LBB14_33
; %bb.32:
	s_nop 0
	v_mov_b32_dpp v18, v20 quad_perm:[1,0,3,2] row_mask:0xf bank_mask:0xf
	v_cmp_gt_f32_e32 vcc, v20, v18
	v_cndmask_b32_e32 v18, v18, v20, vcc
.LBB14_33:
	v_cvt_f32_u32_e32 v19, s10
	s_waitcnt lgkmcnt(0)
	v_mul_f32_e32 v21, 0x3b124925, v18
	s_sub_i32 s2, 0, s10
	v_cmp_gt_u32_e32 vcc, s9, v27
	v_rcp_iflag_f32_e32 v19, v19
	s_mov_b64 s[4:5], 0
	v_mul_f32_e32 v18, 0x4f7ffffe, v19
	v_cvt_u32_f32_e32 v18, v18
	v_mul_lo_u32 v19, s2, v18
	v_mul_hi_u32 v19, v18, v19
	v_add_u32_e32 v18, v18, v19
	v_mul_hi_u32 v18, v0, v18
	v_mul_lo_u32 v19, v18, s10
	v_sub_u32_e32 v19, v0, v19
	v_add_u32_e32 v22, 1, v18
	v_cmp_le_u32_e64 s[2:3], s10, v19
	v_cndmask_b32_e64 v18, v18, v22, s[2:3]
	v_subrev_u32_e32 v22, s10, v19
	v_cndmask_b32_e64 v19, v19, v22, s[2:3]
	v_add_u32_e32 v22, 1, v18
	v_cmp_le_u32_e64 s[2:3], s10, v19
	v_cndmask_b32_e64 v22, v18, v22, s[2:3]
	v_mul_lo_u32 v18, v22, s10
	v_sub_u32_e32 v18, v0, v18
	v_cmp_eq_u32_e64 s[2:3], 0, v18
	s_and_b64 s[10:11], s[2:3], vcc
	s_mov_b64 s[2:3], 0
                                        ; implicit-def: $vgpr18_vgpr19
	s_and_saveexec_b64 s[18:19], s[10:11]
	s_xor_b64 s[10:11], exec, s[18:19]
	s_cbranch_execz .LBB14_42
; %bb.34:
	s_bitcmp0_b32 s15, 0
	s_cbranch_scc0 .LBB14_39
; %bb.35:
	s_ashr_i32 s2, s9, 31
	s_mul_hi_u32 s3, s9, s6
	s_mul_i32 s2, s2, s6
	s_add_i32 s19, s3, s2
	s_mul_i32 s18, s9, s6
	s_mov_b32 s15, s12
	s_or_b64 s[2:3], s[18:19], s[14:15]
	s_mov_b32 s2, 0
	s_cmp_lg_u64 s[2:3], 0
	s_cbranch_scc0 .LBB14_50
; %bb.36:
	s_add_u32 s2, s14, s15
	s_mov_b32 s24, s15
	s_mov_b32 s25, s15
	s_addc_u32 s3, s15, s15
	s_xor_b64 s[26:27], s[2:3], s[24:25]
	v_cvt_f32_u32_e32 v18, s26
	v_cvt_f32_u32_e32 v19, s27
	s_sub_u32 s2, 0, s26
	s_subb_u32 s3, 0, s27
	v_madmk_f32 v18, v19, 0x4f800000, v18
	v_rcp_f32_e32 v18, v18
	v_mul_f32_e32 v18, 0x5f7ffffc, v18
	v_mul_f32_e32 v19, 0x2f800000, v18
	v_trunc_f32_e32 v19, v19
	v_madmk_f32 v18, v19, 0xcf800000, v18
	v_cvt_u32_f32_e32 v19, v19
	v_cvt_u32_f32_e32 v18, v18
	v_readfirstlane_b32 s12, v19
	v_readfirstlane_b32 s15, v18
	s_mul_i32 s28, s2, s12
	s_mul_hi_u32 s30, s2, s15
	s_mul_i32 s29, s3, s15
	s_add_i32 s28, s30, s28
	s_add_i32 s28, s28, s29
	s_mul_i32 s31, s2, s15
	s_mul_hi_u32 s29, s15, s28
	s_mul_i32 s30, s15, s28
	s_mul_hi_u32 s15, s15, s31
	s_add_u32 s15, s15, s30
	s_addc_u32 s29, 0, s29
	s_mul_hi_u32 s33, s12, s31
	s_mul_i32 s31, s12, s31
	s_add_u32 s15, s15, s31
	s_mul_hi_u32 s30, s12, s28
	s_addc_u32 s15, s29, s33
	s_addc_u32 s29, s30, 0
	s_mul_i32 s28, s12, s28
	s_add_u32 s15, s15, s28
	s_addc_u32 s28, 0, s29
	v_add_co_u32_e32 v18, vcc, s15, v18
	s_cmp_lg_u64 vcc, 0
	s_addc_u32 s12, s12, s28
	v_readfirstlane_b32 s28, v18
	s_mul_i32 s15, s2, s12
	s_mul_hi_u32 s29, s2, s28
	s_add_i32 s15, s29, s15
	s_mul_i32 s3, s3, s28
	s_add_i32 s15, s15, s3
	s_mul_i32 s2, s2, s28
	s_mul_hi_u32 s29, s12, s2
	s_mul_i32 s30, s12, s2
	s_mul_i32 s33, s28, s15
	s_mul_hi_u32 s2, s28, s2
	s_mul_hi_u32 s31, s28, s15
	s_add_u32 s2, s2, s33
	s_addc_u32 s28, 0, s31
	s_add_u32 s2, s2, s30
	s_mul_hi_u32 s3, s12, s15
	s_addc_u32 s2, s28, s29
	s_addc_u32 s3, s3, 0
	s_mul_i32 s15, s12, s15
	s_add_u32 s2, s2, s15
	s_addc_u32 s3, 0, s3
	v_add_co_u32_e32 v18, vcc, s2, v18
	s_cmp_lg_u64 vcc, 0
	s_addc_u32 s12, s12, s3
	s_ashr_i32 s28, s19, 31
	s_add_u32 s2, s18, s28
	s_mov_b32 s29, s28
	s_addc_u32 s3, s19, s28
	s_xor_b64 s[30:31], s[2:3], s[28:29]
	v_readfirstlane_b32 s15, v18
	s_mul_i32 s3, s30, s12
	s_mul_hi_u32 s19, s30, s15
	s_mul_hi_u32 s2, s30, s12
	s_add_u32 s3, s19, s3
	s_addc_u32 s2, 0, s2
	s_mul_hi_u32 s33, s31, s15
	s_mul_i32 s15, s31, s15
	s_add_u32 s3, s3, s15
	s_mul_hi_u32 s19, s31, s12
	s_addc_u32 s2, s2, s33
	s_addc_u32 s3, s19, 0
	s_mul_i32 s12, s31, s12
	s_add_u32 s12, s2, s12
	s_addc_u32 s15, 0, s3
	s_mul_i32 s2, s26, s15
	s_mul_hi_u32 s3, s26, s12
	s_add_i32 s2, s3, s2
	s_mul_i32 s3, s27, s12
	s_add_i32 s19, s2, s3
	s_mul_i32 s3, s26, s12
	v_mov_b32_e32 v18, s3
	s_sub_i32 s2, s31, s19
	v_sub_co_u32_e32 v18, vcc, s30, v18
	s_cmp_lg_u64 vcc, 0
	s_subb_u32 s30, s2, s27
	v_subrev_co_u32_e64 v19, s[2:3], s26, v18
	s_cmp_lg_u64 s[2:3], 0
	s_subb_u32 s30, s30, 0
	s_cmp_ge_u32 s30, s27
	s_cselect_b32 s33, -1, 0
	v_cmp_le_u32_e64 s[2:3], s26, v19
	s_cmp_eq_u32 s30, s27
	v_cndmask_b32_e64 v19, 0, -1, s[2:3]
	v_mov_b32_e32 v23, s33
	s_cselect_b64 s[2:3], -1, 0
	v_cndmask_b32_e64 v19, v23, v19, s[2:3]
	s_add_u32 s2, s12, 1
	s_addc_u32 s30, s15, 0
	s_add_u32 s3, s12, 2
	s_addc_u32 s33, s15, 0
	v_mov_b32_e32 v23, s2
	v_mov_b32_e32 v24, s3
	v_cmp_ne_u32_e64 s[2:3], 0, v19
	v_cndmask_b32_e64 v19, v23, v24, s[2:3]
	v_mov_b32_e32 v23, s30
	v_mov_b32_e32 v24, s33
	s_cmp_lg_u64 vcc, 0
	v_cndmask_b32_e64 v23, v23, v24, s[2:3]
	s_subb_u32 s2, s31, s19
	s_cmp_ge_u32 s2, s27
	s_cselect_b32 s3, -1, 0
	v_cmp_le_u32_e32 vcc, s26, v18
	s_cmp_eq_u32 s2, s27
	v_cndmask_b32_e64 v18, 0, -1, vcc
	v_mov_b32_e32 v24, s3
	s_cselect_b64 vcc, -1, 0
	v_cndmask_b32_e32 v18, v24, v18, vcc
	v_mov_b32_e32 v24, s15
	v_cmp_ne_u32_e32 vcc, 0, v18
	v_cndmask_b32_e32 v18, v24, v23, vcc
	v_mov_b32_e32 v23, s12
	v_cndmask_b32_e32 v19, v23, v19, vcc
	s_xor_b64 s[2:3], s[28:29], s[24:25]
	v_xor_b32_e32 v19, s2, v19
	v_xor_b32_e32 v23, s3, v18
	v_mov_b32_e32 v24, s3
	v_subrev_co_u32_e32 v18, vcc, s2, v19
	v_subb_co_u32_e32 v19, vcc, v23, v24, vcc
	s_cbranch_execnz .LBB14_38
.LBB14_37:
	v_cvt_f32_u32_e32 v18, s14
	s_sub_i32 s2, 0, s14
	s_mov_b32 s3, 0
	v_rcp_iflag_f32_e32 v18, v18
	v_mul_f32_e32 v18, 0x4f7ffffe, v18
	v_cvt_u32_f32_e32 v18, v18
	v_readfirstlane_b32 s12, v18
	s_mul_i32 s2, s2, s12
	s_mul_hi_u32 s2, s12, s2
	s_add_i32 s12, s12, s2
	s_mul_hi_u32 s2, s18, s12
	s_mul_i32 s15, s2, s14
	s_sub_i32 s15, s18, s15
	s_add_i32 s12, s2, 1
	s_sub_i32 s18, s15, s14
	s_cmp_ge_u32 s15, s14
	s_cselect_b32 s2, s12, s2
	s_cselect_b32 s15, s18, s15
	s_add_i32 s12, s2, 1
	s_cmp_ge_u32 s15, s14
	s_cselect_b32 s2, s12, s2
	v_pk_mov_b32 v[18:19], s[2:3], s[2:3] op_sel:[0,1]
.LBB14_38:
	v_add_co_u32_e32 v18, vcc, v18, v22
	v_addc_co_u32_e32 v19, vcc, 0, v19, vcc
	s_branch .LBB14_41
.LBB14_39:
                                        ; implicit-def: $vgpr18_vgpr19
	s_cbranch_execz .LBB14_41
; %bb.40:
	v_mul_lo_u32 v18, v22, s8
	v_ashrrev_i32_e32 v19, 31, v18
	v_mov_b32_e32 v22, s7
	v_add_co_u32_e32 v18, vcc, s6, v18
	v_addc_co_u32_e32 v19, vcc, v19, v22, vcc
.LBB14_41:
	s_mov_b64 s[2:3], exec
.LBB14_42:
	s_or_b64 exec, exec, s[10:11]
	s_and_b64 vcc, exec, s[4:5]
	s_cbranch_vccz .LBB14_46
.LBB14_43:
	v_mov_b32_dpp v18, v20 quad_perm:[1,0,3,2] row_mask:0xf bank_mask:0xf
	v_cmp_gt_f32_e32 vcc, v20, v18
	v_cndmask_b32_e32 v18, v18, v20, vcc
	s_nop 1
	v_mov_b32_dpp v19, v18 quad_perm:[2,3,0,1] row_mask:0xf bank_mask:0xf
	v_cmp_gt_f32_e32 vcc, v18, v19
	v_cndmask_b32_e32 v18, v19, v18, vcc
	s_nop 1
	v_mov_b32_dpp v19, v18 row_half_mirror row_mask:0xf bank_mask:0xf
	v_cmp_gt_f32_e32 vcc, v18, v19
	v_cndmask_b32_e32 v18, v19, v18, vcc
	s_nop 1
	v_mov_b32_dpp v19, v18 row_mirror row_mask:0xf bank_mask:0xf
	v_cmp_gt_f32_e32 vcc, v18, v19
	v_cndmask_b32_e32 v18, v19, v18, vcc
	s_nop 1
	v_mov_b32_dpp v19, v18 row_bcast:15 row_mask:0xf bank_mask:0xf
	v_cmp_gt_f32_e32 vcc, v18, v19
	v_cndmask_b32_e32 v18, v19, v18, vcc
	s_nop 1
	v_mov_b32_dpp v19, v18 row_bcast:31 row_mask:0xf bank_mask:0xf
	s_and_saveexec_b64 s[2:3], s[0:1]
	s_cbranch_execz .LBB14_45
; %bb.44:
	v_lshrrev_b32_e32 v20, 4, v0
	v_cmp_gt_f32_e32 vcc, v18, v19
	v_and_b32_e32 v20, 60, v20
	v_cndmask_b32_e32 v18, v19, v18, vcc
	ds_write_b32 v20, v18
.LBB14_45:
	s_or_b64 exec, exec, s[2:3]
	s_waitcnt lgkmcnt(0)
	s_barrier
	ds_read_b32 v18, v26
	v_cmp_eq_u32_e64 s[2:3], 0, v0
	s_waitcnt lgkmcnt(0)
	v_mov_b32_dpp v19, v18 quad_perm:[1,0,3,2] row_mask:0xf bank_mask:0xf
	v_cmp_gt_f32_e32 vcc, v18, v19
	v_cndmask_b32_e32 v18, v19, v18, vcc
	s_nop 1
	v_mov_b32_dpp v19, v18 quad_perm:[2,3,0,1] row_mask:0xf bank_mask:0xf
	v_cmp_gt_f32_e32 vcc, v18, v19
	v_cndmask_b32_e32 v18, v19, v18, vcc
	v_mul_f32_e32 v21, 0x3b124925, v18
	v_pk_mov_b32 v[18:19], s[6:7], s[6:7] op_sel:[0,1]
.LBB14_46:
	s_and_saveexec_b64 s[0:1], s[2:3]
	s_cbranch_execz .LBB14_48
; %bb.47:
	v_lshlrev_b64 v[18:19], 2, v[18:19]
	v_mov_b32_e32 v0, s21
	v_add_co_u32_e32 v18, vcc, s20, v18
	v_addc_co_u32_e32 v19, vcc, v0, v19, vcc
	global_store_dword v[18:19], v21, off
.LBB14_48:
	s_or_b64 exec, exec, s[0:1]
	s_add_i32 s0, s9, 3
	s_ashr_i32 s1, s0, 31
	s_lshr_b32 s1, s1, 30
	s_add_i32 s0, s0, s1
	;;#ASMSTART
	v_rcp_f32 v18, v21
	;;#ASMEND
	v_mov_b32_e32 v19, v18
	;;#ASMSTART
	v_pk_mul_f32 v[16:17], v[16:17], v[18:19]
	;;#ASMEND
	s_and_b32 s2, s0, -4
	s_ashr_i32 s0, s13, 31
	v_mov_b32_e32 v0, 0xc3e00000
	v_mov_b32_e32 v20, 0x43e00000
	;;#ASMSTART
	v_med3_f32 v16, v16, v0, v20
v_med3_f32 v17, v17, v0, v20
v_cvt_pk_fp8_f32 v21, v16, v17
	;;#ASMEND
	;;#ASMSTART
	v_pk_mul_f32 v[14:15], v[14:15], v[18:19]
	;;#ASMEND
	s_mul_hi_u32 s1, s13, s6
	s_mul_i32 s0, s0, s6
	;;#ASMSTART
	v_med3_f32 v14, v14, v0, v20
v_med3_f32 v15, v15, v0, v20
v_cvt_pk_fp8_f32 v16, v14, v15
	;;#ASMEND
	s_mov_b32 s5, 0x5040100
	s_add_i32 s1, s1, s0
	s_mul_i32 s0, s13, s6
	v_perm_b32 v15, v16, v21, s5
	s_movk_i32 s6, 0xff
	v_and_b32_e32 v14, 0xffffff00, v16
	v_and_b32_sdwa v16, v15, s6 dst_sel:DWORD dst_unused:UNUSED_PAD src0_sel:WORD_1 src1_sel:DWORD
	s_mov_b32 s4, 0xffff
	v_or_b32_sdwa v14, v16, v14 dst_sel:WORD_1 dst_unused:UNUSED_PAD src0_sel:DWORD src1_sel:DWORD
	;;#ASMSTART
	v_pk_mul_f32 v[12:13], v[12:13], v[18:19]
	;;#ASMEND
	v_and_or_b32 v14, v15, s4, v14
	;;#ASMSTART
	v_med3_f32 v12, v12, v0, v20
v_med3_f32 v13, v13, v0, v20
v_cvt_pk_fp8_f32 v15, v12, v13
	;;#ASMEND
	;;#ASMSTART
	v_pk_mul_f32 v[8:9], v[8:9], v[18:19]
	;;#ASMEND
	s_add_u32 s0, s16, s0
	;;#ASMSTART
	v_med3_f32 v8, v8, v0, v20
v_med3_f32 v9, v9, v0, v20
v_cvt_pk_fp8_f32 v12, v8, v9
	;;#ASMEND
	s_addc_u32 s1, s17, s1
	v_lshlrev_b32_e32 v8, 16, v12
	s_and_b32 s1, s1, 0xffff
	s_mov_b32 s3, 0x20000
	v_and_or_b32 v15, v15, s4, v8
	buffer_store_dwordx2 v[14:15], v1, s[0:3], 0 offen
	;;#ASMSTART
	s_nop 0
	;;#ASMEND
	;;#ASMSTART
	v_pk_mul_f32 v[8:9], v[10:11], v[18:19]
	;;#ASMEND
	;;#ASMSTART
	v_med3_f32 v8, v8, v0, v20
v_med3_f32 v9, v9, v0, v20
v_cvt_pk_fp8_f32 v10, v8, v9
	;;#ASMEND
	;;#ASMSTART
	v_pk_mul_f32 v[6:7], v[6:7], v[18:19]
	;;#ASMEND
	;;#ASMSTART
	v_med3_f32 v6, v6, v0, v20
v_med3_f32 v7, v7, v0, v20
v_cvt_pk_fp8_f32 v8, v6, v7
	;;#ASMEND
	v_perm_b32 v7, v8, v10, s5
	v_and_b32_e32 v6, 0xffffff00, v8
	v_and_b32_sdwa v8, v7, s6 dst_sel:DWORD dst_unused:UNUSED_PAD src0_sel:WORD_1 src1_sel:DWORD
	v_or_b32_sdwa v6, v8, v6 dst_sel:WORD_1 dst_unused:UNUSED_PAD src0_sel:DWORD src1_sel:DWORD
	;;#ASMSTART
	v_pk_mul_f32 v[4:5], v[4:5], v[18:19]
	;;#ASMEND
	v_and_or_b32 v6, v7, s4, v6
	;;#ASMSTART
	v_med3_f32 v4, v4, v0, v20
v_med3_f32 v5, v5, v0, v20
v_cvt_pk_fp8_f32 v7, v4, v5
	;;#ASMEND
	;;#ASMSTART
	v_pk_mul_f32 v[2:3], v[2:3], v[18:19]
	;;#ASMEND
	;;#ASMSTART
	v_med3_f32 v2, v2, v0, v20
v_med3_f32 v3, v3, v0, v20
v_cvt_pk_fp8_f32 v0, v2, v3
	;;#ASMEND
	v_lshlrev_b32_e32 v0, 16, v0
	v_and_or_b32 v7, v7, s4, v0
	s_movk_i32 s4, 0x200
	buffer_store_dwordx2 v[6:7], v1, s[0:3], s4 offen
	;;#ASMSTART
	s_nop 0
	;;#ASMEND
.LBB14_49:
	s_endpgm
.LBB14_50:
                                        ; implicit-def: $vgpr18_vgpr19
	s_branch .LBB14_37
	.section	.rodata,"a",@progbits
	.p2align	6, 0x0
	.amdhsa_kernel _ZN5aiter24add_rmsnorm_quant_kernelItDB8_Li256ELi16ELb1ELb1ELb1ELi1EEEvPT0_PT_PfS5_S5_S5_diiiiiiib
		.amdhsa_group_segment_fixed_size 32
		.amdhsa_private_segment_fixed_size 0
		.amdhsa_kernarg_size 88
		.amdhsa_user_sgpr_count 6
		.amdhsa_user_sgpr_private_segment_buffer 1
		.amdhsa_user_sgpr_dispatch_ptr 0
		.amdhsa_user_sgpr_queue_ptr 0
		.amdhsa_user_sgpr_kernarg_segment_ptr 1
		.amdhsa_user_sgpr_dispatch_id 0
		.amdhsa_user_sgpr_flat_scratch_init 0
		.amdhsa_user_sgpr_kernarg_preload_length 0
		.amdhsa_user_sgpr_kernarg_preload_offset 0
		.amdhsa_user_sgpr_private_segment_size 0
		.amdhsa_uses_dynamic_stack 0
		.amdhsa_system_sgpr_private_segment_wavefront_offset 0
		.amdhsa_system_sgpr_workgroup_id_x 1
		.amdhsa_system_sgpr_workgroup_id_y 0
		.amdhsa_system_sgpr_workgroup_id_z 0
		.amdhsa_system_sgpr_workgroup_info 0
		.amdhsa_system_vgpr_workitem_id 0
		.amdhsa_next_free_vgpr 48
		.amdhsa_next_free_sgpr 40
		.amdhsa_accum_offset 48
		.amdhsa_reserve_vcc 1
		.amdhsa_reserve_flat_scratch 0
		.amdhsa_float_round_mode_32 0
		.amdhsa_float_round_mode_16_64 0
		.amdhsa_float_denorm_mode_32 3
		.amdhsa_float_denorm_mode_16_64 3
		.amdhsa_dx10_clamp 1
		.amdhsa_ieee_mode 1
		.amdhsa_fp16_overflow 0
		.amdhsa_tg_split 0
		.amdhsa_exception_fp_ieee_invalid_op 0
		.amdhsa_exception_fp_denorm_src 0
		.amdhsa_exception_fp_ieee_div_zero 0
		.amdhsa_exception_fp_ieee_overflow 0
		.amdhsa_exception_fp_ieee_underflow 0
		.amdhsa_exception_fp_ieee_inexact 0
		.amdhsa_exception_int_div_zero 0
	.end_amdhsa_kernel
	.section	.text._ZN5aiter24add_rmsnorm_quant_kernelItDB8_Li256ELi16ELb1ELb1ELb1ELi1EEEvPT0_PT_PfS5_S5_S5_diiiiiiib,"axG",@progbits,_ZN5aiter24add_rmsnorm_quant_kernelItDB8_Li256ELi16ELb1ELb1ELb1ELi1EEEvPT0_PT_PfS5_S5_S5_diiiiiiib,comdat
.Lfunc_end14:
	.size	_ZN5aiter24add_rmsnorm_quant_kernelItDB8_Li256ELi16ELb1ELb1ELb1ELi1EEEvPT0_PT_PfS5_S5_S5_diiiiiiib, .Lfunc_end14-_ZN5aiter24add_rmsnorm_quant_kernelItDB8_Li256ELi16ELb1ELb1ELb1ELi1EEEvPT0_PT_PfS5_S5_S5_diiiiiiib
                                        ; -- End function
	.section	.AMDGPU.csdata,"",@progbits
; Kernel info:
; codeLenInByte = 4164
; NumSgprs: 44
; NumVgprs: 48
; NumAgprs: 0
; TotalNumVgprs: 48
; ScratchSize: 0
; MemoryBound: 0
; FloatMode: 240
; IeeeMode: 1
; LDSByteSize: 32 bytes/workgroup (compile time only)
; SGPRBlocks: 5
; VGPRBlocks: 5
; NumSGPRsForWavesPerEU: 44
; NumVGPRsForWavesPerEU: 48
; AccumOffset: 48
; Occupancy: 8
; WaveLimiterHint : 0
; COMPUTE_PGM_RSRC2:SCRATCH_EN: 0
; COMPUTE_PGM_RSRC2:USER_SGPR: 6
; COMPUTE_PGM_RSRC2:TRAP_HANDLER: 0
; COMPUTE_PGM_RSRC2:TGID_X_EN: 1
; COMPUTE_PGM_RSRC2:TGID_Y_EN: 0
; COMPUTE_PGM_RSRC2:TGID_Z_EN: 0
; COMPUTE_PGM_RSRC2:TIDIG_COMP_CNT: 0
; COMPUTE_PGM_RSRC3_GFX90A:ACCUM_OFFSET: 11
; COMPUTE_PGM_RSRC3_GFX90A:TG_SPLIT: 0
	.section	.text._ZN5aiter24add_rmsnorm_quant_kernelIDF16_DB8_Li256ELi16ELb1ELb1ELb0ELi1EEEvPT0_PT_PfS5_S5_S5_diiiiiiib,"axG",@progbits,_ZN5aiter24add_rmsnorm_quant_kernelIDF16_DB8_Li256ELi16ELb1ELb1ELb0ELi1EEEvPT0_PT_PfS5_S5_S5_diiiiiiib,comdat
	.protected	_ZN5aiter24add_rmsnorm_quant_kernelIDF16_DB8_Li256ELi16ELb1ELb1ELb0ELi1EEEvPT0_PT_PfS5_S5_S5_diiiiiiib ; -- Begin function _ZN5aiter24add_rmsnorm_quant_kernelIDF16_DB8_Li256ELi16ELb1ELb1ELb0ELi1EEEvPT0_PT_PfS5_S5_S5_diiiiiiib
	.globl	_ZN5aiter24add_rmsnorm_quant_kernelIDF16_DB8_Li256ELi16ELb1ELb1ELb0ELi1EEEvPT0_PT_PfS5_S5_S5_diiiiiiib
	.p2align	8
	.type	_ZN5aiter24add_rmsnorm_quant_kernelIDF16_DB8_Li256ELi16ELb1ELb1ELb0ELi1EEEvPT0_PT_PfS5_S5_S5_diiiiiiib,@function
_ZN5aiter24add_rmsnorm_quant_kernelIDF16_DB8_Li256ELi16ELb1ELb1ELb0ELi1EEEvPT0_PT_PfS5_S5_S5_diiiiiiib: ; @_ZN5aiter24add_rmsnorm_quant_kernelIDF16_DB8_Li256ELi16ELb1ELb1ELb0ELi1EEEvPT0_PT_PfS5_S5_S5_diiiiiiib
; %bb.0:
	s_load_dwordx8 s[8:15], s[4:5], 0x38
	s_mov_b32 s7, 0
	s_waitcnt lgkmcnt(0)
	s_ashr_i32 s0, s8, 31
	v_mov_b32_e32 v2, s8
	v_mov_b32_e32 v3, s0
	v_cmp_ge_i64_e32 vcc, s[6:7], v[2:3]
	s_cbranch_vccnz .LBB15_49
; %bb.1:
	s_load_dwordx8 s[16:23], s[4:5], 0x0
	s_ashr_i32 s0, s10, 31
	s_mul_hi_u32 s1, s10, s6
	s_mul_i32 s0, s0, s6
	s_add_i32 s1, s1, s0
	s_mul_i32 s0, s10, s6
	s_lshl_b64 s[0:1], s[0:1], 1
	s_waitcnt lgkmcnt(0)
	s_add_u32 s0, s22, s0
	s_addc_u32 s1, s23, s1
	s_add_i32 s2, s9, 1
	s_lshr_b32 s3, s2, 31
	s_add_i32 s2, s2, s3
	s_lshl_b32 s2, s2, 1
	s_load_dwordx8 s[24:31], s[4:5], 0x20
	s_and_b32 s2, s2, -4
	s_and_b32 s1, s1, 0xffff
	s_mov_b32 s3, 0x20000
	v_lshlrev_b32_e32 v1, 5, v0
	buffer_load_dwordx4 v[10:13], v1, s[0:3], 16 offen
	buffer_load_dwordx4 v[14:17], v1, s[0:3], 0 offen
	s_ashr_i32 s0, s11, 31
	s_mul_hi_u32 s1, s11, s6
	s_mul_i32 s0, s0, s6
	s_add_i32 s1, s1, s0
	s_mul_i32 s0, s11, s6
	s_waitcnt lgkmcnt(0)
	s_and_b32 s37, s27, 0xffff
	s_lshl_b64 s[0:1], s[0:1], 1
	s_add_u32 s0, s24, s0
	s_addc_u32 s1, s25, s1
	s_and_b32 s1, s1, 0xffff
	buffer_load_dwordx4 v[18:21], v1, s[0:3], 16 offen
	buffer_load_dwordx4 v[22:25], v1, s[0:3], 0 offen
	s_mov_b32 s39, s3
	s_mov_b32 s36, s26
	s_mov_b32 s38, s2
	buffer_load_dwordx4 v[6:9], v1, s[36:39], 0 offen
	buffer_load_dwordx4 v[2:5], v1, s[36:39], 16 offen
	s_ashr_i32 s4, s12, 31
	s_mul_hi_u32 s1, s12, s6
	s_mul_i32 s4, s4, s6
	s_mul_i32 s0, s12, s6
	s_add_i32 s1, s1, s4
	s_lshl_b64 s[0:1], s[0:1], 1
	s_add_u32 s0, s18, s0
	s_addc_u32 s1, s19, s1
	s_and_b32 s1, s1, 0xffff
	s_waitcnt vmcnt(5)
	v_cvt_f32_f16_e32 v26, v10
	v_cvt_f32_f16_sdwa v27, v10 dst_sel:DWORD dst_unused:UNUSED_PAD src0_sel:WORD_1
	v_cvt_f32_f16_e32 v10, v11
	v_cvt_f32_f16_sdwa v11, v11 dst_sel:DWORD dst_unused:UNUSED_PAD src0_sel:WORD_1
	v_cvt_f32_f16_e32 v28, v12
	v_cvt_f32_f16_sdwa v29, v12 dst_sel:DWORD dst_unused:UNUSED_PAD src0_sel:WORD_1
	v_cvt_f32_f16_e32 v30, v13
	v_cvt_f32_f16_sdwa v31, v13 dst_sel:DWORD dst_unused:UNUSED_PAD src0_sel:WORD_1
	s_waitcnt vmcnt(4)
	v_cvt_f32_f16_e32 v32, v14
	v_cvt_f32_f16_sdwa v33, v14 dst_sel:DWORD dst_unused:UNUSED_PAD src0_sel:WORD_1
	v_cvt_f32_f16_e32 v34, v15
	v_cvt_f32_f16_sdwa v35, v15 dst_sel:DWORD dst_unused:UNUSED_PAD src0_sel:WORD_1
	v_cvt_f32_f16_e32 v36, v16
	v_cvt_f32_f16_sdwa v37, v16 dst_sel:DWORD dst_unused:UNUSED_PAD src0_sel:WORD_1
	v_cvt_f32_f16_e32 v38, v17
	v_cvt_f32_f16_sdwa v39, v17 dst_sel:DWORD dst_unused:UNUSED_PAD src0_sel:WORD_1
	;; [unrolled: 9-line block ×4, first 2 shown]
	v_pk_add_f32 v[16:17], v[26:27], v[12:13]
	v_pk_add_f32 v[14:15], v[10:11], v[14:15]
	;; [unrolled: 1-line block ×8, first 2 shown]
	v_cvt_f16_f32_e32 v26, v25
	v_cvt_f16_f32_e32 v30, v24
	;; [unrolled: 1-line block ×8, first 2 shown]
	v_pack_b32_f16 v27, v31, v27
	v_pack_b32_f16 v28, v32, v28
	;; [unrolled: 1-line block ×4, first 2 shown]
	v_cvt_f16_f32_e32 v34, v16
	v_cvt_f16_f32_e32 v35, v14
	;; [unrolled: 1-line block ×5, first 2 shown]
	buffer_store_dwordx4 v[26:29], v1, s[0:3], 0 offen
	v_cvt_f16_f32_e32 v30, v17
	v_cvt_f16_f32_e32 v26, v13
	;; [unrolled: 1-line block ×3, first 2 shown]
	v_pack_b32_f16 v29, v37, v38
	;;#ASMSTART
	s_nop 0
	;;#ASMEND
	v_pack_b32_f16 v28, v36, v26
	v_pack_b32_f16 v27, v35, v27
	;; [unrolled: 1-line block ×3, first 2 shown]
	buffer_store_dwordx4 v[26:29], v1, s[0:3], 16 offen
	v_pk_mul_f32 v[30:31], v[18:19], v[18:19]
	v_pk_mul_f32 v[26:27], v[24:25], v[24:25]
	;; [unrolled: 1-line block ×3, first 2 shown]
	v_add_f32_e32 v1, v26, v27
	v_add_f32_e32 v1, v28, v1
	;; [unrolled: 1-line block ×4, first 2 shown]
	v_pk_mul_f32 v[32:33], v[22:23], v[22:23]
	v_add_f32_e32 v1, v31, v1
	v_add_f32_e32 v1, v32, v1
	v_pk_mul_f32 v[34:35], v[16:17], v[16:17]
	v_add_f32_e32 v1, v33, v1
	v_add_f32_e32 v1, v34, v1
	;; [unrolled: 3-line block ×5, first 2 shown]
	v_add_f32_e32 v1, v41, v1
	v_and_b32_e32 v27, 63, v0
	v_cmp_eq_u32_e64 s[0:1], 63, v27
	v_mov_b32_dpp v26, v1 quad_perm:[1,0,3,2] row_mask:0xf bank_mask:0xf
	v_add_f32_e32 v1, v1, v26
	;;#ASMSTART
	s_nop 0
	;;#ASMEND
	s_nop 1
	v_mov_b32_dpp v26, v1 quad_perm:[2,3,0,1] row_mask:0xf bank_mask:0xf
	v_add_f32_e32 v1, v1, v26
	s_nop 1
	v_mov_b32_dpp v26, v1 row_half_mirror row_mask:0xf bank_mask:0xf
	v_add_f32_e32 v1, v1, v26
	s_nop 1
	v_mov_b32_dpp v26, v1 row_mirror row_mask:0xf bank_mask:0xf
	v_add_f32_e32 v1, v1, v26
	s_nop 1
	v_mov_b32_dpp v26, v1 row_bcast:15 row_mask:0xf bank_mask:0xf
	v_add_f32_e32 v1, v1, v26
	s_nop 1
	v_mov_b32_dpp v26, v1 row_bcast:31 row_mask:0xf bank_mask:0xf
	s_and_saveexec_b64 s[2:3], s[0:1]
	s_cbranch_execz .LBB15_3
; %bb.2:
	v_lshrrev_b32_e32 v27, 4, v0
	v_and_b32_e32 v27, 60, v27
	v_add_f32_e32 v1, v1, v26
	ds_write_b32 v27, v1 offset:16
.LBB15_3:
	s_or_b64 exec, exec, s[2:3]
	v_and_b32_e32 v1, 3, v0
	v_lshlrev_b32_e32 v26, 2, v1
	s_waitcnt lgkmcnt(0)
	s_barrier
	ds_read_b32 v1, v26 offset:16
	v_cvt_f32_i32_e32 v27, s9
	s_waitcnt vmcnt(3)
	v_cvt_f32_f16_sdwa v37, v9 dst_sel:DWORD dst_unused:UNUSED_PAD src0_sel:WORD_1
	v_cvt_f32_f16_e32 v36, v9
	s_waitcnt vmcnt(2)
	v_cvt_f32_f16_sdwa v9, v2 dst_sel:DWORD dst_unused:UNUSED_PAD src0_sel:WORD_1
	s_waitcnt lgkmcnt(0)
	v_mov_b32_dpp v28, v1 quad_perm:[1,0,3,2] row_mask:0xf bank_mask:0xf
	v_add_f32_e32 v1, v1, v28
	s_cmp_lg_u32 s14, 0
	s_nop 0
	v_mov_b32_dpp v28, v1 quad_perm:[2,3,0,1] row_mask:0xf bank_mask:0xf
	v_add_f32_e32 v1, v1, v28
	v_div_scale_f32 v28, s[2:3], v27, v27, v1
	v_rcp_f32_e32 v29, v28
	v_div_scale_f32 v30, vcc, v1, v27, v1
	s_mov_b32 s2, 0x800000
	v_fma_f32 v31, -v28, v29, 1.0
	v_fmac_f32_e32 v29, v31, v29
	v_mul_f32_e32 v31, v30, v29
	v_fma_f32 v32, -v28, v31, v30
	v_fmac_f32_e32 v31, v32, v29
	v_fma_f32 v28, -v28, v31, v30
	v_div_fmas_f32 v28, v28, v29, v31
	v_div_fixup_f32 v1, v28, v27, v1
	v_cvt_f64_f32_e32 v[28:29], v1
	v_add_f64 v[28:29], v[28:29], s[28:29]
	v_cvt_f32_f64_e32 v1, v[28:29]
	v_mul_f32_e32 v27, 0x4b800000, v1
	v_cmp_gt_f32_e32 vcc, s2, v1
	v_cndmask_b32_e32 v1, v1, v27, vcc
	v_rsq_f32_e32 v27, v1
	v_lshlrev_b32_e32 v1, 4, v0
	v_mul_f32_e32 v28, 0x45800000, v27
	v_cndmask_b32_e32 v28, v27, v28, vcc
	v_mov_b32_e32 v29, v28
	;;#ASMSTART
	v_pk_mul_f32 v[24:25], v[24:25], v[28:29]
	;;#ASMEND
	;;#ASMSTART
	v_pk_mul_f32 v[20:21], v[20:21], v[28:29]
	;;#ASMEND
	;; [unrolled: 3-line block ×8, first 2 shown]
	v_cvt_f32_f16_sdwa v11, v6 dst_sel:DWORD dst_unused:UNUSED_PAD src0_sel:WORD_1
	v_cvt_f32_f16_e32 v10, v6
	v_cvt_f32_f16_sdwa v13, v7 dst_sel:DWORD dst_unused:UNUSED_PAD src0_sel:WORD_1
	v_cvt_f32_f16_e32 v12, v7
	;; [unrolled: 2-line block ×3, first 2 shown]
	;;#ASMSTART
	v_pk_mul_f32 v[16:17], v[24:25], v[10:11]
	;;#ASMEND
	;;#ASMSTART
	v_pk_mul_f32 v[14:15], v[20:21], v[12:13]
	;;#ASMEND
	;;#ASMSTART
	v_pk_mul_f32 v[10:11], v[18:19], v[6:7]
	;;#ASMEND
	v_cvt_f32_f16_e32 v8, v2
	v_cvt_f32_f16_sdwa v19, v3 dst_sel:DWORD dst_unused:UNUSED_PAD src0_sel:WORD_1
	v_cvt_f32_f16_e32 v18, v3
	v_cvt_f32_f16_sdwa v3, v4 dst_sel:DWORD dst_unused:UNUSED_PAD src0_sel:WORD_1
	v_cvt_f32_f16_e32 v2, v4
	v_cvt_f32_f16_e32 v20, v5
	;;#ASMSTART
	v_pk_mul_f32 v[6:7], v[22:23], v[36:37]
	;;#ASMEND
	v_cvt_f32_f16_sdwa v21, v5 dst_sel:DWORD dst_unused:UNUSED_PAD src0_sel:WORD_1
	;;#ASMSTART
	v_pk_mul_f32 v[12:13], v[30:31], v[8:9]
	;;#ASMEND
	;;#ASMSTART
	v_pk_mul_f32 v[8:9], v[32:33], v[18:19]
	;;#ASMEND
	;; [unrolled: 3-line block ×4, first 2 shown]
	v_and_b32_e32 v18, 0x7fffffff, v16
	v_mov_b32_e32 v20, 0x2edbe6ff
	v_and_b32_e32 v19, 0x7fffffff, v17
	;;#ASMSTART
	v_max3_f32 v18, v20, v18, v19

	;;#ASMEND
	v_and_b32_e32 v20, 0x7fffffff, v15
	v_and_b32_e32 v19, 0x7fffffff, v14
	;;#ASMSTART
	v_max3_f32 v18, v18, v19, v20

	;;#ASMEND
	v_and_b32_e32 v20, 0x7fffffff, v11
	;; [unrolled: 6-line block ×7, first 2 shown]
	v_and_b32_e32 v19, 0x7fffffff, v2
	;;#ASMSTART
	v_max3_f32 v20, v18, v19, v20

	;;#ASMEND
	s_cbranch_scc0 .LBB15_10
; %bb.4:
	s_ashr_i32 s12, s14, 31
	s_lshr_b32 s2, s12, 28
	s_add_i32 s2, s14, s2
	s_ashr_i32 s10, s2, 4
	s_cmp_lt_i32 s10, 16
	s_cbranch_scc1 .LBB15_11
; %bb.5:
	s_cmp_lt_i32 s10, 32
	s_cbranch_scc1 .LBB15_12
; %bb.6:
	;; [unrolled: 3-line block ×3, first 2 shown]
	s_cmp_eq_u32 s10, 64
	v_mov_b32_e32 v18, v20
	s_cbranch_scc0 .LBB15_9
; %bb.8:
	s_nop 0
	v_mov_b32_dpp v18, v20 quad_perm:[1,0,3,2] row_mask:0xf bank_mask:0xf
	v_cmp_gt_f32_e32 vcc, v20, v18
	v_cndmask_b32_e32 v18, v18, v20, vcc
	v_bfrev_b32_e32 v21, 0.5
	s_nop 0
	v_mov_b32_dpp v19, v18 quad_perm:[2,3,0,1] row_mask:0xf bank_mask:0xf
	v_cmp_gt_f32_e32 vcc, v18, v19
	v_cndmask_b32_e32 v18, v19, v18, vcc
	s_nop 1
	v_mov_b32_dpp v19, v18 row_ror:4 row_mask:0xf bank_mask:0xf
	v_cmp_gt_f32_e32 vcc, v18, v19
	v_cndmask_b32_e32 v18, v19, v18, vcc
	s_nop 1
	v_mov_b32_dpp v19, v18 row_ror:8 row_mask:0xf bank_mask:0xf
	v_cmp_gt_f32_e32 vcc, v18, v19
	v_cndmask_b32_e32 v18, v19, v18, vcc
	s_nop 1
	v_mov_b32_dpp v19, v18 row_bcast:15 row_mask:0xf bank_mask:0xf
	v_cmp_gt_f32_e32 vcc, v18, v19
	v_cndmask_b32_e32 v18, v19, v18, vcc
	s_nop 1
	v_mov_b32_dpp v19, v18 row_bcast:31 row_mask:0xf bank_mask:0xf
	v_cmp_gt_f32_e32 vcc, v18, v19
	v_cndmask_b32_e32 v18, v19, v18, vcc
	v_mbcnt_lo_u32_b32 v19, -1, 0
	v_mbcnt_hi_u32_b32 v19, -1, v19
	v_lshl_or_b32 v19, v19, 2, v21
	ds_bpermute_b32 v18, v19, v18
.LBB15_9:
	s_mov_b64 s[2:3], 0
	s_branch .LBB15_14
.LBB15_10:
	s_mov_b64 s[2:3], 0
                                        ; implicit-def: $vgpr21
                                        ; implicit-def: $vgpr18_vgpr19
	s_cbranch_execnz .LBB15_43
	s_branch .LBB15_46
.LBB15_11:
                                        ; implicit-def: $vgpr18
	s_branch .LBB15_21
.LBB15_12:
                                        ; implicit-def: $vgpr18
	s_branch .LBB15_18
.LBB15_13:
	s_mov_b64 s[2:3], -1
                                        ; implicit-def: $vgpr18
.LBB15_14:
	s_andn2_b64 vcc, exec, s[2:3]
	s_cbranch_vccnz .LBB15_17
; %bb.15:
	s_cmp_eq_u32 s10, 32
	s_waitcnt lgkmcnt(0)
	v_mov_b32_e32 v18, v20
	s_cbranch_scc0 .LBB15_17
; %bb.16:
	s_nop 0
	v_mov_b32_dpp v18, v20 quad_perm:[1,0,3,2] row_mask:0xf bank_mask:0xf
	v_cmp_gt_f32_e32 vcc, v20, v18
	v_cndmask_b32_e32 v18, v18, v20, vcc
	v_mov_b32_e32 v21, 0x7c
	s_nop 0
	v_mov_b32_dpp v19, v18 quad_perm:[2,3,0,1] row_mask:0xf bank_mask:0xf
	v_cmp_gt_f32_e32 vcc, v18, v19
	v_cndmask_b32_e32 v18, v19, v18, vcc
	s_nop 1
	v_mov_b32_dpp v19, v18 row_half_mirror row_mask:0xf bank_mask:0xf
	v_cmp_gt_f32_e32 vcc, v18, v19
	v_cndmask_b32_e32 v18, v19, v18, vcc
	s_nop 1
	v_mov_b32_dpp v19, v18 row_mirror row_mask:0xf bank_mask:0xf
	v_cmp_gt_f32_e32 vcc, v18, v19
	v_cndmask_b32_e32 v18, v19, v18, vcc
	s_nop 1
	v_mov_b32_dpp v19, v18 row_bcast:15 row_mask:0xa bank_mask:0xf
	v_cmp_gt_f32_e32 vcc, v18, v19
	v_cndmask_b32_e32 v18, v19, v18, vcc
	v_mbcnt_lo_u32_b32 v19, -1, 0
	v_mbcnt_hi_u32_b32 v19, -1, v19
	v_lshl_or_b32 v19, v19, 2, v21
	ds_bpermute_b32 v18, v19, v18
.LBB15_17:
	s_cbranch_execnz .LBB15_20
.LBB15_18:
	s_cmp_eq_u32 s10, 16
	s_waitcnt lgkmcnt(0)
	v_mov_b32_e32 v18, v20
	s_cbranch_scc0 .LBB15_20
; %bb.19:
	s_nop 0
	v_mov_b32_dpp v18, v20 quad_perm:[1,0,3,2] row_mask:0xf bank_mask:0xf
	v_cmp_gt_f32_e32 vcc, v20, v18
	v_cndmask_b32_e32 v18, v18, v20, vcc
	s_nop 1
	v_mov_b32_dpp v19, v18 quad_perm:[2,3,0,1] row_mask:0xf bank_mask:0xf
	v_cmp_gt_f32_e32 vcc, v18, v19
	v_cndmask_b32_e32 v18, v19, v18, vcc
	s_nop 1
	v_mov_b32_dpp v19, v18 row_half_mirror row_mask:0xf bank_mask:0xf
	v_cmp_gt_f32_e32 vcc, v18, v19
	v_cndmask_b32_e32 v18, v19, v18, vcc
	s_nop 1
	v_mov_b32_dpp v19, v18 row_mirror row_mask:0xf bank_mask:0xf
	v_cmp_gt_f32_e32 vcc, v18, v19
	v_cndmask_b32_e32 v18, v19, v18, vcc
.LBB15_20:
	s_cbranch_execnz .LBB15_33
.LBB15_21:
	s_cmp_lt_i32 s10, 4
	s_cbranch_scc1 .LBB15_25
; %bb.22:
	s_cmp_lt_i32 s10, 8
	s_cbranch_scc1 .LBB15_26
; %bb.23:
	s_cmp_eq_u32 s10, 8
	s_waitcnt lgkmcnt(0)
	v_mov_b32_e32 v18, v20
	s_cbranch_scc0 .LBB15_27
; %bb.24:
	s_nop 0
	v_mov_b32_dpp v18, v20 quad_perm:[1,0,3,2] row_mask:0xf bank_mask:0xf
	v_cmp_gt_f32_e32 vcc, v20, v18
	v_cndmask_b32_e32 v18, v18, v20, vcc
	s_nop 1
	v_mov_b32_dpp v19, v18 quad_perm:[2,3,0,1] row_mask:0xf bank_mask:0xf
	v_cmp_gt_f32_e32 vcc, v18, v19
	v_cndmask_b32_e32 v18, v19, v18, vcc
	s_nop 1
	v_mov_b32_dpp v19, v18 row_half_mirror row_mask:0xf bank_mask:0xf
	v_cmp_gt_f32_e32 vcc, v18, v19
	v_cndmask_b32_e32 v18, v19, v18, vcc
	s_cbranch_execz .LBB15_28
	s_branch .LBB15_30
.LBB15_25:
                                        ; implicit-def: $vgpr18
	s_branch .LBB15_31
.LBB15_26:
                                        ; implicit-def: $vgpr18
	s_branch .LBB15_28
.LBB15_27:
	s_cbranch_execnz .LBB15_30
.LBB15_28:
	s_cmp_eq_u32 s10, 4
	s_waitcnt lgkmcnt(0)
	v_mov_b32_e32 v18, v20
	s_cbranch_scc0 .LBB15_30
; %bb.29:
	s_nop 0
	v_mov_b32_dpp v18, v20 quad_perm:[1,0,3,2] row_mask:0xf bank_mask:0xf
	v_cmp_gt_f32_e32 vcc, v20, v18
	v_cndmask_b32_e32 v18, v18, v20, vcc
	s_nop 1
	v_mov_b32_dpp v19, v18 quad_perm:[2,3,0,1] row_mask:0xf bank_mask:0xf
	v_cmp_gt_f32_e32 vcc, v18, v19
	v_cndmask_b32_e32 v18, v19, v18, vcc
.LBB15_30:
	s_cbranch_execnz .LBB15_33
.LBB15_31:
	s_cmp_lg_u32 s10, 2
	s_waitcnt lgkmcnt(0)
	v_mov_b32_e32 v18, v20
	s_cbranch_scc1 .LBB15_33
; %bb.32:
	s_nop 0
	v_mov_b32_dpp v18, v20 quad_perm:[1,0,3,2] row_mask:0xf bank_mask:0xf
	v_cmp_gt_f32_e32 vcc, v20, v18
	v_cndmask_b32_e32 v18, v18, v20, vcc
.LBB15_33:
	v_cvt_f32_u32_e32 v19, s10
	s_waitcnt lgkmcnt(0)
	v_mul_f32_e32 v21, 0x3b124925, v18
	s_sub_i32 s2, 0, s10
	v_cmp_gt_u32_e32 vcc, s9, v1
	v_rcp_iflag_f32_e32 v19, v19
	s_mov_b64 s[4:5], 0
	v_mul_f32_e32 v18, 0x4f7ffffe, v19
	v_cvt_u32_f32_e32 v18, v18
	v_mul_lo_u32 v19, s2, v18
	v_mul_hi_u32 v19, v18, v19
	v_add_u32_e32 v18, v18, v19
	v_mul_hi_u32 v18, v0, v18
	v_mul_lo_u32 v19, v18, s10
	v_sub_u32_e32 v19, v0, v19
	v_add_u32_e32 v22, 1, v18
	v_cmp_le_u32_e64 s[2:3], s10, v19
	v_cndmask_b32_e64 v18, v18, v22, s[2:3]
	v_subrev_u32_e32 v22, s10, v19
	v_cndmask_b32_e64 v19, v19, v22, s[2:3]
	v_add_u32_e32 v22, 1, v18
	v_cmp_le_u32_e64 s[2:3], s10, v19
	v_cndmask_b32_e64 v22, v18, v22, s[2:3]
	v_mul_lo_u32 v18, v22, s10
	v_sub_u32_e32 v18, v0, v18
	v_cmp_eq_u32_e64 s[2:3], 0, v18
	s_and_b64 s[10:11], s[2:3], vcc
	s_mov_b64 s[2:3], 0
                                        ; implicit-def: $vgpr18_vgpr19
	s_and_saveexec_b64 s[18:19], s[10:11]
	s_xor_b64 s[10:11], exec, s[18:19]
	s_cbranch_execz .LBB15_42
; %bb.34:
	s_bitcmp0_b32 s15, 0
	s_cbranch_scc0 .LBB15_39
; %bb.35:
	s_ashr_i32 s2, s9, 31
	s_mul_hi_u32 s3, s9, s6
	s_mul_i32 s2, s2, s6
	s_add_i32 s19, s3, s2
	s_mul_i32 s18, s9, s6
	s_mov_b32 s15, s12
	s_or_b64 s[2:3], s[18:19], s[14:15]
	s_mov_b32 s2, 0
	s_cmp_lg_u64 s[2:3], 0
	s_cbranch_scc0 .LBB15_50
; %bb.36:
	s_add_u32 s2, s14, s15
	s_mov_b32 s24, s15
	s_mov_b32 s25, s15
	s_addc_u32 s3, s15, s15
	s_xor_b64 s[26:27], s[2:3], s[24:25]
	v_cvt_f32_u32_e32 v18, s26
	v_cvt_f32_u32_e32 v19, s27
	s_sub_u32 s2, 0, s26
	s_subb_u32 s3, 0, s27
	v_madmk_f32 v18, v19, 0x4f800000, v18
	v_rcp_f32_e32 v18, v18
	v_mul_f32_e32 v18, 0x5f7ffffc, v18
	v_mul_f32_e32 v19, 0x2f800000, v18
	v_trunc_f32_e32 v19, v19
	v_madmk_f32 v18, v19, 0xcf800000, v18
	v_cvt_u32_f32_e32 v19, v19
	v_cvt_u32_f32_e32 v18, v18
	v_readfirstlane_b32 s12, v19
	v_readfirstlane_b32 s15, v18
	s_mul_i32 s28, s2, s12
	s_mul_hi_u32 s30, s2, s15
	s_mul_i32 s29, s3, s15
	s_add_i32 s28, s30, s28
	s_add_i32 s28, s28, s29
	s_mul_i32 s31, s2, s15
	s_mul_hi_u32 s29, s15, s28
	s_mul_i32 s30, s15, s28
	s_mul_hi_u32 s15, s15, s31
	s_add_u32 s15, s15, s30
	s_addc_u32 s29, 0, s29
	s_mul_hi_u32 s33, s12, s31
	s_mul_i32 s31, s12, s31
	s_add_u32 s15, s15, s31
	s_mul_hi_u32 s30, s12, s28
	s_addc_u32 s15, s29, s33
	s_addc_u32 s29, s30, 0
	s_mul_i32 s28, s12, s28
	s_add_u32 s15, s15, s28
	s_addc_u32 s28, 0, s29
	v_add_co_u32_e32 v18, vcc, s15, v18
	s_cmp_lg_u64 vcc, 0
	s_addc_u32 s12, s12, s28
	v_readfirstlane_b32 s28, v18
	s_mul_i32 s15, s2, s12
	s_mul_hi_u32 s29, s2, s28
	s_add_i32 s15, s29, s15
	s_mul_i32 s3, s3, s28
	s_add_i32 s15, s15, s3
	s_mul_i32 s2, s2, s28
	s_mul_hi_u32 s29, s12, s2
	s_mul_i32 s30, s12, s2
	s_mul_i32 s33, s28, s15
	s_mul_hi_u32 s2, s28, s2
	s_mul_hi_u32 s31, s28, s15
	s_add_u32 s2, s2, s33
	s_addc_u32 s28, 0, s31
	s_add_u32 s2, s2, s30
	s_mul_hi_u32 s3, s12, s15
	s_addc_u32 s2, s28, s29
	s_addc_u32 s3, s3, 0
	s_mul_i32 s15, s12, s15
	s_add_u32 s2, s2, s15
	s_addc_u32 s3, 0, s3
	v_add_co_u32_e32 v18, vcc, s2, v18
	s_cmp_lg_u64 vcc, 0
	s_addc_u32 s12, s12, s3
	s_ashr_i32 s28, s19, 31
	s_add_u32 s2, s18, s28
	s_mov_b32 s29, s28
	s_addc_u32 s3, s19, s28
	s_xor_b64 s[30:31], s[2:3], s[28:29]
	v_readfirstlane_b32 s15, v18
	s_mul_i32 s3, s30, s12
	s_mul_hi_u32 s19, s30, s15
	s_mul_hi_u32 s2, s30, s12
	s_add_u32 s3, s19, s3
	s_addc_u32 s2, 0, s2
	s_mul_hi_u32 s33, s31, s15
	s_mul_i32 s15, s31, s15
	s_add_u32 s3, s3, s15
	s_mul_hi_u32 s19, s31, s12
	s_addc_u32 s2, s2, s33
	s_addc_u32 s3, s19, 0
	s_mul_i32 s12, s31, s12
	s_add_u32 s12, s2, s12
	s_addc_u32 s15, 0, s3
	s_mul_i32 s2, s26, s15
	s_mul_hi_u32 s3, s26, s12
	s_add_i32 s2, s3, s2
	s_mul_i32 s3, s27, s12
	s_add_i32 s19, s2, s3
	s_mul_i32 s3, s26, s12
	v_mov_b32_e32 v18, s3
	s_sub_i32 s2, s31, s19
	v_sub_co_u32_e32 v18, vcc, s30, v18
	s_cmp_lg_u64 vcc, 0
	s_subb_u32 s30, s2, s27
	v_subrev_co_u32_e64 v19, s[2:3], s26, v18
	s_cmp_lg_u64 s[2:3], 0
	s_subb_u32 s30, s30, 0
	s_cmp_ge_u32 s30, s27
	s_cselect_b32 s33, -1, 0
	v_cmp_le_u32_e64 s[2:3], s26, v19
	s_cmp_eq_u32 s30, s27
	v_cndmask_b32_e64 v19, 0, -1, s[2:3]
	v_mov_b32_e32 v23, s33
	s_cselect_b64 s[2:3], -1, 0
	v_cndmask_b32_e64 v19, v23, v19, s[2:3]
	s_add_u32 s2, s12, 1
	s_addc_u32 s30, s15, 0
	s_add_u32 s3, s12, 2
	s_addc_u32 s33, s15, 0
	v_mov_b32_e32 v23, s2
	v_mov_b32_e32 v24, s3
	v_cmp_ne_u32_e64 s[2:3], 0, v19
	v_cndmask_b32_e64 v19, v23, v24, s[2:3]
	v_mov_b32_e32 v23, s30
	v_mov_b32_e32 v24, s33
	s_cmp_lg_u64 vcc, 0
	v_cndmask_b32_e64 v23, v23, v24, s[2:3]
	s_subb_u32 s2, s31, s19
	s_cmp_ge_u32 s2, s27
	s_cselect_b32 s3, -1, 0
	v_cmp_le_u32_e32 vcc, s26, v18
	s_cmp_eq_u32 s2, s27
	v_cndmask_b32_e64 v18, 0, -1, vcc
	v_mov_b32_e32 v24, s3
	s_cselect_b64 vcc, -1, 0
	v_cndmask_b32_e32 v18, v24, v18, vcc
	v_mov_b32_e32 v24, s15
	v_cmp_ne_u32_e32 vcc, 0, v18
	v_cndmask_b32_e32 v18, v24, v23, vcc
	v_mov_b32_e32 v23, s12
	v_cndmask_b32_e32 v19, v23, v19, vcc
	s_xor_b64 s[2:3], s[28:29], s[24:25]
	v_xor_b32_e32 v19, s2, v19
	v_xor_b32_e32 v23, s3, v18
	v_mov_b32_e32 v24, s3
	v_subrev_co_u32_e32 v18, vcc, s2, v19
	v_subb_co_u32_e32 v19, vcc, v23, v24, vcc
	s_cbranch_execnz .LBB15_38
.LBB15_37:
	v_cvt_f32_u32_e32 v18, s14
	s_sub_i32 s2, 0, s14
	s_mov_b32 s3, 0
	v_rcp_iflag_f32_e32 v18, v18
	v_mul_f32_e32 v18, 0x4f7ffffe, v18
	v_cvt_u32_f32_e32 v18, v18
	v_readfirstlane_b32 s12, v18
	s_mul_i32 s2, s2, s12
	s_mul_hi_u32 s2, s12, s2
	s_add_i32 s12, s12, s2
	s_mul_hi_u32 s2, s18, s12
	s_mul_i32 s15, s2, s14
	s_sub_i32 s15, s18, s15
	s_add_i32 s12, s2, 1
	s_sub_i32 s18, s15, s14
	s_cmp_ge_u32 s15, s14
	s_cselect_b32 s2, s12, s2
	s_cselect_b32 s15, s18, s15
	s_add_i32 s12, s2, 1
	s_cmp_ge_u32 s15, s14
	s_cselect_b32 s2, s12, s2
	v_pk_mov_b32 v[18:19], s[2:3], s[2:3] op_sel:[0,1]
.LBB15_38:
	v_add_co_u32_e32 v18, vcc, v18, v22
	v_addc_co_u32_e32 v19, vcc, 0, v19, vcc
	s_branch .LBB15_41
.LBB15_39:
                                        ; implicit-def: $vgpr18_vgpr19
	s_cbranch_execz .LBB15_41
; %bb.40:
	v_mul_lo_u32 v18, v22, s8
	v_ashrrev_i32_e32 v19, 31, v18
	v_mov_b32_e32 v22, s7
	v_add_co_u32_e32 v18, vcc, s6, v18
	v_addc_co_u32_e32 v19, vcc, v19, v22, vcc
.LBB15_41:
	s_mov_b64 s[2:3], exec
.LBB15_42:
	s_or_b64 exec, exec, s[10:11]
	s_and_b64 vcc, exec, s[4:5]
	s_cbranch_vccz .LBB15_46
.LBB15_43:
	v_mov_b32_dpp v18, v20 quad_perm:[1,0,3,2] row_mask:0xf bank_mask:0xf
	v_cmp_gt_f32_e32 vcc, v20, v18
	v_cndmask_b32_e32 v18, v18, v20, vcc
	s_nop 1
	v_mov_b32_dpp v19, v18 quad_perm:[2,3,0,1] row_mask:0xf bank_mask:0xf
	v_cmp_gt_f32_e32 vcc, v18, v19
	v_cndmask_b32_e32 v18, v19, v18, vcc
	s_nop 1
	v_mov_b32_dpp v19, v18 row_half_mirror row_mask:0xf bank_mask:0xf
	v_cmp_gt_f32_e32 vcc, v18, v19
	v_cndmask_b32_e32 v18, v19, v18, vcc
	s_nop 1
	v_mov_b32_dpp v19, v18 row_mirror row_mask:0xf bank_mask:0xf
	v_cmp_gt_f32_e32 vcc, v18, v19
	v_cndmask_b32_e32 v18, v19, v18, vcc
	s_nop 1
	v_mov_b32_dpp v19, v18 row_bcast:15 row_mask:0xf bank_mask:0xf
	v_cmp_gt_f32_e32 vcc, v18, v19
	v_cndmask_b32_e32 v18, v19, v18, vcc
	s_nop 1
	v_mov_b32_dpp v19, v18 row_bcast:31 row_mask:0xf bank_mask:0xf
	s_and_saveexec_b64 s[2:3], s[0:1]
	s_cbranch_execz .LBB15_45
; %bb.44:
	v_lshrrev_b32_e32 v20, 4, v0
	v_cmp_gt_f32_e32 vcc, v18, v19
	v_and_b32_e32 v20, 60, v20
	v_cndmask_b32_e32 v18, v19, v18, vcc
	ds_write_b32 v20, v18
.LBB15_45:
	s_or_b64 exec, exec, s[2:3]
	s_waitcnt lgkmcnt(0)
	s_barrier
	ds_read_b32 v18, v26
	v_cmp_eq_u32_e64 s[2:3], 0, v0
	s_waitcnt lgkmcnt(0)
	v_mov_b32_dpp v19, v18 quad_perm:[1,0,3,2] row_mask:0xf bank_mask:0xf
	v_cmp_gt_f32_e32 vcc, v18, v19
	v_cndmask_b32_e32 v18, v19, v18, vcc
	s_nop 1
	v_mov_b32_dpp v19, v18 quad_perm:[2,3,0,1] row_mask:0xf bank_mask:0xf
	v_cmp_gt_f32_e32 vcc, v18, v19
	v_cndmask_b32_e32 v18, v19, v18, vcc
	v_mul_f32_e32 v21, 0x3b124925, v18
	v_pk_mov_b32 v[18:19], s[6:7], s[6:7] op_sel:[0,1]
.LBB15_46:
	s_and_saveexec_b64 s[0:1], s[2:3]
	s_cbranch_execz .LBB15_48
; %bb.47:
	v_lshlrev_b64 v[18:19], 2, v[18:19]
	v_mov_b32_e32 v0, s21
	v_add_co_u32_e32 v18, vcc, s20, v18
	v_addc_co_u32_e32 v19, vcc, v0, v19, vcc
	global_store_dword v[18:19], v21, off
.LBB15_48:
	s_or_b64 exec, exec, s[0:1]
	;;#ASMSTART
	v_rcp_f32 v18, v21
	;;#ASMEND
	v_mov_b32_e32 v19, v18
	;;#ASMSTART
	v_pk_mul_f32 v[16:17], v[16:17], v[18:19]
	;;#ASMEND
	s_add_i32 s0, s9, 3
	v_mov_b32_e32 v0, 0xc3e00000
	v_mov_b32_e32 v20, 0x43e00000
	;;#ASMSTART
	v_med3_f32 v16, v16, v0, v20
v_med3_f32 v17, v17, v0, v20
v_cvt_pk_fp8_f32 v21, v16, v17
	;;#ASMEND
	;;#ASMSTART
	v_pk_mul_f32 v[14:15], v[14:15], v[18:19]
	;;#ASMEND
	s_ashr_i32 s1, s0, 31
	;;#ASMSTART
	v_med3_f32 v14, v14, v0, v20
v_med3_f32 v15, v15, v0, v20
v_cvt_pk_fp8_f32 v16, v14, v15
	;;#ASMEND
	;;#ASMSTART
	v_pk_mul_f32 v[10:11], v[10:11], v[18:19]
	;;#ASMEND
	s_lshr_b32 s1, s1, 30
	s_mov_b32 s4, 0x5040100
	;;#ASMSTART
	v_med3_f32 v10, v10, v0, v20
v_med3_f32 v11, v11, v0, v20
v_cvt_pk_fp8_f32 v15, v10, v11
	;;#ASMEND
	;;#ASMSTART
	v_pk_mul_f32 v[6:7], v[6:7], v[18:19]
	;;#ASMEND
	s_add_i32 s0, s0, s1
	v_perm_b32 v14, v16, v21, s4
	s_mov_b32 s4, 0x1060504
	;;#ASMSTART
	v_med3_f32 v6, v6, v0, v20
v_med3_f32 v7, v7, v0, v20
v_cvt_pk_fp8_f32 v10, v6, v7
	;;#ASMEND
	s_and_b32 s2, s0, -4
	s_ashr_i32 s0, s13, 31
	v_perm_b32 v14, v14, v16, s4
	s_mov_b32 s4, 0x1000504
	;;#ASMSTART
	v_pk_mul_f32 v[6:7], v[12:13], v[18:19]
	;;#ASMEND
	s_mul_hi_u32 s1, s13, s6
	s_mul_i32 s0, s0, s6
	v_perm_b32 v15, v15, v10, s4
	;;#ASMSTART
	v_med3_f32 v6, v6, v0, v20
v_med3_f32 v7, v7, v0, v20
v_cvt_pk_fp8_f32 v10, v6, v7
	;;#ASMEND
	s_add_i32 s1, s1, s0
	s_mul_i32 s0, s13, s6
	;;#ASMSTART
	v_pk_mul_f32 v[6:7], v[8:9], v[18:19]
	;;#ASMEND
	s_add_u32 s0, s16, s0
	;;#ASMSTART
	v_med3_f32 v6, v6, v0, v20
v_med3_f32 v7, v7, v0, v20
v_cvt_pk_fp8_f32 v8, v6, v7
	;;#ASMEND
	;;#ASMSTART
	v_pk_mul_f32 v[4:5], v[4:5], v[18:19]
	;;#ASMEND
	s_addc_u32 s1, s17, s1
	;;#ASMSTART
	v_med3_f32 v4, v4, v0, v20
v_med3_f32 v5, v5, v0, v20
v_cvt_pk_fp8_f32 v6, v4, v5
	;;#ASMEND
	;;#ASMSTART
	v_pk_mul_f32 v[2:3], v[2:3], v[18:19]
	;;#ASMEND
	s_and_b32 s1, s1, 0xffff
	s_mov_b32 s3, 0x20000
	v_perm_b32 v16, v10, v8, s4
	;;#ASMSTART
	v_med3_f32 v2, v2, v0, v20
v_med3_f32 v3, v3, v0, v20
v_cvt_pk_fp8_f32 v0, v2, v3
	;;#ASMEND
	v_perm_b32 v17, v6, v0, s4
	buffer_store_dwordx4 v[14:17], v1, s[0:3], 0 offen
	;;#ASMSTART
	s_nop 0
	;;#ASMEND
.LBB15_49:
	s_endpgm
.LBB15_50:
                                        ; implicit-def: $vgpr18_vgpr19
	s_branch .LBB15_37
	.section	.rodata,"a",@progbits
	.p2align	6, 0x0
	.amdhsa_kernel _ZN5aiter24add_rmsnorm_quant_kernelIDF16_DB8_Li256ELi16ELb1ELb1ELb0ELi1EEEvPT0_PT_PfS5_S5_S5_diiiiiiib
		.amdhsa_group_segment_fixed_size 32
		.amdhsa_private_segment_fixed_size 0
		.amdhsa_kernarg_size 88
		.amdhsa_user_sgpr_count 6
		.amdhsa_user_sgpr_private_segment_buffer 1
		.amdhsa_user_sgpr_dispatch_ptr 0
		.amdhsa_user_sgpr_queue_ptr 0
		.amdhsa_user_sgpr_kernarg_segment_ptr 1
		.amdhsa_user_sgpr_dispatch_id 0
		.amdhsa_user_sgpr_flat_scratch_init 0
		.amdhsa_user_sgpr_kernarg_preload_length 0
		.amdhsa_user_sgpr_kernarg_preload_offset 0
		.amdhsa_user_sgpr_private_segment_size 0
		.amdhsa_uses_dynamic_stack 0
		.amdhsa_system_sgpr_private_segment_wavefront_offset 0
		.amdhsa_system_sgpr_workgroup_id_x 1
		.amdhsa_system_sgpr_workgroup_id_y 0
		.amdhsa_system_sgpr_workgroup_id_z 0
		.amdhsa_system_sgpr_workgroup_info 0
		.amdhsa_system_vgpr_workitem_id 0
		.amdhsa_next_free_vgpr 46
		.amdhsa_next_free_sgpr 40
		.amdhsa_accum_offset 48
		.amdhsa_reserve_vcc 1
		.amdhsa_reserve_flat_scratch 0
		.amdhsa_float_round_mode_32 0
		.amdhsa_float_round_mode_16_64 0
		.amdhsa_float_denorm_mode_32 3
		.amdhsa_float_denorm_mode_16_64 3
		.amdhsa_dx10_clamp 1
		.amdhsa_ieee_mode 1
		.amdhsa_fp16_overflow 0
		.amdhsa_tg_split 0
		.amdhsa_exception_fp_ieee_invalid_op 0
		.amdhsa_exception_fp_denorm_src 0
		.amdhsa_exception_fp_ieee_div_zero 0
		.amdhsa_exception_fp_ieee_overflow 0
		.amdhsa_exception_fp_ieee_underflow 0
		.amdhsa_exception_fp_ieee_inexact 0
		.amdhsa_exception_int_div_zero 0
	.end_amdhsa_kernel
	.section	.text._ZN5aiter24add_rmsnorm_quant_kernelIDF16_DB8_Li256ELi16ELb1ELb1ELb0ELi1EEEvPT0_PT_PfS5_S5_S5_diiiiiiib,"axG",@progbits,_ZN5aiter24add_rmsnorm_quant_kernelIDF16_DB8_Li256ELi16ELb1ELb1ELb0ELi1EEEvPT0_PT_PfS5_S5_S5_diiiiiiib,comdat
.Lfunc_end15:
	.size	_ZN5aiter24add_rmsnorm_quant_kernelIDF16_DB8_Li256ELi16ELb1ELb1ELb0ELi1EEEvPT0_PT_PfS5_S5_S5_diiiiiiib, .Lfunc_end15-_ZN5aiter24add_rmsnorm_quant_kernelIDF16_DB8_Li256ELi16ELb1ELb1ELb0ELi1EEEvPT0_PT_PfS5_S5_S5_diiiiiiib
                                        ; -- End function
	.section	.AMDGPU.csdata,"",@progbits
; Kernel info:
; codeLenInByte = 4016
; NumSgprs: 44
; NumVgprs: 46
; NumAgprs: 0
; TotalNumVgprs: 46
; ScratchSize: 0
; MemoryBound: 0
; FloatMode: 240
; IeeeMode: 1
; LDSByteSize: 32 bytes/workgroup (compile time only)
; SGPRBlocks: 5
; VGPRBlocks: 5
; NumSGPRsForWavesPerEU: 44
; NumVGPRsForWavesPerEU: 46
; AccumOffset: 48
; Occupancy: 8
; WaveLimiterHint : 0
; COMPUTE_PGM_RSRC2:SCRATCH_EN: 0
; COMPUTE_PGM_RSRC2:USER_SGPR: 6
; COMPUTE_PGM_RSRC2:TRAP_HANDLER: 0
; COMPUTE_PGM_RSRC2:TGID_X_EN: 1
; COMPUTE_PGM_RSRC2:TGID_Y_EN: 0
; COMPUTE_PGM_RSRC2:TGID_Z_EN: 0
; COMPUTE_PGM_RSRC2:TIDIG_COMP_CNT: 0
; COMPUTE_PGM_RSRC3_GFX90A:ACCUM_OFFSET: 11
; COMPUTE_PGM_RSRC3_GFX90A:TG_SPLIT: 0
	.section	.text._ZN5aiter24add_rmsnorm_quant_kernelItDB8_Li256ELi16ELb1ELb1ELb0ELi1EEEvPT0_PT_PfS5_S5_S5_diiiiiiib,"axG",@progbits,_ZN5aiter24add_rmsnorm_quant_kernelItDB8_Li256ELi16ELb1ELb1ELb0ELi1EEEvPT0_PT_PfS5_S5_S5_diiiiiiib,comdat
	.protected	_ZN5aiter24add_rmsnorm_quant_kernelItDB8_Li256ELi16ELb1ELb1ELb0ELi1EEEvPT0_PT_PfS5_S5_S5_diiiiiiib ; -- Begin function _ZN5aiter24add_rmsnorm_quant_kernelItDB8_Li256ELi16ELb1ELb1ELb0ELi1EEEvPT0_PT_PfS5_S5_S5_diiiiiiib
	.globl	_ZN5aiter24add_rmsnorm_quant_kernelItDB8_Li256ELi16ELb1ELb1ELb0ELi1EEEvPT0_PT_PfS5_S5_S5_diiiiiiib
	.p2align	8
	.type	_ZN5aiter24add_rmsnorm_quant_kernelItDB8_Li256ELi16ELb1ELb1ELb0ELi1EEEvPT0_PT_PfS5_S5_S5_diiiiiiib,@function
_ZN5aiter24add_rmsnorm_quant_kernelItDB8_Li256ELi16ELb1ELb1ELb0ELi1EEEvPT0_PT_PfS5_S5_S5_diiiiiiib: ; @_ZN5aiter24add_rmsnorm_quant_kernelItDB8_Li256ELi16ELb1ELb1ELb0ELi1EEEvPT0_PT_PfS5_S5_S5_diiiiiiib
; %bb.0:
	s_load_dwordx8 s[8:15], s[4:5], 0x38
	s_mov_b32 s7, 0
	s_waitcnt lgkmcnt(0)
	s_ashr_i32 s0, s8, 31
	v_mov_b32_e32 v2, s8
	v_mov_b32_e32 v3, s0
	v_cmp_ge_i64_e32 vcc, s[6:7], v[2:3]
	s_cbranch_vccnz .LBB16_49
; %bb.1:
	s_load_dwordx8 s[16:23], s[4:5], 0x0
	s_ashr_i32 s0, s10, 31
	s_mul_hi_u32 s1, s10, s6
	s_mul_i32 s0, s0, s6
	s_add_i32 s1, s1, s0
	s_mul_i32 s0, s10, s6
	s_lshl_b64 s[0:1], s[0:1], 1
	s_waitcnt lgkmcnt(0)
	s_add_u32 s0, s22, s0
	s_addc_u32 s1, s23, s1
	s_add_i32 s2, s9, 1
	s_lshr_b32 s3, s2, 31
	s_add_i32 s2, s2, s3
	s_lshl_b32 s2, s2, 1
	s_load_dwordx8 s[24:31], s[4:5], 0x20
	s_and_b32 s2, s2, -4
	s_and_b32 s1, s1, 0xffff
	s_mov_b32 s3, 0x20000
	v_lshlrev_b32_e32 v1, 5, v0
	buffer_load_dwordx4 v[18:21], v1, s[0:3], 16 offen
	buffer_load_dwordx4 v[10:13], v1, s[0:3], 0 offen
	s_ashr_i32 s0, s11, 31
	s_mul_hi_u32 s1, s11, s6
	s_mul_i32 s0, s0, s6
	s_add_i32 s1, s1, s0
	s_mul_i32 s0, s11, s6
	s_waitcnt lgkmcnt(0)
	s_and_b32 s37, s27, 0xffff
	s_lshl_b64 s[0:1], s[0:1], 1
	s_add_u32 s0, s24, s0
	s_addc_u32 s1, s25, s1
	s_and_b32 s1, s1, 0xffff
	buffer_load_dwordx4 v[22:25], v1, s[0:3], 16 offen
	buffer_load_dwordx4 v[14:17], v1, s[0:3], 0 offen
	s_mov_b32 s39, s3
	s_mov_b32 s36, s26
	;; [unrolled: 1-line block ×3, first 2 shown]
	buffer_load_dwordx4 v[6:9], v1, s[36:39], 0 offen
	buffer_load_dwordx4 v[2:5], v1, s[36:39], 16 offen
	s_ashr_i32 s5, s12, 31
	s_mul_hi_u32 s1, s12, s6
	s_mul_i32 s5, s5, s6
	s_mul_i32 s0, s12, s6
	s_add_i32 s1, s1, s5
	s_lshl_b64 s[0:1], s[0:1], 1
	s_add_u32 s0, s18, s0
	s_mov_b32 s4, 0x7060302
	s_addc_u32 s1, s19, s1
	s_and_b32 s1, s1, 0xffff
	s_waitcnt vmcnt(5)
	v_cvt_f32_u32_sdwa v27, v18 dst_sel:DWORD dst_unused:UNUSED_PAD src0_sel:WORD_1
	v_cvt_f32_u32_sdwa v26, v18 dst_sel:DWORD dst_unused:UNUSED_PAD src0_sel:WORD_0
	v_cvt_f32_u32_sdwa v29, v19 dst_sel:DWORD dst_unused:UNUSED_PAD src0_sel:WORD_1
	v_cvt_f32_u32_sdwa v28, v19 dst_sel:DWORD dst_unused:UNUSED_PAD src0_sel:WORD_0
	v_cvt_f32_u32_sdwa v19, v20 dst_sel:DWORD dst_unused:UNUSED_PAD src0_sel:WORD_1
	v_cvt_f32_u32_sdwa v18, v20 dst_sel:DWORD dst_unused:UNUSED_PAD src0_sel:WORD_0
	v_cvt_f32_u32_sdwa v31, v21 dst_sel:DWORD dst_unused:UNUSED_PAD src0_sel:WORD_1
	v_cvt_f32_u32_sdwa v30, v21 dst_sel:DWORD dst_unused:UNUSED_PAD src0_sel:WORD_0
	s_waitcnt vmcnt(4)
	v_cvt_f32_u32_sdwa v21, v10 dst_sel:DWORD dst_unused:UNUSED_PAD src0_sel:WORD_1
	v_cvt_f32_u32_sdwa v20, v10 dst_sel:DWORD dst_unused:UNUSED_PAD src0_sel:WORD_0
	v_cvt_f32_u32_sdwa v33, v11 dst_sel:DWORD dst_unused:UNUSED_PAD src0_sel:WORD_1
	v_cvt_f32_u32_sdwa v32, v11 dst_sel:DWORD dst_unused:UNUSED_PAD src0_sel:WORD_0
	v_cvt_f32_u32_sdwa v35, v12 dst_sel:DWORD dst_unused:UNUSED_PAD src0_sel:WORD_1
	v_cvt_f32_u32_sdwa v34, v12 dst_sel:DWORD dst_unused:UNUSED_PAD src0_sel:WORD_0
	v_cvt_f32_u32_sdwa v37, v13 dst_sel:DWORD dst_unused:UNUSED_PAD src0_sel:WORD_1
	v_cvt_f32_u32_sdwa v36, v13 dst_sel:DWORD dst_unused:UNUSED_PAD src0_sel:WORD_0
	s_waitcnt vmcnt(3)
	v_cvt_f32_u32_sdwa v11, v22 dst_sel:DWORD dst_unused:UNUSED_PAD src0_sel:WORD_1
	v_cvt_f32_u32_sdwa v10, v22 dst_sel:DWORD dst_unused:UNUSED_PAD src0_sel:WORD_0
	v_cvt_f32_u32_sdwa v13, v23 dst_sel:DWORD dst_unused:UNUSED_PAD src0_sel:WORD_1
	v_cvt_f32_u32_sdwa v12, v23 dst_sel:DWORD dst_unused:UNUSED_PAD src0_sel:WORD_0
	v_cvt_f32_u32_sdwa v23, v24 dst_sel:DWORD dst_unused:UNUSED_PAD src0_sel:WORD_1
	v_cvt_f32_u32_sdwa v22, v24 dst_sel:DWORD dst_unused:UNUSED_PAD src0_sel:WORD_0
	v_cvt_f32_u32_sdwa v39, v25 dst_sel:DWORD dst_unused:UNUSED_PAD src0_sel:WORD_1
	v_cvt_f32_u32_sdwa v38, v25 dst_sel:DWORD dst_unused:UNUSED_PAD src0_sel:WORD_0
	s_waitcnt vmcnt(2)
	v_cvt_f32_u32_sdwa v25, v14 dst_sel:DWORD dst_unused:UNUSED_PAD src0_sel:WORD_1
	v_cvt_f32_u32_sdwa v24, v14 dst_sel:DWORD dst_unused:UNUSED_PAD src0_sel:WORD_0
	v_cvt_f32_u32_sdwa v41, v15 dst_sel:DWORD dst_unused:UNUSED_PAD src0_sel:WORD_1
	v_cvt_f32_u32_sdwa v40, v15 dst_sel:DWORD dst_unused:UNUSED_PAD src0_sel:WORD_0
	v_cvt_f32_u32_sdwa v43, v16 dst_sel:DWORD dst_unused:UNUSED_PAD src0_sel:WORD_1
	v_cvt_f32_u32_sdwa v42, v16 dst_sel:DWORD dst_unused:UNUSED_PAD src0_sel:WORD_0
	v_cvt_f32_u32_sdwa v45, v17 dst_sel:DWORD dst_unused:UNUSED_PAD src0_sel:WORD_1
	v_cvt_f32_u32_sdwa v44, v17 dst_sel:DWORD dst_unused:UNUSED_PAD src0_sel:WORD_0
	v_pk_add_f32 v[16:17], v[26:27], v[10:11]
	v_pk_add_f32 v[14:15], v[28:29], v[12:13]
	v_pk_add_f32 v[12:13], v[18:19], v[22:23]
	v_pk_add_f32 v[10:11], v[30:31], v[38:39]
	v_pk_add_f32 v[24:25], v[20:21], v[24:25]
	v_pk_add_f32 v[22:23], v[32:33], v[40:41]
	v_pk_add_f32 v[20:21], v[34:35], v[42:43]
	v_pk_add_f32 v[18:19], v[36:37], v[44:45]
	v_perm_b32 v29, v19, v18, s4
	v_perm_b32 v28, v21, v20, s4
	;; [unrolled: 1-line block ×8, first 2 shown]
	v_pk_mul_f32 v[34:35], v[24:25], v[24:25]
	v_pk_mul_f32 v[36:37], v[22:23], v[22:23]
	buffer_store_dwordx4 v[26:29], v1, s[0:3], 0 offen
	;;#ASMSTART
	s_nop 0
	;;#ASMEND
	buffer_store_dwordx4 v[30:33], v1, s[0:3], 16 offen
	v_add_f32_e32 v1, v34, v35
	v_add_f32_e32 v1, v36, v1
	v_pk_mul_f32 v[26:27], v[20:21], v[20:21]
	v_add_f32_e32 v1, v37, v1
	v_add_f32_e32 v1, v26, v1
	v_pk_mul_f32 v[28:29], v[18:19], v[18:19]
	;; [unrolled: 3-line block ×6, first 2 shown]
	v_add_f32_e32 v1, v39, v1
	v_add_f32_e32 v1, v40, v1
	;; [unrolled: 1-line block ×3, first 2 shown]
	v_and_b32_e32 v27, 63, v0
	v_cmp_eq_u32_e64 s[0:1], 63, v27
	v_mov_b32_dpp v26, v1 quad_perm:[1,0,3,2] row_mask:0xf bank_mask:0xf
	v_add_f32_e32 v1, v1, v26
	;;#ASMSTART
	s_nop 0
	;;#ASMEND
	s_nop 1
	v_mov_b32_dpp v26, v1 quad_perm:[2,3,0,1] row_mask:0xf bank_mask:0xf
	v_add_f32_e32 v1, v1, v26
	s_nop 1
	v_mov_b32_dpp v26, v1 row_half_mirror row_mask:0xf bank_mask:0xf
	v_add_f32_e32 v1, v1, v26
	s_nop 1
	v_mov_b32_dpp v26, v1 row_mirror row_mask:0xf bank_mask:0xf
	v_add_f32_e32 v1, v1, v26
	s_nop 1
	v_mov_b32_dpp v26, v1 row_bcast:15 row_mask:0xf bank_mask:0xf
	v_add_f32_e32 v1, v1, v26
	s_nop 1
	v_mov_b32_dpp v26, v1 row_bcast:31 row_mask:0xf bank_mask:0xf
	s_and_saveexec_b64 s[2:3], s[0:1]
	s_cbranch_execz .LBB16_3
; %bb.2:
	v_lshrrev_b32_e32 v27, 4, v0
	v_and_b32_e32 v27, 60, v27
	v_add_f32_e32 v1, v1, v26
	ds_write_b32 v27, v1 offset:16
.LBB16_3:
	s_or_b64 exec, exec, s[2:3]
	v_and_b32_e32 v1, 3, v0
	v_lshlrev_b32_e32 v26, 2, v1
	s_waitcnt lgkmcnt(0)
	s_barrier
	ds_read_b32 v1, v26 offset:16
	v_cvt_f32_i32_e32 v27, s9
	s_waitcnt vmcnt(3)
	v_cvt_f32_u32_sdwa v37, v9 dst_sel:DWORD dst_unused:UNUSED_PAD src0_sel:WORD_1
	v_cvt_f32_u32_sdwa v36, v9 dst_sel:DWORD dst_unused:UNUSED_PAD src0_sel:WORD_0
	s_waitcnt vmcnt(2)
	v_cvt_f32_u32_sdwa v9, v2 dst_sel:DWORD dst_unused:UNUSED_PAD src0_sel:WORD_1
	s_waitcnt lgkmcnt(0)
	v_mov_b32_dpp v28, v1 quad_perm:[1,0,3,2] row_mask:0xf bank_mask:0xf
	v_add_f32_e32 v1, v1, v28
	s_cmp_lg_u32 s14, 0
	s_nop 0
	v_mov_b32_dpp v28, v1 quad_perm:[2,3,0,1] row_mask:0xf bank_mask:0xf
	v_add_f32_e32 v1, v1, v28
	v_div_scale_f32 v28, s[2:3], v27, v27, v1
	v_rcp_f32_e32 v29, v28
	v_div_scale_f32 v30, vcc, v1, v27, v1
	s_mov_b32 s2, 0x800000
	v_fma_f32 v31, -v28, v29, 1.0
	v_fmac_f32_e32 v29, v31, v29
	v_mul_f32_e32 v31, v30, v29
	v_fma_f32 v32, -v28, v31, v30
	v_fmac_f32_e32 v31, v32, v29
	v_fma_f32 v28, -v28, v31, v30
	v_div_fmas_f32 v28, v28, v29, v31
	v_div_fixup_f32 v1, v28, v27, v1
	v_cvt_f64_f32_e32 v[28:29], v1
	v_add_f64 v[28:29], v[28:29], s[28:29]
	v_cvt_f32_f64_e32 v1, v[28:29]
	v_mul_f32_e32 v27, 0x4b800000, v1
	v_cmp_gt_f32_e32 vcc, s2, v1
	v_cndmask_b32_e32 v1, v1, v27, vcc
	v_rsq_f32_e32 v27, v1
	v_lshlrev_b32_e32 v1, 4, v0
	v_mul_f32_e32 v28, 0x45800000, v27
	v_cndmask_b32_e32 v28, v27, v28, vcc
	v_mov_b32_e32 v29, v28
	;;#ASMSTART
	v_pk_mul_f32 v[24:25], v[24:25], v[28:29]
	;;#ASMEND
	;;#ASMSTART
	v_pk_mul_f32 v[22:23], v[22:23], v[28:29]
	;;#ASMEND
	;; [unrolled: 3-line block ×8, first 2 shown]
	v_cvt_f32_u32_sdwa v11, v6 dst_sel:DWORD dst_unused:UNUSED_PAD src0_sel:WORD_1
	v_cvt_f32_u32_sdwa v10, v6 dst_sel:DWORD dst_unused:UNUSED_PAD src0_sel:WORD_0
	v_cvt_f32_u32_sdwa v13, v7 dst_sel:DWORD dst_unused:UNUSED_PAD src0_sel:WORD_1
	v_cvt_f32_u32_sdwa v12, v7 dst_sel:DWORD dst_unused:UNUSED_PAD src0_sel:WORD_0
	;; [unrolled: 2-line block ×3, first 2 shown]
	;;#ASMSTART
	v_pk_mul_f32 v[16:17], v[24:25], v[10:11]
	;;#ASMEND
	;;#ASMSTART
	v_pk_mul_f32 v[14:15], v[22:23], v[12:13]
	;;#ASMEND
	;; [unrolled: 3-line block ×4, first 2 shown]
	v_cvt_f32_u32_sdwa v8, v2 dst_sel:DWORD dst_unused:UNUSED_PAD src0_sel:WORD_0
	v_cvt_f32_u32_sdwa v19, v3 dst_sel:DWORD dst_unused:UNUSED_PAD src0_sel:WORD_1
	v_cvt_f32_u32_sdwa v18, v3 dst_sel:DWORD dst_unused:UNUSED_PAD src0_sel:WORD_0
	v_cvt_f32_u32_sdwa v3, v4 dst_sel:DWORD dst_unused:UNUSED_PAD src0_sel:WORD_1
	v_cvt_f32_u32_sdwa v2, v4 dst_sel:DWORD dst_unused:UNUSED_PAD src0_sel:WORD_0
	v_cvt_f32_u32_sdwa v20, v5 dst_sel:DWORD dst_unused:UNUSED_PAD src0_sel:WORD_0
	v_cvt_f32_u32_sdwa v21, v5 dst_sel:DWORD dst_unused:UNUSED_PAD src0_sel:WORD_1
	;;#ASMSTART
	v_pk_mul_f32 v[12:13], v[30:31], v[8:9]
	;;#ASMEND
	;;#ASMSTART
	v_pk_mul_f32 v[8:9], v[32:33], v[18:19]
	;;#ASMEND
	;; [unrolled: 3-line block ×4, first 2 shown]
	v_and_b32_e32 v18, 0x7fffffff, v16
	v_mov_b32_e32 v20, 0x2edbe6ff
	v_and_b32_e32 v19, 0x7fffffff, v17
	;;#ASMSTART
	v_max3_f32 v18, v20, v18, v19

	;;#ASMEND
	v_and_b32_e32 v20, 0x7fffffff, v15
	v_and_b32_e32 v19, 0x7fffffff, v14
	;;#ASMSTART
	v_max3_f32 v18, v18, v19, v20

	;;#ASMEND
	v_and_b32_e32 v20, 0x7fffffff, v11
	;; [unrolled: 6-line block ×7, first 2 shown]
	v_and_b32_e32 v19, 0x7fffffff, v2
	;;#ASMSTART
	v_max3_f32 v20, v18, v19, v20

	;;#ASMEND
	s_cbranch_scc0 .LBB16_10
; %bb.4:
	s_ashr_i32 s12, s14, 31
	s_lshr_b32 s2, s12, 28
	s_add_i32 s2, s14, s2
	s_ashr_i32 s10, s2, 4
	s_cmp_lt_i32 s10, 16
	s_cbranch_scc1 .LBB16_11
; %bb.5:
	s_cmp_lt_i32 s10, 32
	s_cbranch_scc1 .LBB16_12
; %bb.6:
	s_cmp_lt_i32 s10, 64
	s_cbranch_scc1 .LBB16_13
; %bb.7:
	s_cmp_eq_u32 s10, 64
	v_mov_b32_e32 v18, v20
	s_cbranch_scc0 .LBB16_9
; %bb.8:
	s_nop 0
	v_mov_b32_dpp v18, v20 quad_perm:[1,0,3,2] row_mask:0xf bank_mask:0xf
	v_cmp_gt_f32_e32 vcc, v20, v18
	v_cndmask_b32_e32 v18, v18, v20, vcc
	v_bfrev_b32_e32 v21, 0.5
	s_nop 0
	v_mov_b32_dpp v19, v18 quad_perm:[2,3,0,1] row_mask:0xf bank_mask:0xf
	v_cmp_gt_f32_e32 vcc, v18, v19
	v_cndmask_b32_e32 v18, v19, v18, vcc
	s_nop 1
	v_mov_b32_dpp v19, v18 row_ror:4 row_mask:0xf bank_mask:0xf
	v_cmp_gt_f32_e32 vcc, v18, v19
	v_cndmask_b32_e32 v18, v19, v18, vcc
	s_nop 1
	v_mov_b32_dpp v19, v18 row_ror:8 row_mask:0xf bank_mask:0xf
	v_cmp_gt_f32_e32 vcc, v18, v19
	v_cndmask_b32_e32 v18, v19, v18, vcc
	s_nop 1
	v_mov_b32_dpp v19, v18 row_bcast:15 row_mask:0xf bank_mask:0xf
	v_cmp_gt_f32_e32 vcc, v18, v19
	v_cndmask_b32_e32 v18, v19, v18, vcc
	s_nop 1
	v_mov_b32_dpp v19, v18 row_bcast:31 row_mask:0xf bank_mask:0xf
	v_cmp_gt_f32_e32 vcc, v18, v19
	v_cndmask_b32_e32 v18, v19, v18, vcc
	v_mbcnt_lo_u32_b32 v19, -1, 0
	v_mbcnt_hi_u32_b32 v19, -1, v19
	v_lshl_or_b32 v19, v19, 2, v21
	ds_bpermute_b32 v18, v19, v18
.LBB16_9:
	s_mov_b64 s[2:3], 0
	s_branch .LBB16_14
.LBB16_10:
	s_mov_b64 s[2:3], 0
                                        ; implicit-def: $vgpr21
                                        ; implicit-def: $vgpr18_vgpr19
	s_cbranch_execnz .LBB16_43
	s_branch .LBB16_46
.LBB16_11:
                                        ; implicit-def: $vgpr18
	s_branch .LBB16_21
.LBB16_12:
                                        ; implicit-def: $vgpr18
	s_branch .LBB16_18
.LBB16_13:
	s_mov_b64 s[2:3], -1
                                        ; implicit-def: $vgpr18
.LBB16_14:
	s_andn2_b64 vcc, exec, s[2:3]
	s_cbranch_vccnz .LBB16_17
; %bb.15:
	s_cmp_eq_u32 s10, 32
	s_waitcnt lgkmcnt(0)
	v_mov_b32_e32 v18, v20
	s_cbranch_scc0 .LBB16_17
; %bb.16:
	s_nop 0
	v_mov_b32_dpp v18, v20 quad_perm:[1,0,3,2] row_mask:0xf bank_mask:0xf
	v_cmp_gt_f32_e32 vcc, v20, v18
	v_cndmask_b32_e32 v18, v18, v20, vcc
	v_mov_b32_e32 v21, 0x7c
	s_nop 0
	v_mov_b32_dpp v19, v18 quad_perm:[2,3,0,1] row_mask:0xf bank_mask:0xf
	v_cmp_gt_f32_e32 vcc, v18, v19
	v_cndmask_b32_e32 v18, v19, v18, vcc
	s_nop 1
	v_mov_b32_dpp v19, v18 row_half_mirror row_mask:0xf bank_mask:0xf
	v_cmp_gt_f32_e32 vcc, v18, v19
	v_cndmask_b32_e32 v18, v19, v18, vcc
	s_nop 1
	v_mov_b32_dpp v19, v18 row_mirror row_mask:0xf bank_mask:0xf
	v_cmp_gt_f32_e32 vcc, v18, v19
	v_cndmask_b32_e32 v18, v19, v18, vcc
	s_nop 1
	v_mov_b32_dpp v19, v18 row_bcast:15 row_mask:0xa bank_mask:0xf
	v_cmp_gt_f32_e32 vcc, v18, v19
	v_cndmask_b32_e32 v18, v19, v18, vcc
	v_mbcnt_lo_u32_b32 v19, -1, 0
	v_mbcnt_hi_u32_b32 v19, -1, v19
	v_lshl_or_b32 v19, v19, 2, v21
	ds_bpermute_b32 v18, v19, v18
.LBB16_17:
	s_cbranch_execnz .LBB16_20
.LBB16_18:
	s_cmp_eq_u32 s10, 16
	s_waitcnt lgkmcnt(0)
	v_mov_b32_e32 v18, v20
	s_cbranch_scc0 .LBB16_20
; %bb.19:
	s_nop 0
	v_mov_b32_dpp v18, v20 quad_perm:[1,0,3,2] row_mask:0xf bank_mask:0xf
	v_cmp_gt_f32_e32 vcc, v20, v18
	v_cndmask_b32_e32 v18, v18, v20, vcc
	s_nop 1
	v_mov_b32_dpp v19, v18 quad_perm:[2,3,0,1] row_mask:0xf bank_mask:0xf
	v_cmp_gt_f32_e32 vcc, v18, v19
	v_cndmask_b32_e32 v18, v19, v18, vcc
	s_nop 1
	v_mov_b32_dpp v19, v18 row_half_mirror row_mask:0xf bank_mask:0xf
	v_cmp_gt_f32_e32 vcc, v18, v19
	v_cndmask_b32_e32 v18, v19, v18, vcc
	s_nop 1
	v_mov_b32_dpp v19, v18 row_mirror row_mask:0xf bank_mask:0xf
	v_cmp_gt_f32_e32 vcc, v18, v19
	v_cndmask_b32_e32 v18, v19, v18, vcc
.LBB16_20:
	s_cbranch_execnz .LBB16_33
.LBB16_21:
	s_cmp_lt_i32 s10, 4
	s_cbranch_scc1 .LBB16_25
; %bb.22:
	s_cmp_lt_i32 s10, 8
	s_cbranch_scc1 .LBB16_26
; %bb.23:
	s_cmp_eq_u32 s10, 8
	s_waitcnt lgkmcnt(0)
	v_mov_b32_e32 v18, v20
	s_cbranch_scc0 .LBB16_27
; %bb.24:
	s_nop 0
	v_mov_b32_dpp v18, v20 quad_perm:[1,0,3,2] row_mask:0xf bank_mask:0xf
	v_cmp_gt_f32_e32 vcc, v20, v18
	v_cndmask_b32_e32 v18, v18, v20, vcc
	s_nop 1
	v_mov_b32_dpp v19, v18 quad_perm:[2,3,0,1] row_mask:0xf bank_mask:0xf
	v_cmp_gt_f32_e32 vcc, v18, v19
	v_cndmask_b32_e32 v18, v19, v18, vcc
	s_nop 1
	v_mov_b32_dpp v19, v18 row_half_mirror row_mask:0xf bank_mask:0xf
	v_cmp_gt_f32_e32 vcc, v18, v19
	v_cndmask_b32_e32 v18, v19, v18, vcc
	s_cbranch_execz .LBB16_28
	s_branch .LBB16_30
.LBB16_25:
                                        ; implicit-def: $vgpr18
	s_branch .LBB16_31
.LBB16_26:
                                        ; implicit-def: $vgpr18
	s_branch .LBB16_28
.LBB16_27:
	s_cbranch_execnz .LBB16_30
.LBB16_28:
	s_cmp_eq_u32 s10, 4
	s_waitcnt lgkmcnt(0)
	v_mov_b32_e32 v18, v20
	s_cbranch_scc0 .LBB16_30
; %bb.29:
	s_nop 0
	v_mov_b32_dpp v18, v20 quad_perm:[1,0,3,2] row_mask:0xf bank_mask:0xf
	v_cmp_gt_f32_e32 vcc, v20, v18
	v_cndmask_b32_e32 v18, v18, v20, vcc
	s_nop 1
	v_mov_b32_dpp v19, v18 quad_perm:[2,3,0,1] row_mask:0xf bank_mask:0xf
	v_cmp_gt_f32_e32 vcc, v18, v19
	v_cndmask_b32_e32 v18, v19, v18, vcc
.LBB16_30:
	s_cbranch_execnz .LBB16_33
.LBB16_31:
	s_cmp_lg_u32 s10, 2
	s_waitcnt lgkmcnt(0)
	v_mov_b32_e32 v18, v20
	s_cbranch_scc1 .LBB16_33
; %bb.32:
	s_nop 0
	v_mov_b32_dpp v18, v20 quad_perm:[1,0,3,2] row_mask:0xf bank_mask:0xf
	v_cmp_gt_f32_e32 vcc, v20, v18
	v_cndmask_b32_e32 v18, v18, v20, vcc
.LBB16_33:
	v_cvt_f32_u32_e32 v19, s10
	s_waitcnt lgkmcnt(0)
	v_mul_f32_e32 v21, 0x3b124925, v18
	s_sub_i32 s2, 0, s10
	v_cmp_gt_u32_e32 vcc, s9, v1
	v_rcp_iflag_f32_e32 v19, v19
	s_mov_b64 s[4:5], 0
	v_mul_f32_e32 v18, 0x4f7ffffe, v19
	v_cvt_u32_f32_e32 v18, v18
	v_mul_lo_u32 v19, s2, v18
	v_mul_hi_u32 v19, v18, v19
	v_add_u32_e32 v18, v18, v19
	v_mul_hi_u32 v18, v0, v18
	v_mul_lo_u32 v19, v18, s10
	v_sub_u32_e32 v19, v0, v19
	v_add_u32_e32 v22, 1, v18
	v_cmp_le_u32_e64 s[2:3], s10, v19
	v_cndmask_b32_e64 v18, v18, v22, s[2:3]
	v_subrev_u32_e32 v22, s10, v19
	v_cndmask_b32_e64 v19, v19, v22, s[2:3]
	v_add_u32_e32 v22, 1, v18
	v_cmp_le_u32_e64 s[2:3], s10, v19
	v_cndmask_b32_e64 v22, v18, v22, s[2:3]
	v_mul_lo_u32 v18, v22, s10
	v_sub_u32_e32 v18, v0, v18
	v_cmp_eq_u32_e64 s[2:3], 0, v18
	s_and_b64 s[10:11], s[2:3], vcc
	s_mov_b64 s[2:3], 0
                                        ; implicit-def: $vgpr18_vgpr19
	s_and_saveexec_b64 s[18:19], s[10:11]
	s_xor_b64 s[10:11], exec, s[18:19]
	s_cbranch_execz .LBB16_42
; %bb.34:
	s_bitcmp0_b32 s15, 0
	s_cbranch_scc0 .LBB16_39
; %bb.35:
	s_ashr_i32 s2, s9, 31
	s_mul_hi_u32 s3, s9, s6
	s_mul_i32 s2, s2, s6
	s_add_i32 s19, s3, s2
	s_mul_i32 s18, s9, s6
	s_mov_b32 s15, s12
	s_or_b64 s[2:3], s[18:19], s[14:15]
	s_mov_b32 s2, 0
	s_cmp_lg_u64 s[2:3], 0
	s_cbranch_scc0 .LBB16_50
; %bb.36:
	s_add_u32 s2, s14, s15
	s_mov_b32 s24, s15
	s_mov_b32 s25, s15
	s_addc_u32 s3, s15, s15
	s_xor_b64 s[26:27], s[2:3], s[24:25]
	v_cvt_f32_u32_e32 v18, s26
	v_cvt_f32_u32_e32 v19, s27
	s_sub_u32 s2, 0, s26
	s_subb_u32 s3, 0, s27
	v_madmk_f32 v18, v19, 0x4f800000, v18
	v_rcp_f32_e32 v18, v18
	v_mul_f32_e32 v18, 0x5f7ffffc, v18
	v_mul_f32_e32 v19, 0x2f800000, v18
	v_trunc_f32_e32 v19, v19
	v_madmk_f32 v18, v19, 0xcf800000, v18
	v_cvt_u32_f32_e32 v19, v19
	v_cvt_u32_f32_e32 v18, v18
	v_readfirstlane_b32 s12, v19
	v_readfirstlane_b32 s15, v18
	s_mul_i32 s28, s2, s12
	s_mul_hi_u32 s30, s2, s15
	s_mul_i32 s29, s3, s15
	s_add_i32 s28, s30, s28
	s_add_i32 s28, s28, s29
	s_mul_i32 s31, s2, s15
	s_mul_hi_u32 s29, s15, s28
	s_mul_i32 s30, s15, s28
	s_mul_hi_u32 s15, s15, s31
	s_add_u32 s15, s15, s30
	s_addc_u32 s29, 0, s29
	s_mul_hi_u32 s33, s12, s31
	s_mul_i32 s31, s12, s31
	s_add_u32 s15, s15, s31
	s_mul_hi_u32 s30, s12, s28
	s_addc_u32 s15, s29, s33
	s_addc_u32 s29, s30, 0
	s_mul_i32 s28, s12, s28
	s_add_u32 s15, s15, s28
	s_addc_u32 s28, 0, s29
	v_add_co_u32_e32 v18, vcc, s15, v18
	s_cmp_lg_u64 vcc, 0
	s_addc_u32 s12, s12, s28
	v_readfirstlane_b32 s28, v18
	s_mul_i32 s15, s2, s12
	s_mul_hi_u32 s29, s2, s28
	s_add_i32 s15, s29, s15
	s_mul_i32 s3, s3, s28
	s_add_i32 s15, s15, s3
	s_mul_i32 s2, s2, s28
	s_mul_hi_u32 s29, s12, s2
	s_mul_i32 s30, s12, s2
	s_mul_i32 s33, s28, s15
	s_mul_hi_u32 s2, s28, s2
	s_mul_hi_u32 s31, s28, s15
	s_add_u32 s2, s2, s33
	s_addc_u32 s28, 0, s31
	s_add_u32 s2, s2, s30
	s_mul_hi_u32 s3, s12, s15
	s_addc_u32 s2, s28, s29
	s_addc_u32 s3, s3, 0
	s_mul_i32 s15, s12, s15
	s_add_u32 s2, s2, s15
	s_addc_u32 s3, 0, s3
	v_add_co_u32_e32 v18, vcc, s2, v18
	s_cmp_lg_u64 vcc, 0
	s_addc_u32 s12, s12, s3
	s_ashr_i32 s28, s19, 31
	s_add_u32 s2, s18, s28
	s_mov_b32 s29, s28
	s_addc_u32 s3, s19, s28
	s_xor_b64 s[30:31], s[2:3], s[28:29]
	v_readfirstlane_b32 s15, v18
	s_mul_i32 s3, s30, s12
	s_mul_hi_u32 s19, s30, s15
	s_mul_hi_u32 s2, s30, s12
	s_add_u32 s3, s19, s3
	s_addc_u32 s2, 0, s2
	s_mul_hi_u32 s33, s31, s15
	s_mul_i32 s15, s31, s15
	s_add_u32 s3, s3, s15
	s_mul_hi_u32 s19, s31, s12
	s_addc_u32 s2, s2, s33
	s_addc_u32 s3, s19, 0
	s_mul_i32 s12, s31, s12
	s_add_u32 s12, s2, s12
	s_addc_u32 s15, 0, s3
	s_mul_i32 s2, s26, s15
	s_mul_hi_u32 s3, s26, s12
	s_add_i32 s2, s3, s2
	s_mul_i32 s3, s27, s12
	s_add_i32 s19, s2, s3
	s_mul_i32 s3, s26, s12
	v_mov_b32_e32 v18, s3
	s_sub_i32 s2, s31, s19
	v_sub_co_u32_e32 v18, vcc, s30, v18
	s_cmp_lg_u64 vcc, 0
	s_subb_u32 s30, s2, s27
	v_subrev_co_u32_e64 v19, s[2:3], s26, v18
	s_cmp_lg_u64 s[2:3], 0
	s_subb_u32 s30, s30, 0
	s_cmp_ge_u32 s30, s27
	s_cselect_b32 s33, -1, 0
	v_cmp_le_u32_e64 s[2:3], s26, v19
	s_cmp_eq_u32 s30, s27
	v_cndmask_b32_e64 v19, 0, -1, s[2:3]
	v_mov_b32_e32 v23, s33
	s_cselect_b64 s[2:3], -1, 0
	v_cndmask_b32_e64 v19, v23, v19, s[2:3]
	s_add_u32 s2, s12, 1
	s_addc_u32 s30, s15, 0
	s_add_u32 s3, s12, 2
	s_addc_u32 s33, s15, 0
	v_mov_b32_e32 v23, s2
	v_mov_b32_e32 v24, s3
	v_cmp_ne_u32_e64 s[2:3], 0, v19
	v_cndmask_b32_e64 v19, v23, v24, s[2:3]
	v_mov_b32_e32 v23, s30
	v_mov_b32_e32 v24, s33
	s_cmp_lg_u64 vcc, 0
	v_cndmask_b32_e64 v23, v23, v24, s[2:3]
	s_subb_u32 s2, s31, s19
	s_cmp_ge_u32 s2, s27
	s_cselect_b32 s3, -1, 0
	v_cmp_le_u32_e32 vcc, s26, v18
	s_cmp_eq_u32 s2, s27
	v_cndmask_b32_e64 v18, 0, -1, vcc
	v_mov_b32_e32 v24, s3
	s_cselect_b64 vcc, -1, 0
	v_cndmask_b32_e32 v18, v24, v18, vcc
	v_mov_b32_e32 v24, s15
	v_cmp_ne_u32_e32 vcc, 0, v18
	v_cndmask_b32_e32 v18, v24, v23, vcc
	v_mov_b32_e32 v23, s12
	v_cndmask_b32_e32 v19, v23, v19, vcc
	s_xor_b64 s[2:3], s[28:29], s[24:25]
	v_xor_b32_e32 v19, s2, v19
	v_xor_b32_e32 v23, s3, v18
	v_mov_b32_e32 v24, s3
	v_subrev_co_u32_e32 v18, vcc, s2, v19
	v_subb_co_u32_e32 v19, vcc, v23, v24, vcc
	s_cbranch_execnz .LBB16_38
.LBB16_37:
	v_cvt_f32_u32_e32 v18, s14
	s_sub_i32 s2, 0, s14
	s_mov_b32 s3, 0
	v_rcp_iflag_f32_e32 v18, v18
	v_mul_f32_e32 v18, 0x4f7ffffe, v18
	v_cvt_u32_f32_e32 v18, v18
	v_readfirstlane_b32 s12, v18
	s_mul_i32 s2, s2, s12
	s_mul_hi_u32 s2, s12, s2
	s_add_i32 s12, s12, s2
	s_mul_hi_u32 s2, s18, s12
	s_mul_i32 s15, s2, s14
	s_sub_i32 s15, s18, s15
	s_add_i32 s12, s2, 1
	s_sub_i32 s18, s15, s14
	s_cmp_ge_u32 s15, s14
	s_cselect_b32 s2, s12, s2
	s_cselect_b32 s15, s18, s15
	s_add_i32 s12, s2, 1
	s_cmp_ge_u32 s15, s14
	s_cselect_b32 s2, s12, s2
	v_pk_mov_b32 v[18:19], s[2:3], s[2:3] op_sel:[0,1]
.LBB16_38:
	v_add_co_u32_e32 v18, vcc, v18, v22
	v_addc_co_u32_e32 v19, vcc, 0, v19, vcc
	s_branch .LBB16_41
.LBB16_39:
                                        ; implicit-def: $vgpr18_vgpr19
	s_cbranch_execz .LBB16_41
; %bb.40:
	v_mul_lo_u32 v18, v22, s8
	v_ashrrev_i32_e32 v19, 31, v18
	v_mov_b32_e32 v22, s7
	v_add_co_u32_e32 v18, vcc, s6, v18
	v_addc_co_u32_e32 v19, vcc, v19, v22, vcc
.LBB16_41:
	s_mov_b64 s[2:3], exec
.LBB16_42:
	s_or_b64 exec, exec, s[10:11]
	s_and_b64 vcc, exec, s[4:5]
	s_cbranch_vccz .LBB16_46
.LBB16_43:
	v_mov_b32_dpp v18, v20 quad_perm:[1,0,3,2] row_mask:0xf bank_mask:0xf
	v_cmp_gt_f32_e32 vcc, v20, v18
	v_cndmask_b32_e32 v18, v18, v20, vcc
	s_nop 1
	v_mov_b32_dpp v19, v18 quad_perm:[2,3,0,1] row_mask:0xf bank_mask:0xf
	v_cmp_gt_f32_e32 vcc, v18, v19
	v_cndmask_b32_e32 v18, v19, v18, vcc
	s_nop 1
	v_mov_b32_dpp v19, v18 row_half_mirror row_mask:0xf bank_mask:0xf
	v_cmp_gt_f32_e32 vcc, v18, v19
	v_cndmask_b32_e32 v18, v19, v18, vcc
	s_nop 1
	v_mov_b32_dpp v19, v18 row_mirror row_mask:0xf bank_mask:0xf
	v_cmp_gt_f32_e32 vcc, v18, v19
	v_cndmask_b32_e32 v18, v19, v18, vcc
	s_nop 1
	v_mov_b32_dpp v19, v18 row_bcast:15 row_mask:0xf bank_mask:0xf
	v_cmp_gt_f32_e32 vcc, v18, v19
	v_cndmask_b32_e32 v18, v19, v18, vcc
	s_nop 1
	v_mov_b32_dpp v19, v18 row_bcast:31 row_mask:0xf bank_mask:0xf
	s_and_saveexec_b64 s[2:3], s[0:1]
	s_cbranch_execz .LBB16_45
; %bb.44:
	v_lshrrev_b32_e32 v20, 4, v0
	v_cmp_gt_f32_e32 vcc, v18, v19
	v_and_b32_e32 v20, 60, v20
	v_cndmask_b32_e32 v18, v19, v18, vcc
	ds_write_b32 v20, v18
.LBB16_45:
	s_or_b64 exec, exec, s[2:3]
	s_waitcnt lgkmcnt(0)
	s_barrier
	ds_read_b32 v18, v26
	v_cmp_eq_u32_e64 s[2:3], 0, v0
	s_waitcnt lgkmcnt(0)
	v_mov_b32_dpp v19, v18 quad_perm:[1,0,3,2] row_mask:0xf bank_mask:0xf
	v_cmp_gt_f32_e32 vcc, v18, v19
	v_cndmask_b32_e32 v18, v19, v18, vcc
	s_nop 1
	v_mov_b32_dpp v19, v18 quad_perm:[2,3,0,1] row_mask:0xf bank_mask:0xf
	v_cmp_gt_f32_e32 vcc, v18, v19
	v_cndmask_b32_e32 v18, v19, v18, vcc
	v_mul_f32_e32 v21, 0x3b124925, v18
	v_pk_mov_b32 v[18:19], s[6:7], s[6:7] op_sel:[0,1]
.LBB16_46:
	s_and_saveexec_b64 s[0:1], s[2:3]
	s_cbranch_execz .LBB16_48
; %bb.47:
	v_lshlrev_b64 v[18:19], 2, v[18:19]
	v_mov_b32_e32 v0, s21
	v_add_co_u32_e32 v18, vcc, s20, v18
	v_addc_co_u32_e32 v19, vcc, v0, v19, vcc
	global_store_dword v[18:19], v21, off
.LBB16_48:
	s_or_b64 exec, exec, s[0:1]
	;;#ASMSTART
	v_rcp_f32 v18, v21
	;;#ASMEND
	v_mov_b32_e32 v19, v18
	;;#ASMSTART
	v_pk_mul_f32 v[16:17], v[16:17], v[18:19]
	;;#ASMEND
	s_add_i32 s0, s9, 3
	v_mov_b32_e32 v0, 0xc3e00000
	v_mov_b32_e32 v20, 0x43e00000
	;;#ASMSTART
	v_med3_f32 v16, v16, v0, v20
v_med3_f32 v17, v17, v0, v20
v_cvt_pk_fp8_f32 v21, v16, v17
	;;#ASMEND
	;;#ASMSTART
	v_pk_mul_f32 v[14:15], v[14:15], v[18:19]
	;;#ASMEND
	s_ashr_i32 s1, s0, 31
	;;#ASMSTART
	v_med3_f32 v14, v14, v0, v20
v_med3_f32 v15, v15, v0, v20
v_cvt_pk_fp8_f32 v16, v14, v15
	;;#ASMEND
	;;#ASMSTART
	v_pk_mul_f32 v[10:11], v[10:11], v[18:19]
	;;#ASMEND
	s_lshr_b32 s1, s1, 30
	s_mov_b32 s4, 0x5040100
	;;#ASMSTART
	v_med3_f32 v10, v10, v0, v20
v_med3_f32 v11, v11, v0, v20
v_cvt_pk_fp8_f32 v15, v10, v11
	;;#ASMEND
	;;#ASMSTART
	v_pk_mul_f32 v[6:7], v[6:7], v[18:19]
	;;#ASMEND
	s_add_i32 s0, s0, s1
	v_perm_b32 v14, v16, v21, s4
	s_mov_b32 s4, 0x1060504
	;;#ASMSTART
	v_med3_f32 v6, v6, v0, v20
v_med3_f32 v7, v7, v0, v20
v_cvt_pk_fp8_f32 v10, v6, v7
	;;#ASMEND
	s_and_b32 s2, s0, -4
	s_ashr_i32 s0, s13, 31
	v_perm_b32 v14, v14, v16, s4
	s_mov_b32 s4, 0x1000504
	;;#ASMSTART
	v_pk_mul_f32 v[6:7], v[12:13], v[18:19]
	;;#ASMEND
	s_mul_hi_u32 s1, s13, s6
	s_mul_i32 s0, s0, s6
	v_perm_b32 v15, v15, v10, s4
	;;#ASMSTART
	v_med3_f32 v6, v6, v0, v20
v_med3_f32 v7, v7, v0, v20
v_cvt_pk_fp8_f32 v10, v6, v7
	;;#ASMEND
	s_add_i32 s1, s1, s0
	s_mul_i32 s0, s13, s6
	;;#ASMSTART
	v_pk_mul_f32 v[6:7], v[8:9], v[18:19]
	;;#ASMEND
	s_add_u32 s0, s16, s0
	;;#ASMSTART
	v_med3_f32 v6, v6, v0, v20
v_med3_f32 v7, v7, v0, v20
v_cvt_pk_fp8_f32 v8, v6, v7
	;;#ASMEND
	;;#ASMSTART
	v_pk_mul_f32 v[4:5], v[4:5], v[18:19]
	;;#ASMEND
	s_addc_u32 s1, s17, s1
	;;#ASMSTART
	v_med3_f32 v4, v4, v0, v20
v_med3_f32 v5, v5, v0, v20
v_cvt_pk_fp8_f32 v6, v4, v5
	;;#ASMEND
	;;#ASMSTART
	v_pk_mul_f32 v[2:3], v[2:3], v[18:19]
	;;#ASMEND
	s_and_b32 s1, s1, 0xffff
	s_mov_b32 s3, 0x20000
	v_perm_b32 v16, v10, v8, s4
	;;#ASMSTART
	v_med3_f32 v2, v2, v0, v20
v_med3_f32 v3, v3, v0, v20
v_cvt_pk_fp8_f32 v0, v2, v3
	;;#ASMEND
	v_perm_b32 v17, v6, v0, s4
	buffer_store_dwordx4 v[14:17], v1, s[0:3], 0 offen
	;;#ASMSTART
	s_nop 0
	;;#ASMEND
.LBB16_49:
	s_endpgm
.LBB16_50:
                                        ; implicit-def: $vgpr18_vgpr19
	s_branch .LBB16_37
	.section	.rodata,"a",@progbits
	.p2align	6, 0x0
	.amdhsa_kernel _ZN5aiter24add_rmsnorm_quant_kernelItDB8_Li256ELi16ELb1ELb1ELb0ELi1EEEvPT0_PT_PfS5_S5_S5_diiiiiiib
		.amdhsa_group_segment_fixed_size 32
		.amdhsa_private_segment_fixed_size 0
		.amdhsa_kernarg_size 88
		.amdhsa_user_sgpr_count 6
		.amdhsa_user_sgpr_private_segment_buffer 1
		.amdhsa_user_sgpr_dispatch_ptr 0
		.amdhsa_user_sgpr_queue_ptr 0
		.amdhsa_user_sgpr_kernarg_segment_ptr 1
		.amdhsa_user_sgpr_dispatch_id 0
		.amdhsa_user_sgpr_flat_scratch_init 0
		.amdhsa_user_sgpr_kernarg_preload_length 0
		.amdhsa_user_sgpr_kernarg_preload_offset 0
		.amdhsa_user_sgpr_private_segment_size 0
		.amdhsa_uses_dynamic_stack 0
		.amdhsa_system_sgpr_private_segment_wavefront_offset 0
		.amdhsa_system_sgpr_workgroup_id_x 1
		.amdhsa_system_sgpr_workgroup_id_y 0
		.amdhsa_system_sgpr_workgroup_id_z 0
		.amdhsa_system_sgpr_workgroup_info 0
		.amdhsa_system_vgpr_workitem_id 0
		.amdhsa_next_free_vgpr 46
		.amdhsa_next_free_sgpr 40
		.amdhsa_accum_offset 48
		.amdhsa_reserve_vcc 1
		.amdhsa_reserve_flat_scratch 0
		.amdhsa_float_round_mode_32 0
		.amdhsa_float_round_mode_16_64 0
		.amdhsa_float_denorm_mode_32 3
		.amdhsa_float_denorm_mode_16_64 3
		.amdhsa_dx10_clamp 1
		.amdhsa_ieee_mode 1
		.amdhsa_fp16_overflow 0
		.amdhsa_tg_split 0
		.amdhsa_exception_fp_ieee_invalid_op 0
		.amdhsa_exception_fp_denorm_src 0
		.amdhsa_exception_fp_ieee_div_zero 0
		.amdhsa_exception_fp_ieee_overflow 0
		.amdhsa_exception_fp_ieee_underflow 0
		.amdhsa_exception_fp_ieee_inexact 0
		.amdhsa_exception_int_div_zero 0
	.end_amdhsa_kernel
	.section	.text._ZN5aiter24add_rmsnorm_quant_kernelItDB8_Li256ELi16ELb1ELb1ELb0ELi1EEEvPT0_PT_PfS5_S5_S5_diiiiiiib,"axG",@progbits,_ZN5aiter24add_rmsnorm_quant_kernelItDB8_Li256ELi16ELb1ELb1ELb0ELi1EEEvPT0_PT_PfS5_S5_S5_diiiiiiib,comdat
.Lfunc_end16:
	.size	_ZN5aiter24add_rmsnorm_quant_kernelItDB8_Li256ELi16ELb1ELb1ELb0ELi1EEEvPT0_PT_PfS5_S5_S5_diiiiiiib, .Lfunc_end16-_ZN5aiter24add_rmsnorm_quant_kernelItDB8_Li256ELi16ELb1ELb1ELb0ELi1EEEvPT0_PT_PfS5_S5_S5_diiiiiiib
                                        ; -- End function
	.section	.AMDGPU.csdata,"",@progbits
; Kernel info:
; codeLenInByte = 4056
; NumSgprs: 44
; NumVgprs: 46
; NumAgprs: 0
; TotalNumVgprs: 46
; ScratchSize: 0
; MemoryBound: 0
; FloatMode: 240
; IeeeMode: 1
; LDSByteSize: 32 bytes/workgroup (compile time only)
; SGPRBlocks: 5
; VGPRBlocks: 5
; NumSGPRsForWavesPerEU: 44
; NumVGPRsForWavesPerEU: 46
; AccumOffset: 48
; Occupancy: 8
; WaveLimiterHint : 0
; COMPUTE_PGM_RSRC2:SCRATCH_EN: 0
; COMPUTE_PGM_RSRC2:USER_SGPR: 6
; COMPUTE_PGM_RSRC2:TRAP_HANDLER: 0
; COMPUTE_PGM_RSRC2:TGID_X_EN: 1
; COMPUTE_PGM_RSRC2:TGID_Y_EN: 0
; COMPUTE_PGM_RSRC2:TGID_Z_EN: 0
; COMPUTE_PGM_RSRC2:TIDIG_COMP_CNT: 0
; COMPUTE_PGM_RSRC3_GFX90A:ACCUM_OFFSET: 11
; COMPUTE_PGM_RSRC3_GFX90A:TG_SPLIT: 0
	.section	.text._ZN5aiter24add_rmsnorm_quant_kernelIDF16_DB8_Li256ELi24ELb1ELb1ELb1ELi1EEEvPT0_PT_PfS5_S5_S5_diiiiiiib,"axG",@progbits,_ZN5aiter24add_rmsnorm_quant_kernelIDF16_DB8_Li256ELi24ELb1ELb1ELb1ELi1EEEvPT0_PT_PfS5_S5_S5_diiiiiiib,comdat
	.protected	_ZN5aiter24add_rmsnorm_quant_kernelIDF16_DB8_Li256ELi24ELb1ELb1ELb1ELi1EEEvPT0_PT_PfS5_S5_S5_diiiiiiib ; -- Begin function _ZN5aiter24add_rmsnorm_quant_kernelIDF16_DB8_Li256ELi24ELb1ELb1ELb1ELi1EEEvPT0_PT_PfS5_S5_S5_diiiiiiib
	.globl	_ZN5aiter24add_rmsnorm_quant_kernelIDF16_DB8_Li256ELi24ELb1ELb1ELb1ELi1EEEvPT0_PT_PfS5_S5_S5_diiiiiiib
	.p2align	8
	.type	_ZN5aiter24add_rmsnorm_quant_kernelIDF16_DB8_Li256ELi24ELb1ELb1ELb1ELi1EEEvPT0_PT_PfS5_S5_S5_diiiiiiib,@function
_ZN5aiter24add_rmsnorm_quant_kernelIDF16_DB8_Li256ELi24ELb1ELb1ELb1ELi1EEEvPT0_PT_PfS5_S5_S5_diiiiiiib: ; @_ZN5aiter24add_rmsnorm_quant_kernelIDF16_DB8_Li256ELi24ELb1ELb1ELb1ELi1EEEvPT0_PT_PfS5_S5_S5_diiiiiiib
; %bb.0:
	s_load_dwordx8 s[8:15], s[4:5], 0x38
	s_mov_b32 s7, 0
	s_waitcnt lgkmcnt(0)
	s_ashr_i32 s0, s8, 31
	v_mov_b32_e32 v2, s8
	v_mov_b32_e32 v3, s0
	v_cmp_ge_i64_e32 vcc, s[6:7], v[2:3]
	s_cbranch_vccnz .LBB17_49
; %bb.1:
	s_load_dwordx8 s[16:23], s[4:5], 0x0
	s_load_dwordx8 s[24:31], s[4:5], 0x20
	s_ashr_i32 s0, s10, 31
	s_mul_hi_u32 s1, s10, s6
	s_mul_i32 s0, s0, s6
	s_add_i32 s1, s1, s0
	s_mul_i32 s0, s10, s6
	s_lshl_b64 s[0:1], s[0:1], 1
	s_waitcnt lgkmcnt(0)
	s_add_u32 s0, s22, s0
	s_addc_u32 s1, s23, s1
	s_add_i32 s2, s9, 1
	s_lshr_b32 s3, s2, 31
	v_and_b32_e32 v2, 0x3c0, v0
	s_add_i32 s2, s2, s3
	v_lshlrev_b32_e32 v1, 3, v0
	v_mul_u32_u24_e32 v2, 24, v2
	s_movk_i32 s4, 0x1f8
	s_lshl_b32 s2, s2, 1
	v_and_or_b32 v38, v1, s4, v2
	s_and_b32 s2, s2, -4
	s_and_b32 s1, s1, 0xffff
	s_mov_b32 s3, 0x20000
	v_lshlrev_b32_e32 v1, 1, v38
	s_movk_i32 s5, 0x400
	s_movk_i32 s4, 0x800
	buffer_load_dwordx4 v[30:33], v1, s[0:3], s5 offen glc slc
	buffer_load_dwordx4 v[14:17], v1, s[0:3], 0 offen glc slc
	;; [unrolled: 1-line block ×3, first 2 shown]
	s_ashr_i32 s0, s11, 31
	s_mul_hi_u32 s1, s11, s6
	s_mul_i32 s0, s0, s6
	s_add_i32 s1, s1, s0
	s_mul_i32 s0, s11, s6
	s_and_b32 s37, s27, 0xffff
	s_lshl_b64 s[0:1], s[0:1], 1
	s_add_u32 s0, s24, s0
	s_addc_u32 s1, s25, s1
	s_and_b32 s1, s1, 0xffff
	buffer_load_dwordx4 v[34:37], v1, s[0:3], s5 offen glc slc
	buffer_load_dwordx4 v[26:29], v1, s[0:3], s4 offen glc slc
	;; [unrolled: 1-line block ×3, first 2 shown]
	s_mov_b32 s39, s3
	s_mov_b32 s36, s26
	;; [unrolled: 1-line block ×3, first 2 shown]
	buffer_load_dwordx4 v[10:13], v1, s[36:39], 0 offen
	buffer_load_dwordx4 v[6:9], v1, s[36:39], s5 offen
	;; [unrolled: 1-line block ×3, first 2 shown]
	s_ashr_i32 s10, s12, 31
	s_mul_hi_u32 s1, s12, s6
	s_mul_i32 s10, s10, s6
	s_mul_i32 s0, s12, s6
	s_add_i32 s1, s1, s10
	s_lshl_b64 s[0:1], s[0:1], 1
	s_add_u32 s0, s18, s0
	s_addc_u32 s1, s19, s1
	s_and_b32 s1, s1, 0xffff
	s_waitcnt vmcnt(8)
	v_cvt_f32_f16_e32 v40, v30
	v_cvt_f32_f16_sdwa v41, v30 dst_sel:DWORD dst_unused:UNUSED_PAD src0_sel:WORD_1
	s_waitcnt vmcnt(6)
	v_cvt_f32_f16_e32 v48, v24
	v_cvt_f32_f16_sdwa v49, v24 dst_sel:DWORD dst_unused:UNUSED_PAD src0_sel:WORD_1
	v_cvt_f32_f16_e32 v50, v25
	v_cvt_f32_f16_sdwa v51, v25 dst_sel:DWORD dst_unused:UNUSED_PAD src0_sel:WORD_1
	;; [unrolled: 2-line block ×4, first 2 shown]
	v_cvt_f32_f16_e32 v44, v33
	s_waitcnt vmcnt(5)
	v_cvt_f32_f16_e32 v24, v34
	v_cvt_f32_f16_sdwa v25, v34 dst_sel:DWORD dst_unused:UNUSED_PAD src0_sel:WORD_1
	v_cvt_f32_f16_sdwa v45, v33 dst_sel:DWORD dst_unused:UNUSED_PAD src0_sel:WORD_1
	v_cvt_f32_f16_e32 v32, v35
	v_cvt_f32_f16_sdwa v33, v35 dst_sel:DWORD dst_unused:UNUSED_PAD src0_sel:WORD_1
	v_cvt_f32_f16_e32 v52, v36
	;; [unrolled: 2-line block ×3, first 2 shown]
	v_cvt_f32_f16_sdwa v55, v37 dst_sel:DWORD dst_unused:UNUSED_PAD src0_sel:WORD_1
	s_waitcnt vmcnt(3)
	v_cvt_f32_f16_e32 v64, v18
	v_cvt_f32_f16_sdwa v65, v18 dst_sel:DWORD dst_unused:UNUSED_PAD src0_sel:WORD_1
	v_pk_add_f32 v[36:37], v[40:41], v[24:25]
	v_cvt_f32_f16_e32 v40, v15
	v_cvt_f32_f16_sdwa v41, v15 dst_sel:DWORD dst_unused:UNUSED_PAD src0_sel:WORD_1
	v_cvt_f32_f16_e32 v18, v19
	v_cvt_f32_f16_sdwa v19, v19 dst_sel:DWORD dst_unused:UNUSED_PAD src0_sel:WORD_1
	;; [unrolled: 2-line block ×3, first 2 shown]
	v_pk_add_f32 v[34:35], v[30:31], v[32:33]
	v_pk_add_f32 v[32:33], v[42:43], v[52:53]
	;; [unrolled: 1-line block ×4, first 2 shown]
	v_cvt_f32_f16_e32 v40, v16
	v_cvt_f32_f16_sdwa v41, v16 dst_sel:DWORD dst_unused:UNUSED_PAD src0_sel:WORD_1
	v_cvt_f32_f16_e32 v42, v20
	v_cvt_f32_f16_sdwa v43, v20 dst_sel:DWORD dst_unused:UNUSED_PAD src0_sel:WORD_1
	;; [unrolled: 2-line block ×6, first 2 shown]
	v_pk_add_f32 v[14:15], v[62:63], v[64:65]
	v_pk_add_f32 v[16:17], v[40:41], v[42:43]
	;; [unrolled: 1-line block ×3, first 2 shown]
	v_cvt_f32_f16_e32 v58, v28
	v_cvt_f32_f16_sdwa v59, v28 dst_sel:DWORD dst_unused:UNUSED_PAD src0_sel:WORD_1
	v_cvt_f32_f16_e32 v60, v29
	v_cvt_f32_f16_sdwa v61, v29 dst_sel:DWORD dst_unused:UNUSED_PAD src0_sel:WORD_1
	v_pk_add_f32 v[28:29], v[46:47], v[56:57]
	v_cvt_f16_f32_e32 v39, v15
	v_cvt_f16_f32_e32 v46, v19
	v_cvt_f16_f32_e32 v40, v17
	v_cvt_f16_f32_e32 v41, v21
	v_cvt_f16_f32_e32 v42, v20
	v_cvt_f16_f32_e32 v44, v16
	v_cvt_f16_f32_e32 v45, v18
	v_cvt_f16_f32_e32 v47, v14
	v_pack_b32_f16 v43, v42, v41
	v_pack_b32_f16 v42, v44, v40
	;; [unrolled: 1-line block ×4, first 2 shown]
	v_cvt_f32_f16_e32 v22, v23
	v_cvt_f32_f16_sdwa v23, v23 dst_sel:DWORD dst_unused:UNUSED_PAD src0_sel:WORD_1
	v_cvt_f32_f16_e32 v26, v27
	v_cvt_f32_f16_sdwa v27, v27 dst_sel:DWORD dst_unused:UNUSED_PAD src0_sel:WORD_1
	buffer_store_dwordx4 v[40:43], v1, s[0:3], 0 offen glc slc
	v_cvt_f16_f32_e32 v39, v36
	v_cvt_f16_f32_e32 v40, v34
	;; [unrolled: 1-line block ×8, first 2 shown]
	v_pk_add_f32 v[26:27], v[22:23], v[26:27]
	v_pk_add_f32 v[24:25], v[48:49], v[58:59]
	;; [unrolled: 1-line block ×3, first 2 shown]
	v_pack_b32_f16 v43, v42, v43
	v_pack_b32_f16 v42, v41, v44
	;; [unrolled: 1-line block ×4, first 2 shown]
	;;#ASMSTART
	s_nop 0
	;;#ASMEND
	buffer_store_dwordx4 v[40:43], v1, s[0:3], s5 offen glc slc
	v_cvt_f16_f32_e32 v39, v28
	v_cvt_f16_f32_e32 v40, v26
	;; [unrolled: 1-line block ×8, first 2 shown]
	v_pack_b32_f16 v43, v42, v43
	v_pack_b32_f16 v42, v41, v44
	;; [unrolled: 1-line block ×4, first 2 shown]
	;;#ASMSTART
	s_nop 0
	;;#ASMEND
	buffer_store_dwordx4 v[40:43], v1, s[0:3], s4 offen glc slc
	v_pk_mul_f32 v[40:41], v[14:15], v[14:15]
	v_pk_mul_f32 v[42:43], v[18:19], v[18:19]
	v_add_f32_e32 v1, v40, v41
	v_add_f32_e32 v1, v42, v1
	v_pk_mul_f32 v[44:45], v[16:17], v[16:17]
	v_add_f32_e32 v1, v43, v1
	v_add_f32_e32 v1, v44, v1
	;; [unrolled: 3-line block ×11, first 2 shown]
	v_add_f32_e32 v1, v41, v1
	v_and_b32_e32 v40, 63, v0
	v_cmp_eq_u32_e64 s[0:1], 63, v40
	v_mov_b32_dpp v39, v1 quad_perm:[1,0,3,2] row_mask:0xf bank_mask:0xf
	v_add_f32_e32 v1, v1, v39
	;;#ASMSTART
	s_nop 0
	;;#ASMEND
	s_nop 1
	v_mov_b32_dpp v39, v1 quad_perm:[2,3,0,1] row_mask:0xf bank_mask:0xf
	v_add_f32_e32 v1, v1, v39
	s_nop 1
	v_mov_b32_dpp v39, v1 row_half_mirror row_mask:0xf bank_mask:0xf
	v_add_f32_e32 v1, v1, v39
	s_nop 1
	v_mov_b32_dpp v39, v1 row_mirror row_mask:0xf bank_mask:0xf
	v_add_f32_e32 v1, v1, v39
	s_nop 1
	v_mov_b32_dpp v39, v1 row_bcast:15 row_mask:0xf bank_mask:0xf
	v_add_f32_e32 v1, v1, v39
	s_nop 1
	v_mov_b32_dpp v39, v1 row_bcast:31 row_mask:0xf bank_mask:0xf
	s_and_saveexec_b64 s[2:3], s[0:1]
	s_cbranch_execz .LBB17_3
; %bb.2:
	v_lshrrev_b32_e32 v40, 4, v0
	v_and_b32_e32 v40, 60, v40
	v_add_f32_e32 v1, v1, v39
	ds_write_b32 v40, v1 offset:16
.LBB17_3:
	s_or_b64 exec, exec, s[2:3]
	v_and_b32_e32 v1, 3, v0
	v_lshlrev_b32_e32 v1, 2, v1
	s_waitcnt lgkmcnt(0)
	s_barrier
	ds_read_b32 v39, v1 offset:16
	v_cvt_f32_i32_e32 v40, s9
	s_waitcnt vmcnt(5)
	v_cvt_f32_f16_sdwa v47, v13 dst_sel:DWORD dst_unused:UNUSED_PAD src0_sel:WORD_1
	v_cvt_f32_f16_e32 v46, v13
	s_waitcnt vmcnt(4)
	v_cvt_f32_f16_sdwa v13, v7 dst_sel:DWORD dst_unused:UNUSED_PAD src0_sel:WORD_1
	s_waitcnt lgkmcnt(0)
	v_mov_b32_dpp v41, v39 quad_perm:[1,0,3,2] row_mask:0xf bank_mask:0xf
	v_add_f32_e32 v39, v39, v41
	s_cmp_lg_u32 s14, 0
	s_nop 0
	v_mov_b32_dpp v41, v39 quad_perm:[2,3,0,1] row_mask:0xf bank_mask:0xf
	v_add_f32_e32 v39, v39, v41
	v_div_scale_f32 v41, s[2:3], v40, v40, v39
	v_rcp_f32_e32 v42, v41
	v_div_scale_f32 v43, vcc, v39, v40, v39
	s_mov_b32 s2, 0x800000
	v_fma_f32 v44, -v41, v42, 1.0
	v_fmac_f32_e32 v42, v44, v42
	v_mul_f32_e32 v44, v43, v42
	v_fma_f32 v45, -v41, v44, v43
	v_fmac_f32_e32 v44, v45, v42
	v_fma_f32 v41, -v41, v44, v43
	v_div_fmas_f32 v41, v41, v42, v44
	v_div_fixup_f32 v39, v41, v40, v39
	v_cvt_f64_f32_e32 v[40:41], v39
	v_add_f64 v[40:41], v[40:41], s[28:29]
	v_cvt_f32_f64_e32 v39, v[40:41]
	v_mul_f32_e32 v40, 0x4b800000, v39
	v_cmp_gt_f32_e32 vcc, s2, v39
	v_cndmask_b32_e32 v39, v39, v40, vcc
	v_rsq_f32_e32 v39, v39
	v_mul_f32_e32 v40, 0x45800000, v39
	v_cndmask_b32_e32 v40, v39, v40, vcc
	v_mov_b32_e32 v41, v40
	;;#ASMSTART
	v_pk_mul_f32 v[14:15], v[14:15], v[40:41]
	;;#ASMEND
	;;#ASMSTART
	v_pk_mul_f32 v[18:19], v[18:19], v[40:41]
	;;#ASMEND
	;; [unrolled: 3-line block ×12, first 2 shown]
	v_cvt_f32_f16_sdwa v21, v10 dst_sel:DWORD dst_unused:UNUSED_PAD src0_sel:WORD_1
	v_cvt_f32_f16_e32 v20, v10
	v_cvt_f32_f16_sdwa v23, v11 dst_sel:DWORD dst_unused:UNUSED_PAD src0_sel:WORD_1
	v_cvt_f32_f16_e32 v22, v11
	;; [unrolled: 2-line block ×3, first 2 shown]
	;;#ASMSTART
	v_pk_mul_f32 v[24:25], v[14:15], v[20:21]
	;;#ASMEND
	;;#ASMSTART
	v_pk_mul_f32 v[22:23], v[18:19], v[22:23]
	;;#ASMEND
	;;#ASMSTART
	v_pk_mul_f32 v[20:21], v[16:17], v[10:11]
	;;#ASMEND
	v_cvt_f32_f16_sdwa v11, v6 dst_sel:DWORD dst_unused:UNUSED_PAD src0_sel:WORD_1
	v_cvt_f32_f16_e32 v10, v6
	v_cvt_f32_f16_e32 v12, v7
	v_cvt_f32_f16_sdwa v7, v8 dst_sel:DWORD dst_unused:UNUSED_PAD src0_sel:WORD_1
	v_cvt_f32_f16_e32 v6, v8
	;;#ASMSTART
	v_pk_mul_f32 v[16:17], v[42:43], v[46:47]
	;;#ASMEND
	;;#ASMSTART
	v_pk_mul_f32 v[18:19], v[36:37], v[10:11]
	;;#ASMEND
	;; [unrolled: 3-line block ×4, first 2 shown]
	s_waitcnt vmcnt(3)
	v_cvt_f32_f16_sdwa v7, v2 dst_sel:DWORD dst_unused:UNUSED_PAD src0_sel:WORD_1
	v_cvt_f32_f16_e32 v6, v2
	v_cvt_f32_f16_sdwa v43, v9 dst_sel:DWORD dst_unused:UNUSED_PAD src0_sel:WORD_1
	v_cvt_f32_f16_e32 v42, v9
	;;#ASMSTART
	v_pk_mul_f32 v[8:9], v[30:31], v[42:43]
	;;#ASMEND
	v_cvt_f32_f16_sdwa v31, v3 dst_sel:DWORD dst_unused:UNUSED_PAD src0_sel:WORD_1
	v_cvt_f32_f16_e32 v30, v3
	v_cvt_f32_f16_sdwa v3, v4 dst_sel:DWORD dst_unused:UNUSED_PAD src0_sel:WORD_1
	v_cvt_f32_f16_e32 v2, v4
	;;#ASMSTART
	v_pk_mul_f32 v[10:11], v[28:29], v[6:7]
	;;#ASMEND
	;;#ASMSTART
	v_pk_mul_f32 v[6:7], v[26:27], v[30:31]
	;;#ASMEND
	v_and_b32_e32 v26, 0x7fffffff, v24
	v_mov_b32_e32 v28, 0x2edbe6ff
	v_cvt_f32_f16_sdwa v33, v5 dst_sel:DWORD dst_unused:UNUSED_PAD src0_sel:WORD_1
	v_cvt_f32_f16_e32 v32, v5
	;;#ASMSTART
	v_pk_mul_f32 v[4:5], v[44:45], v[2:3]
	;;#ASMEND
	;;#ASMSTART
	v_pk_mul_f32 v[2:3], v[40:41], v[32:33]
	;;#ASMEND
	v_and_b32_e32 v27, 0x7fffffff, v25
	;;#ASMSTART
	v_max3_f32 v26, v28, v26, v27

	;;#ASMEND
	v_and_b32_e32 v28, 0x7fffffff, v23
	v_and_b32_e32 v27, 0x7fffffff, v22
	;;#ASMSTART
	v_max3_f32 v26, v26, v27, v28

	;;#ASMEND
	v_and_b32_e32 v28, 0x7fffffff, v21
	;; [unrolled: 6-line block ×11, first 2 shown]
	v_and_b32_e32 v27, 0x7fffffff, v2
	;;#ASMSTART
	v_max3_f32 v28, v26, v27, v28

	;;#ASMEND
	s_cbranch_scc0 .LBB17_10
; %bb.4:
	s_mul_hi_i32 s2, s14, 0x2aaaaaab
	s_lshr_b32 s3, s2, 31
	s_ashr_i32 s4, s2, 2
	s_add_i32 s4, s4, s3
	s_cmp_lt_i32 s4, 16
	s_cbranch_scc1 .LBB17_11
; %bb.5:
	s_cmp_lt_i32 s4, 32
	s_cbranch_scc1 .LBB17_12
; %bb.6:
	;; [unrolled: 3-line block ×3, first 2 shown]
	s_cmp_eq_u32 s4, 64
	v_mov_b32_e32 v26, v28
	s_cbranch_scc0 .LBB17_9
; %bb.8:
	s_nop 0
	v_mov_b32_dpp v26, v28 quad_perm:[1,0,3,2] row_mask:0xf bank_mask:0xf
	v_cmp_gt_f32_e32 vcc, v28, v26
	v_cndmask_b32_e32 v26, v26, v28, vcc
	v_bfrev_b32_e32 v29, 0.5
	s_nop 0
	v_mov_b32_dpp v27, v26 quad_perm:[2,3,0,1] row_mask:0xf bank_mask:0xf
	v_cmp_gt_f32_e32 vcc, v26, v27
	v_cndmask_b32_e32 v26, v27, v26, vcc
	s_nop 1
	v_mov_b32_dpp v27, v26 row_ror:4 row_mask:0xf bank_mask:0xf
	v_cmp_gt_f32_e32 vcc, v26, v27
	v_cndmask_b32_e32 v26, v27, v26, vcc
	s_nop 1
	v_mov_b32_dpp v27, v26 row_ror:8 row_mask:0xf bank_mask:0xf
	v_cmp_gt_f32_e32 vcc, v26, v27
	v_cndmask_b32_e32 v26, v27, v26, vcc
	s_nop 1
	v_mov_b32_dpp v27, v26 row_bcast:15 row_mask:0xf bank_mask:0xf
	v_cmp_gt_f32_e32 vcc, v26, v27
	v_cndmask_b32_e32 v26, v27, v26, vcc
	s_nop 1
	v_mov_b32_dpp v27, v26 row_bcast:31 row_mask:0xf bank_mask:0xf
	v_cmp_gt_f32_e32 vcc, v26, v27
	v_cndmask_b32_e32 v26, v27, v26, vcc
	v_mbcnt_lo_u32_b32 v27, -1, 0
	v_mbcnt_hi_u32_b32 v27, -1, v27
	v_lshl_or_b32 v27, v27, 2, v29
	ds_bpermute_b32 v26, v27, v26
.LBB17_9:
	s_mov_b64 s[2:3], 0
	s_branch .LBB17_14
.LBB17_10:
	s_mov_b64 s[2:3], 0
                                        ; implicit-def: $vgpr29
                                        ; implicit-def: $vgpr26_vgpr27
	s_cbranch_execnz .LBB17_43
	s_branch .LBB17_46
.LBB17_11:
                                        ; implicit-def: $vgpr26
	s_branch .LBB17_21
.LBB17_12:
                                        ; implicit-def: $vgpr26
	s_branch .LBB17_18
.LBB17_13:
	s_mov_b64 s[2:3], -1
                                        ; implicit-def: $vgpr26
.LBB17_14:
	s_andn2_b64 vcc, exec, s[2:3]
	s_cbranch_vccnz .LBB17_17
; %bb.15:
	s_cmp_eq_u32 s4, 32
	s_waitcnt lgkmcnt(0)
	v_mov_b32_e32 v26, v28
	s_cbranch_scc0 .LBB17_17
; %bb.16:
	s_nop 0
	v_mov_b32_dpp v26, v28 quad_perm:[1,0,3,2] row_mask:0xf bank_mask:0xf
	v_cmp_gt_f32_e32 vcc, v28, v26
	v_cndmask_b32_e32 v26, v26, v28, vcc
	v_mov_b32_e32 v29, 0x7c
	s_nop 0
	v_mov_b32_dpp v27, v26 quad_perm:[2,3,0,1] row_mask:0xf bank_mask:0xf
	v_cmp_gt_f32_e32 vcc, v26, v27
	v_cndmask_b32_e32 v26, v27, v26, vcc
	s_nop 1
	v_mov_b32_dpp v27, v26 row_half_mirror row_mask:0xf bank_mask:0xf
	v_cmp_gt_f32_e32 vcc, v26, v27
	v_cndmask_b32_e32 v26, v27, v26, vcc
	s_nop 1
	v_mov_b32_dpp v27, v26 row_mirror row_mask:0xf bank_mask:0xf
	v_cmp_gt_f32_e32 vcc, v26, v27
	v_cndmask_b32_e32 v26, v27, v26, vcc
	s_nop 1
	v_mov_b32_dpp v27, v26 row_bcast:15 row_mask:0xa bank_mask:0xf
	v_cmp_gt_f32_e32 vcc, v26, v27
	v_cndmask_b32_e32 v26, v27, v26, vcc
	v_mbcnt_lo_u32_b32 v27, -1, 0
	v_mbcnt_hi_u32_b32 v27, -1, v27
	v_lshl_or_b32 v27, v27, 2, v29
	ds_bpermute_b32 v26, v27, v26
.LBB17_17:
	s_cbranch_execnz .LBB17_20
.LBB17_18:
	s_cmp_eq_u32 s4, 16
	s_waitcnt lgkmcnt(0)
	v_mov_b32_e32 v26, v28
	s_cbranch_scc0 .LBB17_20
; %bb.19:
	s_nop 0
	v_mov_b32_dpp v26, v28 quad_perm:[1,0,3,2] row_mask:0xf bank_mask:0xf
	v_cmp_gt_f32_e32 vcc, v28, v26
	v_cndmask_b32_e32 v26, v26, v28, vcc
	s_nop 1
	v_mov_b32_dpp v27, v26 quad_perm:[2,3,0,1] row_mask:0xf bank_mask:0xf
	v_cmp_gt_f32_e32 vcc, v26, v27
	v_cndmask_b32_e32 v26, v27, v26, vcc
	s_nop 1
	v_mov_b32_dpp v27, v26 row_half_mirror row_mask:0xf bank_mask:0xf
	v_cmp_gt_f32_e32 vcc, v26, v27
	v_cndmask_b32_e32 v26, v27, v26, vcc
	s_nop 1
	v_mov_b32_dpp v27, v26 row_mirror row_mask:0xf bank_mask:0xf
	v_cmp_gt_f32_e32 vcc, v26, v27
	v_cndmask_b32_e32 v26, v27, v26, vcc
.LBB17_20:
	s_cbranch_execnz .LBB17_33
.LBB17_21:
	s_cmp_lt_i32 s4, 4
	s_cbranch_scc1 .LBB17_25
; %bb.22:
	s_cmp_lt_i32 s4, 8
	s_cbranch_scc1 .LBB17_26
; %bb.23:
	s_cmp_eq_u32 s4, 8
	s_waitcnt lgkmcnt(0)
	v_mov_b32_e32 v26, v28
	s_cbranch_scc0 .LBB17_27
; %bb.24:
	s_nop 0
	v_mov_b32_dpp v26, v28 quad_perm:[1,0,3,2] row_mask:0xf bank_mask:0xf
	v_cmp_gt_f32_e32 vcc, v28, v26
	v_cndmask_b32_e32 v26, v26, v28, vcc
	s_nop 1
	v_mov_b32_dpp v27, v26 quad_perm:[2,3,0,1] row_mask:0xf bank_mask:0xf
	v_cmp_gt_f32_e32 vcc, v26, v27
	v_cndmask_b32_e32 v26, v27, v26, vcc
	s_nop 1
	v_mov_b32_dpp v27, v26 row_half_mirror row_mask:0xf bank_mask:0xf
	v_cmp_gt_f32_e32 vcc, v26, v27
	v_cndmask_b32_e32 v26, v27, v26, vcc
	s_cbranch_execz .LBB17_28
	s_branch .LBB17_30
.LBB17_25:
                                        ; implicit-def: $vgpr26
	s_branch .LBB17_31
.LBB17_26:
                                        ; implicit-def: $vgpr26
	s_branch .LBB17_28
.LBB17_27:
	s_cbranch_execnz .LBB17_30
.LBB17_28:
	s_cmp_eq_u32 s4, 4
	s_waitcnt lgkmcnt(0)
	v_mov_b32_e32 v26, v28
	s_cbranch_scc0 .LBB17_30
; %bb.29:
	s_nop 0
	v_mov_b32_dpp v26, v28 quad_perm:[1,0,3,2] row_mask:0xf bank_mask:0xf
	v_cmp_gt_f32_e32 vcc, v28, v26
	v_cndmask_b32_e32 v26, v26, v28, vcc
	s_nop 1
	v_mov_b32_dpp v27, v26 quad_perm:[2,3,0,1] row_mask:0xf bank_mask:0xf
	v_cmp_gt_f32_e32 vcc, v26, v27
	v_cndmask_b32_e32 v26, v27, v26, vcc
.LBB17_30:
	s_cbranch_execnz .LBB17_33
.LBB17_31:
	s_cmp_lg_u32 s4, 2
	s_waitcnt lgkmcnt(0)
	v_mov_b32_e32 v26, v28
	s_cbranch_scc1 .LBB17_33
; %bb.32:
	s_nop 0
	v_mov_b32_dpp v26, v28 quad_perm:[1,0,3,2] row_mask:0xf bank_mask:0xf
	v_cmp_gt_f32_e32 vcc, v28, v26
	v_cndmask_b32_e32 v26, v26, v28, vcc
.LBB17_33:
	v_cvt_f32_u32_e32 v27, s4
	s_waitcnt lgkmcnt(0)
	v_mul_f32_e32 v29, 0x3b124925, v26
	s_sub_i32 s2, 0, s4
	v_rcp_iflag_f32_e32 v27, v27
	v_mul_f32_e32 v26, 0x4f7ffffe, v27
	v_cvt_u32_f32_e32 v26, v26
	v_mul_u32_u24_e32 v27, 24, v0
	v_cmp_gt_u32_e32 vcc, s9, v27
	v_mul_lo_u32 v27, s2, v26
	v_mul_hi_u32 v27, v26, v27
	v_add_u32_e32 v26, v26, v27
	v_mul_hi_u32 v26, v0, v26
	v_mul_lo_u32 v27, v26, s4
	v_sub_u32_e32 v27, v0, v27
	v_add_u32_e32 v30, 1, v26
	v_cmp_le_u32_e64 s[2:3], s4, v27
	v_cndmask_b32_e64 v26, v26, v30, s[2:3]
	v_subrev_u32_e32 v30, s4, v27
	v_cndmask_b32_e64 v27, v27, v30, s[2:3]
	v_add_u32_e32 v30, 1, v26
	v_cmp_le_u32_e64 s[2:3], s4, v27
	v_cndmask_b32_e64 v30, v26, v30, s[2:3]
	v_mul_lo_u32 v26, v30, s4
	v_sub_u32_e32 v26, v0, v26
	v_cmp_eq_u32_e64 s[2:3], 0, v26
	s_and_b64 s[10:11], s[2:3], vcc
	s_mov_b64 s[4:5], 0
	s_mov_b64 s[2:3], 0
                                        ; implicit-def: $vgpr26_vgpr27
	s_and_saveexec_b64 s[18:19], s[10:11]
	s_xor_b64 s[10:11], exec, s[18:19]
	s_cbranch_execz .LBB17_42
; %bb.34:
	s_bitcmp0_b32 s15, 0
	s_cbranch_scc0 .LBB17_39
; %bb.35:
	s_ashr_i32 s2, s9, 31
	s_mul_hi_u32 s3, s9, s6
	s_mul_i32 s2, s2, s6
	s_add_i32 s19, s3, s2
	s_mul_i32 s18, s9, s6
	s_ashr_i32 s15, s14, 31
	s_or_b64 s[2:3], s[18:19], s[14:15]
	s_mov_b32 s2, 0
	s_cmp_lg_u64 s[2:3], 0
	s_cbranch_scc0 .LBB17_50
; %bb.36:
	s_add_u32 s2, s14, s15
	s_mov_b32 s24, s15
	s_mov_b32 s25, s15
	s_addc_u32 s3, s15, s15
	s_xor_b64 s[26:27], s[2:3], s[24:25]
	v_cvt_f32_u32_e32 v26, s26
	v_cvt_f32_u32_e32 v27, s27
	s_sub_u32 s2, 0, s26
	s_subb_u32 s3, 0, s27
	v_madmk_f32 v26, v27, 0x4f800000, v26
	v_rcp_f32_e32 v26, v26
	v_mul_f32_e32 v26, 0x5f7ffffc, v26
	v_mul_f32_e32 v27, 0x2f800000, v26
	v_trunc_f32_e32 v27, v27
	v_madmk_f32 v26, v27, 0xcf800000, v26
	v_cvt_u32_f32_e32 v27, v27
	v_cvt_u32_f32_e32 v26, v26
	v_readfirstlane_b32 s12, v27
	v_readfirstlane_b32 s15, v26
	s_mul_i32 s28, s2, s12
	s_mul_hi_u32 s30, s2, s15
	s_mul_i32 s29, s3, s15
	s_add_i32 s28, s30, s28
	s_add_i32 s28, s28, s29
	s_mul_i32 s31, s2, s15
	s_mul_hi_u32 s29, s15, s28
	s_mul_i32 s30, s15, s28
	s_mul_hi_u32 s15, s15, s31
	s_add_u32 s15, s15, s30
	s_addc_u32 s29, 0, s29
	s_mul_hi_u32 s33, s12, s31
	s_mul_i32 s31, s12, s31
	s_add_u32 s15, s15, s31
	s_mul_hi_u32 s30, s12, s28
	s_addc_u32 s15, s29, s33
	s_addc_u32 s29, s30, 0
	s_mul_i32 s28, s12, s28
	s_add_u32 s15, s15, s28
	s_addc_u32 s28, 0, s29
	v_add_co_u32_e32 v26, vcc, s15, v26
	s_cmp_lg_u64 vcc, 0
	s_addc_u32 s12, s12, s28
	v_readfirstlane_b32 s28, v26
	s_mul_i32 s15, s2, s12
	s_mul_hi_u32 s29, s2, s28
	s_add_i32 s15, s29, s15
	s_mul_i32 s3, s3, s28
	s_add_i32 s15, s15, s3
	s_mul_i32 s2, s2, s28
	s_mul_hi_u32 s29, s12, s2
	s_mul_i32 s30, s12, s2
	s_mul_i32 s33, s28, s15
	s_mul_hi_u32 s2, s28, s2
	s_mul_hi_u32 s31, s28, s15
	s_add_u32 s2, s2, s33
	s_addc_u32 s28, 0, s31
	s_add_u32 s2, s2, s30
	s_mul_hi_u32 s3, s12, s15
	s_addc_u32 s2, s28, s29
	s_addc_u32 s3, s3, 0
	s_mul_i32 s15, s12, s15
	s_add_u32 s2, s2, s15
	s_addc_u32 s3, 0, s3
	v_add_co_u32_e32 v26, vcc, s2, v26
	s_cmp_lg_u64 vcc, 0
	s_addc_u32 s12, s12, s3
	s_ashr_i32 s28, s19, 31
	s_add_u32 s2, s18, s28
	s_mov_b32 s29, s28
	s_addc_u32 s3, s19, s28
	s_xor_b64 s[30:31], s[2:3], s[28:29]
	v_readfirstlane_b32 s15, v26
	s_mul_i32 s3, s30, s12
	s_mul_hi_u32 s19, s30, s15
	s_mul_hi_u32 s2, s30, s12
	s_add_u32 s3, s19, s3
	s_addc_u32 s2, 0, s2
	s_mul_hi_u32 s33, s31, s15
	s_mul_i32 s15, s31, s15
	s_add_u32 s3, s3, s15
	s_mul_hi_u32 s19, s31, s12
	s_addc_u32 s2, s2, s33
	s_addc_u32 s3, s19, 0
	s_mul_i32 s12, s31, s12
	s_add_u32 s12, s2, s12
	s_addc_u32 s15, 0, s3
	s_mul_i32 s2, s26, s15
	s_mul_hi_u32 s3, s26, s12
	s_add_i32 s2, s3, s2
	s_mul_i32 s3, s27, s12
	s_add_i32 s19, s2, s3
	s_mul_i32 s3, s26, s12
	v_mov_b32_e32 v26, s3
	s_sub_i32 s2, s31, s19
	v_sub_co_u32_e32 v26, vcc, s30, v26
	s_cmp_lg_u64 vcc, 0
	s_subb_u32 s30, s2, s27
	v_subrev_co_u32_e64 v27, s[2:3], s26, v26
	s_cmp_lg_u64 s[2:3], 0
	s_subb_u32 s30, s30, 0
	s_cmp_ge_u32 s30, s27
	s_cselect_b32 s33, -1, 0
	v_cmp_le_u32_e64 s[2:3], s26, v27
	s_cmp_eq_u32 s30, s27
	v_cndmask_b32_e64 v27, 0, -1, s[2:3]
	v_mov_b32_e32 v31, s33
	s_cselect_b64 s[2:3], -1, 0
	v_cndmask_b32_e64 v27, v31, v27, s[2:3]
	s_add_u32 s2, s12, 1
	s_addc_u32 s30, s15, 0
	s_add_u32 s3, s12, 2
	s_addc_u32 s33, s15, 0
	v_mov_b32_e32 v31, s2
	v_mov_b32_e32 v32, s3
	v_cmp_ne_u32_e64 s[2:3], 0, v27
	v_cndmask_b32_e64 v27, v31, v32, s[2:3]
	v_mov_b32_e32 v31, s30
	v_mov_b32_e32 v32, s33
	s_cmp_lg_u64 vcc, 0
	v_cndmask_b32_e64 v31, v31, v32, s[2:3]
	s_subb_u32 s2, s31, s19
	s_cmp_ge_u32 s2, s27
	s_cselect_b32 s3, -1, 0
	v_cmp_le_u32_e32 vcc, s26, v26
	s_cmp_eq_u32 s2, s27
	v_cndmask_b32_e64 v26, 0, -1, vcc
	v_mov_b32_e32 v32, s3
	s_cselect_b64 vcc, -1, 0
	v_cndmask_b32_e32 v26, v32, v26, vcc
	v_mov_b32_e32 v32, s15
	v_cmp_ne_u32_e32 vcc, 0, v26
	v_cndmask_b32_e32 v26, v32, v31, vcc
	v_mov_b32_e32 v31, s12
	v_cndmask_b32_e32 v27, v31, v27, vcc
	s_xor_b64 s[2:3], s[28:29], s[24:25]
	v_xor_b32_e32 v27, s2, v27
	v_xor_b32_e32 v31, s3, v26
	v_mov_b32_e32 v32, s3
	v_subrev_co_u32_e32 v26, vcc, s2, v27
	v_subb_co_u32_e32 v27, vcc, v31, v32, vcc
	s_cbranch_execnz .LBB17_38
.LBB17_37:
	v_cvt_f32_u32_e32 v26, s14
	s_sub_i32 s2, 0, s14
	s_mov_b32 s3, 0
	v_rcp_iflag_f32_e32 v26, v26
	v_mul_f32_e32 v26, 0x4f7ffffe, v26
	v_cvt_u32_f32_e32 v26, v26
	v_readfirstlane_b32 s12, v26
	s_mul_i32 s2, s2, s12
	s_mul_hi_u32 s2, s12, s2
	s_add_i32 s12, s12, s2
	s_mul_hi_u32 s2, s18, s12
	s_mul_i32 s15, s2, s14
	s_sub_i32 s15, s18, s15
	s_add_i32 s12, s2, 1
	s_sub_i32 s18, s15, s14
	s_cmp_ge_u32 s15, s14
	s_cselect_b32 s2, s12, s2
	s_cselect_b32 s15, s18, s15
	s_add_i32 s12, s2, 1
	s_cmp_ge_u32 s15, s14
	s_cselect_b32 s2, s12, s2
	v_pk_mov_b32 v[26:27], s[2:3], s[2:3] op_sel:[0,1]
.LBB17_38:
	v_add_co_u32_e32 v26, vcc, v26, v30
	v_addc_co_u32_e32 v27, vcc, 0, v27, vcc
	s_branch .LBB17_41
.LBB17_39:
                                        ; implicit-def: $vgpr26_vgpr27
	s_cbranch_execz .LBB17_41
; %bb.40:
	v_mul_lo_u32 v26, v30, s8
	v_ashrrev_i32_e32 v27, 31, v26
	v_mov_b32_e32 v30, s7
	v_add_co_u32_e32 v26, vcc, s6, v26
	v_addc_co_u32_e32 v27, vcc, v27, v30, vcc
.LBB17_41:
	s_mov_b64 s[2:3], exec
.LBB17_42:
	s_or_b64 exec, exec, s[10:11]
	s_and_b64 vcc, exec, s[4:5]
	s_cbranch_vccz .LBB17_46
.LBB17_43:
	v_mov_b32_dpp v26, v28 quad_perm:[1,0,3,2] row_mask:0xf bank_mask:0xf
	v_cmp_gt_f32_e32 vcc, v28, v26
	v_cndmask_b32_e32 v26, v26, v28, vcc
	s_nop 1
	v_mov_b32_dpp v27, v26 quad_perm:[2,3,0,1] row_mask:0xf bank_mask:0xf
	v_cmp_gt_f32_e32 vcc, v26, v27
	v_cndmask_b32_e32 v26, v27, v26, vcc
	s_nop 1
	v_mov_b32_dpp v27, v26 row_half_mirror row_mask:0xf bank_mask:0xf
	v_cmp_gt_f32_e32 vcc, v26, v27
	v_cndmask_b32_e32 v26, v27, v26, vcc
	s_nop 1
	v_mov_b32_dpp v27, v26 row_mirror row_mask:0xf bank_mask:0xf
	v_cmp_gt_f32_e32 vcc, v26, v27
	v_cndmask_b32_e32 v26, v27, v26, vcc
	s_nop 1
	v_mov_b32_dpp v27, v26 row_bcast:15 row_mask:0xf bank_mask:0xf
	v_cmp_gt_f32_e32 vcc, v26, v27
	v_cndmask_b32_e32 v26, v27, v26, vcc
	s_nop 1
	v_mov_b32_dpp v27, v26 row_bcast:31 row_mask:0xf bank_mask:0xf
	s_and_saveexec_b64 s[2:3], s[0:1]
	s_cbranch_execz .LBB17_45
; %bb.44:
	v_lshrrev_b32_e32 v28, 4, v0
	v_cmp_gt_f32_e32 vcc, v26, v27
	v_and_b32_e32 v28, 60, v28
	v_cndmask_b32_e32 v26, v27, v26, vcc
	ds_write_b32 v28, v26
.LBB17_45:
	s_or_b64 exec, exec, s[2:3]
	s_waitcnt lgkmcnt(0)
	s_barrier
	ds_read_b32 v1, v1
	v_cmp_eq_u32_e64 s[2:3], 0, v0
	s_waitcnt lgkmcnt(0)
	v_mov_b32_dpp v26, v1 quad_perm:[1,0,3,2] row_mask:0xf bank_mask:0xf
	v_cmp_gt_f32_e32 vcc, v1, v26
	v_cndmask_b32_e32 v1, v26, v1, vcc
	s_nop 1
	v_mov_b32_dpp v26, v1 quad_perm:[2,3,0,1] row_mask:0xf bank_mask:0xf
	v_cmp_gt_f32_e32 vcc, v1, v26
	v_cndmask_b32_e32 v1, v26, v1, vcc
	v_mul_f32_e32 v29, 0x3b124925, v1
	v_pk_mov_b32 v[26:27], s[6:7], s[6:7] op_sel:[0,1]
.LBB17_46:
	s_and_saveexec_b64 s[0:1], s[2:3]
	s_cbranch_execz .LBB17_48
; %bb.47:
	v_lshlrev_b64 v[0:1], 2, v[26:27]
	v_mov_b32_e32 v26, s21
	v_add_co_u32_e32 v0, vcc, s20, v0
	v_addc_co_u32_e32 v1, vcc, v26, v1, vcc
	global_store_dword v[0:1], v29, off
.LBB17_48:
	s_or_b64 exec, exec, s[0:1]
	s_add_i32 s0, s9, 3
	s_ashr_i32 s1, s0, 31
	s_lshr_b32 s1, s1, 30
	s_add_i32 s0, s0, s1
	;;#ASMSTART
	v_rcp_f32 v0, v29
	;;#ASMEND
	v_mov_b32_e32 v1, v0
	;;#ASMSTART
	v_pk_mul_f32 v[24:25], v[24:25], v[0:1]
	;;#ASMEND
	s_and_b32 s2, s0, -4
	s_ashr_i32 s0, s13, 31
	v_mov_b32_e32 v26, 0xc3e00000
	v_mov_b32_e32 v27, 0x43e00000
	;;#ASMSTART
	v_med3_f32 v24, v24, v26, v27
v_med3_f32 v25, v25, v26, v27
v_cvt_pk_fp8_f32 v28, v24, v25
	;;#ASMEND
	;;#ASMSTART
	v_pk_mul_f32 v[22:23], v[22:23], v[0:1]
	;;#ASMEND
	s_mul_hi_u32 s1, s13, s6
	s_mul_i32 s0, s0, s6
	;;#ASMSTART
	v_med3_f32 v22, v22, v26, v27
v_med3_f32 v23, v23, v26, v27
v_cvt_pk_fp8_f32 v24, v22, v23
	;;#ASMEND
	s_mov_b32 s5, 0x5040100
	s_add_i32 s1, s1, s0
	s_mul_i32 s0, s13, s6
	v_perm_b32 v23, v24, v28, s5
	s_movk_i32 s6, 0xff
	v_and_b32_e32 v22, 0xffffff00, v24
	v_and_b32_sdwa v24, v23, s6 dst_sel:DWORD dst_unused:UNUSED_PAD src0_sel:WORD_1 src1_sel:DWORD
	s_mov_b32 s4, 0xffff
	v_or_b32_sdwa v22, v24, v22 dst_sel:WORD_1 dst_unused:UNUSED_PAD src0_sel:DWORD src1_sel:DWORD
	;;#ASMSTART
	v_pk_mul_f32 v[20:21], v[20:21], v[0:1]
	;;#ASMEND
	v_and_or_b32 v22, v23, s4, v22
	;;#ASMSTART
	v_med3_f32 v20, v20, v26, v27
v_med3_f32 v21, v21, v26, v27
v_cvt_pk_fp8_f32 v23, v20, v21
	;;#ASMEND
	;;#ASMSTART
	v_pk_mul_f32 v[16:17], v[16:17], v[0:1]
	;;#ASMEND
	s_add_u32 s0, s16, s0
	;;#ASMSTART
	v_med3_f32 v16, v16, v26, v27
v_med3_f32 v17, v17, v26, v27
v_cvt_pk_fp8_f32 v20, v16, v17
	;;#ASMEND
	s_addc_u32 s1, s17, s1
	v_lshlrev_b32_e32 v16, 16, v20
	s_and_b32 s1, s1, 0xffff
	s_mov_b32 s3, 0x20000
	v_and_or_b32 v23, v23, s4, v16
	buffer_store_dwordx2 v[22:23], v38, s[0:3], 0 offen
	;;#ASMSTART
	s_nop 0
	;;#ASMEND
	;;#ASMSTART
	v_pk_mul_f32 v[16:17], v[18:19], v[0:1]
	;;#ASMEND
	;;#ASMSTART
	v_med3_f32 v16, v16, v26, v27
v_med3_f32 v17, v17, v26, v27
v_cvt_pk_fp8_f32 v18, v16, v17
	;;#ASMEND
	;;#ASMSTART
	v_pk_mul_f32 v[14:15], v[14:15], v[0:1]
	;;#ASMEND
	;;#ASMSTART
	v_med3_f32 v14, v14, v26, v27
v_med3_f32 v15, v15, v26, v27
v_cvt_pk_fp8_f32 v16, v14, v15
	;;#ASMEND
	v_perm_b32 v15, v16, v18, s5
	v_and_b32_e32 v14, 0xffffff00, v16
	v_and_b32_sdwa v16, v15, s6 dst_sel:DWORD dst_unused:UNUSED_PAD src0_sel:WORD_1 src1_sel:DWORD
	v_or_b32_sdwa v14, v16, v14 dst_sel:WORD_1 dst_unused:UNUSED_PAD src0_sel:DWORD src1_sel:DWORD
	;;#ASMSTART
	v_pk_mul_f32 v[12:13], v[12:13], v[0:1]
	;;#ASMEND
	v_and_or_b32 v14, v15, s4, v14
	;;#ASMSTART
	v_med3_f32 v12, v12, v26, v27
v_med3_f32 v13, v13, v26, v27
v_cvt_pk_fp8_f32 v15, v12, v13
	;;#ASMEND
	;;#ASMSTART
	v_pk_mul_f32 v[8:9], v[8:9], v[0:1]
	;;#ASMEND
	;;#ASMSTART
	v_med3_f32 v8, v8, v26, v27
v_med3_f32 v9, v9, v26, v27
v_cvt_pk_fp8_f32 v12, v8, v9
	;;#ASMEND
	v_lshlrev_b32_e32 v8, 16, v12
	v_and_or_b32 v15, v15, s4, v8
	s_movk_i32 s7, 0x200
	buffer_store_dwordx2 v[14:15], v38, s[0:3], s7 offen
	;;#ASMSTART
	s_nop 0
	;;#ASMEND
	;;#ASMSTART
	v_pk_mul_f32 v[8:9], v[10:11], v[0:1]
	;;#ASMEND
	;;#ASMSTART
	v_med3_f32 v8, v8, v26, v27
v_med3_f32 v9, v9, v26, v27
v_cvt_pk_fp8_f32 v10, v8, v9
	;;#ASMEND
	;;#ASMSTART
	v_pk_mul_f32 v[6:7], v[6:7], v[0:1]
	;;#ASMEND
	;;#ASMSTART
	v_med3_f32 v6, v6, v26, v27
v_med3_f32 v7, v7, v26, v27
v_cvt_pk_fp8_f32 v8, v6, v7
	;;#ASMEND
	v_perm_b32 v7, v8, v10, s5
	v_and_b32_e32 v6, 0xffffff00, v8
	v_and_b32_sdwa v8, v7, s6 dst_sel:DWORD dst_unused:UNUSED_PAD src0_sel:WORD_1 src1_sel:DWORD
	v_or_b32_sdwa v6, v8, v6 dst_sel:WORD_1 dst_unused:UNUSED_PAD src0_sel:DWORD src1_sel:DWORD
	;;#ASMSTART
	v_pk_mul_f32 v[4:5], v[4:5], v[0:1]
	;;#ASMEND
	v_and_or_b32 v6, v7, s4, v6
	;;#ASMSTART
	v_med3_f32 v4, v4, v26, v27
v_med3_f32 v5, v5, v26, v27
v_cvt_pk_fp8_f32 v7, v4, v5
	;;#ASMEND
	;;#ASMSTART
	v_pk_mul_f32 v[0:1], v[2:3], v[0:1]
	;;#ASMEND
	;;#ASMSTART
	v_med3_f32 v0, v0, v26, v27
v_med3_f32 v1, v1, v26, v27
v_cvt_pk_fp8_f32 v2, v0, v1
	;;#ASMEND
	v_lshlrev_b32_e32 v0, 16, v2
	v_and_or_b32 v7, v7, s4, v0
	s_movk_i32 s4, 0x400
	buffer_store_dwordx2 v[6:7], v38, s[0:3], s4 offen
	;;#ASMSTART
	s_nop 0
	;;#ASMEND
.LBB17_49:
	s_endpgm
.LBB17_50:
                                        ; implicit-def: $vgpr26_vgpr27
	s_branch .LBB17_37
	.section	.rodata,"a",@progbits
	.p2align	6, 0x0
	.amdhsa_kernel _ZN5aiter24add_rmsnorm_quant_kernelIDF16_DB8_Li256ELi24ELb1ELb1ELb1ELi1EEEvPT0_PT_PfS5_S5_S5_diiiiiiib
		.amdhsa_group_segment_fixed_size 32
		.amdhsa_private_segment_fixed_size 0
		.amdhsa_kernarg_size 88
		.amdhsa_user_sgpr_count 6
		.amdhsa_user_sgpr_private_segment_buffer 1
		.amdhsa_user_sgpr_dispatch_ptr 0
		.amdhsa_user_sgpr_queue_ptr 0
		.amdhsa_user_sgpr_kernarg_segment_ptr 1
		.amdhsa_user_sgpr_dispatch_id 0
		.amdhsa_user_sgpr_flat_scratch_init 0
		.amdhsa_user_sgpr_kernarg_preload_length 0
		.amdhsa_user_sgpr_kernarg_preload_offset 0
		.amdhsa_user_sgpr_private_segment_size 0
		.amdhsa_uses_dynamic_stack 0
		.amdhsa_system_sgpr_private_segment_wavefront_offset 0
		.amdhsa_system_sgpr_workgroup_id_x 1
		.amdhsa_system_sgpr_workgroup_id_y 0
		.amdhsa_system_sgpr_workgroup_id_z 0
		.amdhsa_system_sgpr_workgroup_info 0
		.amdhsa_system_vgpr_workitem_id 0
		.amdhsa_next_free_vgpr 66
		.amdhsa_next_free_sgpr 40
		.amdhsa_accum_offset 68
		.amdhsa_reserve_vcc 1
		.amdhsa_reserve_flat_scratch 0
		.amdhsa_float_round_mode_32 0
		.amdhsa_float_round_mode_16_64 0
		.amdhsa_float_denorm_mode_32 3
		.amdhsa_float_denorm_mode_16_64 3
		.amdhsa_dx10_clamp 1
		.amdhsa_ieee_mode 1
		.amdhsa_fp16_overflow 0
		.amdhsa_tg_split 0
		.amdhsa_exception_fp_ieee_invalid_op 0
		.amdhsa_exception_fp_denorm_src 0
		.amdhsa_exception_fp_ieee_div_zero 0
		.amdhsa_exception_fp_ieee_overflow 0
		.amdhsa_exception_fp_ieee_underflow 0
		.amdhsa_exception_fp_ieee_inexact 0
		.amdhsa_exception_int_div_zero 0
	.end_amdhsa_kernel
	.section	.text._ZN5aiter24add_rmsnorm_quant_kernelIDF16_DB8_Li256ELi24ELb1ELb1ELb1ELi1EEEvPT0_PT_PfS5_S5_S5_diiiiiiib,"axG",@progbits,_ZN5aiter24add_rmsnorm_quant_kernelIDF16_DB8_Li256ELi24ELb1ELb1ELb1ELi1EEEvPT0_PT_PfS5_S5_S5_diiiiiiib,comdat
.Lfunc_end17:
	.size	_ZN5aiter24add_rmsnorm_quant_kernelIDF16_DB8_Li256ELi24ELb1ELb1ELb1ELi1EEEvPT0_PT_PfS5_S5_S5_diiiiiiib, .Lfunc_end17-_ZN5aiter24add_rmsnorm_quant_kernelIDF16_DB8_Li256ELi24ELb1ELb1ELb1ELi1EEEvPT0_PT_PfS5_S5_S5_diiiiiiib
                                        ; -- End function
	.section	.AMDGPU.csdata,"",@progbits
; Kernel info:
; codeLenInByte = 4840
; NumSgprs: 44
; NumVgprs: 66
; NumAgprs: 0
; TotalNumVgprs: 66
; ScratchSize: 0
; MemoryBound: 0
; FloatMode: 240
; IeeeMode: 1
; LDSByteSize: 32 bytes/workgroup (compile time only)
; SGPRBlocks: 5
; VGPRBlocks: 8
; NumSGPRsForWavesPerEU: 44
; NumVGPRsForWavesPerEU: 66
; AccumOffset: 68
; Occupancy: 7
; WaveLimiterHint : 0
; COMPUTE_PGM_RSRC2:SCRATCH_EN: 0
; COMPUTE_PGM_RSRC2:USER_SGPR: 6
; COMPUTE_PGM_RSRC2:TRAP_HANDLER: 0
; COMPUTE_PGM_RSRC2:TGID_X_EN: 1
; COMPUTE_PGM_RSRC2:TGID_Y_EN: 0
; COMPUTE_PGM_RSRC2:TGID_Z_EN: 0
; COMPUTE_PGM_RSRC2:TIDIG_COMP_CNT: 0
; COMPUTE_PGM_RSRC3_GFX90A:ACCUM_OFFSET: 16
; COMPUTE_PGM_RSRC3_GFX90A:TG_SPLIT: 0
	.section	.text._ZN5aiter24add_rmsnorm_quant_kernelItDB8_Li256ELi24ELb1ELb1ELb1ELi1EEEvPT0_PT_PfS5_S5_S5_diiiiiiib,"axG",@progbits,_ZN5aiter24add_rmsnorm_quant_kernelItDB8_Li256ELi24ELb1ELb1ELb1ELi1EEEvPT0_PT_PfS5_S5_S5_diiiiiiib,comdat
	.protected	_ZN5aiter24add_rmsnorm_quant_kernelItDB8_Li256ELi24ELb1ELb1ELb1ELi1EEEvPT0_PT_PfS5_S5_S5_diiiiiiib ; -- Begin function _ZN5aiter24add_rmsnorm_quant_kernelItDB8_Li256ELi24ELb1ELb1ELb1ELi1EEEvPT0_PT_PfS5_S5_S5_diiiiiiib
	.globl	_ZN5aiter24add_rmsnorm_quant_kernelItDB8_Li256ELi24ELb1ELb1ELb1ELi1EEEvPT0_PT_PfS5_S5_S5_diiiiiiib
	.p2align	8
	.type	_ZN5aiter24add_rmsnorm_quant_kernelItDB8_Li256ELi24ELb1ELb1ELb1ELi1EEEvPT0_PT_PfS5_S5_S5_diiiiiiib,@function
_ZN5aiter24add_rmsnorm_quant_kernelItDB8_Li256ELi24ELb1ELb1ELb1ELi1EEEvPT0_PT_PfS5_S5_S5_diiiiiiib: ; @_ZN5aiter24add_rmsnorm_quant_kernelItDB8_Li256ELi24ELb1ELb1ELb1ELi1EEEvPT0_PT_PfS5_S5_S5_diiiiiiib
; %bb.0:
	s_load_dwordx8 s[8:15], s[4:5], 0x38
	s_mov_b32 s7, 0
	s_waitcnt lgkmcnt(0)
	s_ashr_i32 s0, s8, 31
	v_mov_b32_e32 v2, s8
	v_mov_b32_e32 v3, s0
	v_cmp_ge_i64_e32 vcc, s[6:7], v[2:3]
	s_cbranch_vccnz .LBB18_49
; %bb.1:
	s_load_dwordx8 s[16:23], s[4:5], 0x0
	s_load_dwordx8 s[24:31], s[4:5], 0x20
	s_ashr_i32 s0, s10, 31
	s_mul_hi_u32 s1, s10, s6
	s_mul_i32 s0, s0, s6
	s_add_i32 s1, s1, s0
	s_mul_i32 s0, s10, s6
	s_lshl_b64 s[0:1], s[0:1], 1
	s_waitcnt lgkmcnt(0)
	s_add_u32 s0, s22, s0
	s_addc_u32 s1, s23, s1
	s_add_i32 s2, s9, 1
	s_lshr_b32 s3, s2, 31
	v_and_b32_e32 v2, 0x3c0, v0
	s_add_i32 s2, s2, s3
	v_lshlrev_b32_e32 v1, 3, v0
	v_mul_u32_u24_e32 v2, 24, v2
	s_movk_i32 s4, 0x1f8
	s_lshl_b32 s2, s2, 1
	v_and_or_b32 v38, v1, s4, v2
	s_and_b32 s2, s2, -4
	s_and_b32 s1, s1, 0xffff
	s_mov_b32 s3, 0x20000
	v_lshlrev_b32_e32 v1, 1, v38
	s_movk_i32 s5, 0x400
	s_movk_i32 s4, 0x800
	buffer_load_dwordx4 v[30:33], v1, s[0:3], s5 offen glc slc
	buffer_load_dwordx4 v[14:17], v1, s[0:3], 0 offen glc slc
	;; [unrolled: 1-line block ×3, first 2 shown]
	s_ashr_i32 s0, s11, 31
	s_mul_hi_u32 s1, s11, s6
	s_mul_i32 s0, s0, s6
	s_add_i32 s1, s1, s0
	s_mul_i32 s0, s11, s6
	s_and_b32 s37, s27, 0xffff
	s_lshl_b64 s[0:1], s[0:1], 1
	s_add_u32 s0, s24, s0
	s_addc_u32 s1, s25, s1
	s_and_b32 s1, s1, 0xffff
	buffer_load_dwordx4 v[34:37], v1, s[0:3], s5 offen glc slc
	buffer_load_dwordx4 v[26:29], v1, s[0:3], s4 offen glc slc
	;; [unrolled: 1-line block ×3, first 2 shown]
	s_mov_b32 s39, s3
	s_mov_b32 s36, s26
	;; [unrolled: 1-line block ×3, first 2 shown]
	buffer_load_dwordx4 v[10:13], v1, s[36:39], 0 offen
	buffer_load_dwordx4 v[6:9], v1, s[36:39], s5 offen
	;; [unrolled: 1-line block ×3, first 2 shown]
	s_ashr_i32 s10, s12, 31
	s_mul_hi_u32 s1, s12, s6
	s_mul_i32 s10, s10, s6
	s_mul_i32 s0, s12, s6
	s_add_i32 s1, s1, s10
	s_lshl_b64 s[0:1], s[0:1], 1
	s_add_u32 s0, s18, s0
	s_addc_u32 s1, s19, s1
	s_mov_b32 s10, 0x7060302
	s_and_b32 s1, s1, 0xffff
	s_waitcnt vmcnt(8)
	v_cvt_f32_u32_sdwa v41, v30 dst_sel:DWORD dst_unused:UNUSED_PAD src0_sel:WORD_1
	v_cvt_f32_u32_sdwa v40, v30 dst_sel:DWORD dst_unused:UNUSED_PAD src0_sel:WORD_0
	v_cvt_f32_u32_sdwa v43, v31 dst_sel:DWORD dst_unused:UNUSED_PAD src0_sel:WORD_1
	v_cvt_f32_u32_sdwa v42, v31 dst_sel:DWORD dst_unused:UNUSED_PAD src0_sel:WORD_0
	v_cvt_f32_u32_sdwa v31, v32 dst_sel:DWORD dst_unused:UNUSED_PAD src0_sel:WORD_1
	v_cvt_f32_u32_sdwa v30, v32 dst_sel:DWORD dst_unused:UNUSED_PAD src0_sel:WORD_0
	v_cvt_f32_u32_sdwa v45, v33 dst_sel:DWORD dst_unused:UNUSED_PAD src0_sel:WORD_1
	v_cvt_f32_u32_sdwa v44, v33 dst_sel:DWORD dst_unused:UNUSED_PAD src0_sel:WORD_0
	s_waitcnt vmcnt(6)
	v_cvt_f32_u32_sdwa v47, v22 dst_sel:DWORD dst_unused:UNUSED_PAD src0_sel:WORD_1
	v_cvt_f32_u32_sdwa v46, v22 dst_sel:DWORD dst_unused:UNUSED_PAD src0_sel:WORD_0
	v_cvt_f32_u32_sdwa v49, v23 dst_sel:DWORD dst_unused:UNUSED_PAD src0_sel:WORD_1
	v_cvt_f32_u32_sdwa v48, v23 dst_sel:DWORD dst_unused:UNUSED_PAD src0_sel:WORD_0
	v_cvt_f32_u32_sdwa v23, v24 dst_sel:DWORD dst_unused:UNUSED_PAD src0_sel:WORD_1
	v_cvt_f32_u32_sdwa v22, v24 dst_sel:DWORD dst_unused:UNUSED_PAD src0_sel:WORD_0
	v_cvt_f32_u32_sdwa v51, v25 dst_sel:DWORD dst_unused:UNUSED_PAD src0_sel:WORD_1
	v_cvt_f32_u32_sdwa v50, v25 dst_sel:DWORD dst_unused:UNUSED_PAD src0_sel:WORD_0
	;; [unrolled: 9-line block ×4, first 2 shown]
	s_waitcnt vmcnt(3)
	v_cvt_f32_u32_sdwa v67, v18 dst_sel:DWORD dst_unused:UNUSED_PAD src0_sel:WORD_1
	v_pk_add_f32 v[36:37], v[40:41], v[24:25]
	v_pk_add_f32 v[34:35], v[42:43], v[32:33]
	;; [unrolled: 1-line block ×5, first 2 shown]
	v_cvt_f32_u32_sdwa v66, v18 dst_sel:DWORD dst_unused:UNUSED_PAD src0_sel:WORD_0
	v_cvt_f32_u32_sdwa v41, v15 dst_sel:DWORD dst_unused:UNUSED_PAD src0_sel:WORD_1
	v_cvt_f32_u32_sdwa v40, v15 dst_sel:DWORD dst_unused:UNUSED_PAD src0_sel:WORD_0
	v_cvt_f32_u32_sdwa v15, v19 dst_sel:DWORD dst_unused:UNUSED_PAD src0_sel:WORD_1
	;; [unrolled: 2-line block ×7, first 2 shown]
	v_cvt_f32_u32_sdwa v58, v27 dst_sel:DWORD dst_unused:UNUSED_PAD src0_sel:WORD_0
	v_pk_add_f32 v[20:21], v[64:65], v[66:67]
	v_pk_add_f32 v[16:17], v[40:41], v[14:15]
	;; [unrolled: 1-line block ×4, first 2 shown]
	v_perm_b32 v43, v19, v18, s10
	v_perm_b32 v42, v15, v14, s10
	v_perm_b32 v41, v17, v16, s10
	v_perm_b32 v40, v21, v20, s10
	v_pk_add_f32 v[26:27], v[48:49], v[58:59]
	v_pk_add_f32 v[24:25], v[22:23], v[60:61]
	;; [unrolled: 1-line block ×3, first 2 shown]
	buffer_store_dwordx4 v[40:43], v1, s[0:3], 0 offen glc slc
	;;#ASMSTART
	s_nop 0
	;;#ASMEND
	v_pk_mul_f32 v[44:45], v[14:15], v[14:15]
	v_perm_b32 v43, v31, v30, s10
	v_perm_b32 v42, v33, v32, s10
	;; [unrolled: 1-line block ×4, first 2 shown]
	buffer_store_dwordx4 v[40:43], v1, s[0:3], s5 offen glc slc
	v_perm_b32 v43, v23, v22, s10
	v_perm_b32 v42, v25, v24, s10
	;; [unrolled: 1-line block ×4, first 2 shown]
	;;#ASMSTART
	s_nop 0
	;;#ASMEND
	buffer_store_dwordx4 v[40:43], v1, s[0:3], s4 offen glc slc
	v_pk_mul_f32 v[40:41], v[20:21], v[20:21]
	v_pk_mul_f32 v[42:43], v[16:17], v[16:17]
	v_add_f32_e32 v1, v40, v41
	v_add_f32_e32 v1, v42, v1
	;; [unrolled: 1-line block ×4, first 2 shown]
	v_pk_mul_f32 v[46:47], v[18:19], v[18:19]
	v_add_f32_e32 v1, v45, v1
	v_add_f32_e32 v1, v46, v1
	v_pk_mul_f32 v[48:49], v[36:37], v[36:37]
	v_add_f32_e32 v1, v47, v1
	v_add_f32_e32 v1, v48, v1
	;; [unrolled: 3-line block ×9, first 2 shown]
	v_add_f32_e32 v1, v41, v1
	v_and_b32_e32 v40, 63, v0
	v_cmp_eq_u32_e64 s[0:1], 63, v40
	v_mov_b32_dpp v39, v1 quad_perm:[1,0,3,2] row_mask:0xf bank_mask:0xf
	v_add_f32_e32 v1, v1, v39
	;;#ASMSTART
	s_nop 0
	;;#ASMEND
	s_nop 1
	v_mov_b32_dpp v39, v1 quad_perm:[2,3,0,1] row_mask:0xf bank_mask:0xf
	v_add_f32_e32 v1, v1, v39
	s_nop 1
	v_mov_b32_dpp v39, v1 row_half_mirror row_mask:0xf bank_mask:0xf
	v_add_f32_e32 v1, v1, v39
	s_nop 1
	v_mov_b32_dpp v39, v1 row_mirror row_mask:0xf bank_mask:0xf
	v_add_f32_e32 v1, v1, v39
	s_nop 1
	v_mov_b32_dpp v39, v1 row_bcast:15 row_mask:0xf bank_mask:0xf
	v_add_f32_e32 v1, v1, v39
	s_nop 1
	v_mov_b32_dpp v39, v1 row_bcast:31 row_mask:0xf bank_mask:0xf
	s_and_saveexec_b64 s[2:3], s[0:1]
	s_cbranch_execz .LBB18_3
; %bb.2:
	v_lshrrev_b32_e32 v40, 4, v0
	v_and_b32_e32 v40, 60, v40
	v_add_f32_e32 v1, v1, v39
	ds_write_b32 v40, v1 offset:16
.LBB18_3:
	s_or_b64 exec, exec, s[2:3]
	v_and_b32_e32 v1, 3, v0
	v_lshlrev_b32_e32 v1, 2, v1
	s_waitcnt lgkmcnt(0)
	s_barrier
	ds_read_b32 v39, v1 offset:16
	v_cvt_f32_i32_e32 v40, s9
	s_waitcnt vmcnt(5)
	v_cvt_f32_u32_sdwa v47, v13 dst_sel:DWORD dst_unused:UNUSED_PAD src0_sel:WORD_1
	v_cvt_f32_u32_sdwa v46, v13 dst_sel:DWORD dst_unused:UNUSED_PAD src0_sel:WORD_0
	s_waitcnt vmcnt(4)
	v_cvt_f32_u32_sdwa v13, v7 dst_sel:DWORD dst_unused:UNUSED_PAD src0_sel:WORD_1
	s_waitcnt lgkmcnt(0)
	v_mov_b32_dpp v41, v39 quad_perm:[1,0,3,2] row_mask:0xf bank_mask:0xf
	v_add_f32_e32 v39, v39, v41
	s_cmp_lg_u32 s14, 0
	s_nop 0
	v_mov_b32_dpp v41, v39 quad_perm:[2,3,0,1] row_mask:0xf bank_mask:0xf
	v_add_f32_e32 v39, v39, v41
	v_div_scale_f32 v41, s[2:3], v40, v40, v39
	v_rcp_f32_e32 v42, v41
	v_div_scale_f32 v43, vcc, v39, v40, v39
	s_mov_b32 s2, 0x800000
	v_fma_f32 v44, -v41, v42, 1.0
	v_fmac_f32_e32 v42, v44, v42
	v_mul_f32_e32 v44, v43, v42
	v_fma_f32 v45, -v41, v44, v43
	v_fmac_f32_e32 v44, v45, v42
	v_fma_f32 v41, -v41, v44, v43
	v_div_fmas_f32 v41, v41, v42, v44
	v_div_fixup_f32 v39, v41, v40, v39
	v_cvt_f64_f32_e32 v[40:41], v39
	v_add_f64 v[40:41], v[40:41], s[28:29]
	v_cvt_f32_f64_e32 v39, v[40:41]
	v_mul_f32_e32 v40, 0x4b800000, v39
	v_cmp_gt_f32_e32 vcc, s2, v39
	v_cndmask_b32_e32 v39, v39, v40, vcc
	v_rsq_f32_e32 v39, v39
	v_cvt_f32_u32_sdwa v45, v11 dst_sel:DWORD dst_unused:UNUSED_PAD src0_sel:WORD_1
	v_cvt_f32_u32_sdwa v44, v11 dst_sel:DWORD dst_unused:UNUSED_PAD src0_sel:WORD_0
	v_cvt_f32_u32_sdwa v11, v12 dst_sel:DWORD dst_unused:UNUSED_PAD src0_sel:WORD_1
	v_mul_f32_e32 v40, 0x45800000, v39
	v_cndmask_b32_e32 v40, v39, v40, vcc
	v_mov_b32_e32 v41, v40
	;;#ASMSTART
	v_pk_mul_f32 v[20:21], v[20:21], v[40:41]
	;;#ASMEND
	;;#ASMSTART
	v_pk_mul_f32 v[16:17], v[16:17], v[40:41]
	;;#ASMEND
	;; [unrolled: 3-line block ×12, first 2 shown]
	v_cvt_f32_u32_sdwa v23, v10 dst_sel:DWORD dst_unused:UNUSED_PAD src0_sel:WORD_1
	v_cvt_f32_u32_sdwa v22, v10 dst_sel:DWORD dst_unused:UNUSED_PAD src0_sel:WORD_0
	v_cvt_f32_u32_sdwa v10, v12 dst_sel:DWORD dst_unused:UNUSED_PAD src0_sel:WORD_0
	;;#ASMSTART
	v_pk_mul_f32 v[24:25], v[20:21], v[22:23]
	;;#ASMEND
	;;#ASMSTART
	v_pk_mul_f32 v[22:23], v[16:17], v[44:45]
	;;#ASMEND
	;; [unrolled: 3-line block ×3, first 2 shown]
	v_cvt_f32_u32_sdwa v11, v6 dst_sel:DWORD dst_unused:UNUSED_PAD src0_sel:WORD_1
	v_cvt_f32_u32_sdwa v10, v6 dst_sel:DWORD dst_unused:UNUSED_PAD src0_sel:WORD_0
	v_cvt_f32_u32_sdwa v12, v7 dst_sel:DWORD dst_unused:UNUSED_PAD src0_sel:WORD_0
	v_cvt_f32_u32_sdwa v7, v8 dst_sel:DWORD dst_unused:UNUSED_PAD src0_sel:WORD_1
	v_cvt_f32_u32_sdwa v6, v8 dst_sel:DWORD dst_unused:UNUSED_PAD src0_sel:WORD_0
	;;#ASMSTART
	v_pk_mul_f32 v[16:17], v[18:19], v[46:47]
	;;#ASMEND
	;;#ASMSTART
	v_pk_mul_f32 v[18:19], v[36:37], v[10:11]
	;;#ASMEND
	;; [unrolled: 3-line block ×4, first 2 shown]
	s_waitcnt vmcnt(3)
	v_cvt_f32_u32_sdwa v7, v2 dst_sel:DWORD dst_unused:UNUSED_PAD src0_sel:WORD_1
	v_cvt_f32_u32_sdwa v6, v2 dst_sel:DWORD dst_unused:UNUSED_PAD src0_sel:WORD_0
	v_cvt_f32_u32_sdwa v45, v9 dst_sel:DWORD dst_unused:UNUSED_PAD src0_sel:WORD_1
	v_cvt_f32_u32_sdwa v44, v9 dst_sel:DWORD dst_unused:UNUSED_PAD src0_sel:WORD_0
	;;#ASMSTART
	v_pk_mul_f32 v[8:9], v[30:31], v[44:45]
	;;#ASMEND
	v_cvt_f32_u32_sdwa v31, v3 dst_sel:DWORD dst_unused:UNUSED_PAD src0_sel:WORD_1
	v_cvt_f32_u32_sdwa v30, v3 dst_sel:DWORD dst_unused:UNUSED_PAD src0_sel:WORD_0
	v_cvt_f32_u32_sdwa v3, v4 dst_sel:DWORD dst_unused:UNUSED_PAD src0_sel:WORD_1
	v_cvt_f32_u32_sdwa v2, v4 dst_sel:DWORD dst_unused:UNUSED_PAD src0_sel:WORD_0
	;;#ASMSTART
	v_pk_mul_f32 v[10:11], v[28:29], v[6:7]
	;;#ASMEND
	;;#ASMSTART
	v_pk_mul_f32 v[6:7], v[26:27], v[30:31]
	;;#ASMEND
	v_and_b32_e32 v26, 0x7fffffff, v24
	v_mov_b32_e32 v28, 0x2edbe6ff
	v_cvt_f32_u32_sdwa v33, v5 dst_sel:DWORD dst_unused:UNUSED_PAD src0_sel:WORD_1
	v_cvt_f32_u32_sdwa v32, v5 dst_sel:DWORD dst_unused:UNUSED_PAD src0_sel:WORD_0
	;;#ASMSTART
	v_pk_mul_f32 v[4:5], v[42:43], v[2:3]
	;;#ASMEND
	;;#ASMSTART
	v_pk_mul_f32 v[2:3], v[40:41], v[32:33]
	;;#ASMEND
	v_and_b32_e32 v27, 0x7fffffff, v25
	;;#ASMSTART
	v_max3_f32 v26, v28, v26, v27

	;;#ASMEND
	v_and_b32_e32 v28, 0x7fffffff, v23
	v_and_b32_e32 v27, 0x7fffffff, v22
	;;#ASMSTART
	v_max3_f32 v26, v26, v27, v28

	;;#ASMEND
	v_and_b32_e32 v28, 0x7fffffff, v21
	;; [unrolled: 6-line block ×11, first 2 shown]
	v_and_b32_e32 v27, 0x7fffffff, v2
	;;#ASMSTART
	v_max3_f32 v28, v26, v27, v28

	;;#ASMEND
	s_cbranch_scc0 .LBB18_10
; %bb.4:
	s_mul_hi_i32 s2, s14, 0x2aaaaaab
	s_lshr_b32 s3, s2, 31
	s_ashr_i32 s4, s2, 2
	s_add_i32 s4, s4, s3
	s_cmp_lt_i32 s4, 16
	s_cbranch_scc1 .LBB18_11
; %bb.5:
	s_cmp_lt_i32 s4, 32
	s_cbranch_scc1 .LBB18_12
; %bb.6:
	;; [unrolled: 3-line block ×3, first 2 shown]
	s_cmp_eq_u32 s4, 64
	v_mov_b32_e32 v26, v28
	s_cbranch_scc0 .LBB18_9
; %bb.8:
	s_nop 0
	v_mov_b32_dpp v26, v28 quad_perm:[1,0,3,2] row_mask:0xf bank_mask:0xf
	v_cmp_gt_f32_e32 vcc, v28, v26
	v_cndmask_b32_e32 v26, v26, v28, vcc
	v_bfrev_b32_e32 v29, 0.5
	s_nop 0
	v_mov_b32_dpp v27, v26 quad_perm:[2,3,0,1] row_mask:0xf bank_mask:0xf
	v_cmp_gt_f32_e32 vcc, v26, v27
	v_cndmask_b32_e32 v26, v27, v26, vcc
	s_nop 1
	v_mov_b32_dpp v27, v26 row_ror:4 row_mask:0xf bank_mask:0xf
	v_cmp_gt_f32_e32 vcc, v26, v27
	v_cndmask_b32_e32 v26, v27, v26, vcc
	s_nop 1
	v_mov_b32_dpp v27, v26 row_ror:8 row_mask:0xf bank_mask:0xf
	v_cmp_gt_f32_e32 vcc, v26, v27
	v_cndmask_b32_e32 v26, v27, v26, vcc
	s_nop 1
	v_mov_b32_dpp v27, v26 row_bcast:15 row_mask:0xf bank_mask:0xf
	v_cmp_gt_f32_e32 vcc, v26, v27
	v_cndmask_b32_e32 v26, v27, v26, vcc
	s_nop 1
	v_mov_b32_dpp v27, v26 row_bcast:31 row_mask:0xf bank_mask:0xf
	v_cmp_gt_f32_e32 vcc, v26, v27
	v_cndmask_b32_e32 v26, v27, v26, vcc
	v_mbcnt_lo_u32_b32 v27, -1, 0
	v_mbcnt_hi_u32_b32 v27, -1, v27
	v_lshl_or_b32 v27, v27, 2, v29
	ds_bpermute_b32 v26, v27, v26
.LBB18_9:
	s_mov_b64 s[2:3], 0
	s_branch .LBB18_14
.LBB18_10:
	s_mov_b64 s[2:3], 0
                                        ; implicit-def: $vgpr29
                                        ; implicit-def: $vgpr26_vgpr27
	s_cbranch_execnz .LBB18_43
	s_branch .LBB18_46
.LBB18_11:
                                        ; implicit-def: $vgpr26
	s_branch .LBB18_21
.LBB18_12:
                                        ; implicit-def: $vgpr26
	s_branch .LBB18_18
.LBB18_13:
	s_mov_b64 s[2:3], -1
                                        ; implicit-def: $vgpr26
.LBB18_14:
	s_andn2_b64 vcc, exec, s[2:3]
	s_cbranch_vccnz .LBB18_17
; %bb.15:
	s_cmp_eq_u32 s4, 32
	s_waitcnt lgkmcnt(0)
	v_mov_b32_e32 v26, v28
	s_cbranch_scc0 .LBB18_17
; %bb.16:
	s_nop 0
	v_mov_b32_dpp v26, v28 quad_perm:[1,0,3,2] row_mask:0xf bank_mask:0xf
	v_cmp_gt_f32_e32 vcc, v28, v26
	v_cndmask_b32_e32 v26, v26, v28, vcc
	v_mov_b32_e32 v29, 0x7c
	s_nop 0
	v_mov_b32_dpp v27, v26 quad_perm:[2,3,0,1] row_mask:0xf bank_mask:0xf
	v_cmp_gt_f32_e32 vcc, v26, v27
	v_cndmask_b32_e32 v26, v27, v26, vcc
	s_nop 1
	v_mov_b32_dpp v27, v26 row_half_mirror row_mask:0xf bank_mask:0xf
	v_cmp_gt_f32_e32 vcc, v26, v27
	v_cndmask_b32_e32 v26, v27, v26, vcc
	s_nop 1
	v_mov_b32_dpp v27, v26 row_mirror row_mask:0xf bank_mask:0xf
	v_cmp_gt_f32_e32 vcc, v26, v27
	v_cndmask_b32_e32 v26, v27, v26, vcc
	s_nop 1
	v_mov_b32_dpp v27, v26 row_bcast:15 row_mask:0xa bank_mask:0xf
	v_cmp_gt_f32_e32 vcc, v26, v27
	v_cndmask_b32_e32 v26, v27, v26, vcc
	v_mbcnt_lo_u32_b32 v27, -1, 0
	v_mbcnt_hi_u32_b32 v27, -1, v27
	v_lshl_or_b32 v27, v27, 2, v29
	ds_bpermute_b32 v26, v27, v26
.LBB18_17:
	s_cbranch_execnz .LBB18_20
.LBB18_18:
	s_cmp_eq_u32 s4, 16
	s_waitcnt lgkmcnt(0)
	v_mov_b32_e32 v26, v28
	s_cbranch_scc0 .LBB18_20
; %bb.19:
	s_nop 0
	v_mov_b32_dpp v26, v28 quad_perm:[1,0,3,2] row_mask:0xf bank_mask:0xf
	v_cmp_gt_f32_e32 vcc, v28, v26
	v_cndmask_b32_e32 v26, v26, v28, vcc
	s_nop 1
	v_mov_b32_dpp v27, v26 quad_perm:[2,3,0,1] row_mask:0xf bank_mask:0xf
	v_cmp_gt_f32_e32 vcc, v26, v27
	v_cndmask_b32_e32 v26, v27, v26, vcc
	s_nop 1
	v_mov_b32_dpp v27, v26 row_half_mirror row_mask:0xf bank_mask:0xf
	v_cmp_gt_f32_e32 vcc, v26, v27
	v_cndmask_b32_e32 v26, v27, v26, vcc
	s_nop 1
	v_mov_b32_dpp v27, v26 row_mirror row_mask:0xf bank_mask:0xf
	v_cmp_gt_f32_e32 vcc, v26, v27
	v_cndmask_b32_e32 v26, v27, v26, vcc
.LBB18_20:
	s_cbranch_execnz .LBB18_33
.LBB18_21:
	s_cmp_lt_i32 s4, 4
	s_cbranch_scc1 .LBB18_25
; %bb.22:
	s_cmp_lt_i32 s4, 8
	s_cbranch_scc1 .LBB18_26
; %bb.23:
	s_cmp_eq_u32 s4, 8
	s_waitcnt lgkmcnt(0)
	v_mov_b32_e32 v26, v28
	s_cbranch_scc0 .LBB18_27
; %bb.24:
	s_nop 0
	v_mov_b32_dpp v26, v28 quad_perm:[1,0,3,2] row_mask:0xf bank_mask:0xf
	v_cmp_gt_f32_e32 vcc, v28, v26
	v_cndmask_b32_e32 v26, v26, v28, vcc
	s_nop 1
	v_mov_b32_dpp v27, v26 quad_perm:[2,3,0,1] row_mask:0xf bank_mask:0xf
	v_cmp_gt_f32_e32 vcc, v26, v27
	v_cndmask_b32_e32 v26, v27, v26, vcc
	s_nop 1
	v_mov_b32_dpp v27, v26 row_half_mirror row_mask:0xf bank_mask:0xf
	v_cmp_gt_f32_e32 vcc, v26, v27
	v_cndmask_b32_e32 v26, v27, v26, vcc
	s_cbranch_execz .LBB18_28
	s_branch .LBB18_30
.LBB18_25:
                                        ; implicit-def: $vgpr26
	s_branch .LBB18_31
.LBB18_26:
                                        ; implicit-def: $vgpr26
	s_branch .LBB18_28
.LBB18_27:
	s_cbranch_execnz .LBB18_30
.LBB18_28:
	s_cmp_eq_u32 s4, 4
	s_waitcnt lgkmcnt(0)
	v_mov_b32_e32 v26, v28
	s_cbranch_scc0 .LBB18_30
; %bb.29:
	s_nop 0
	v_mov_b32_dpp v26, v28 quad_perm:[1,0,3,2] row_mask:0xf bank_mask:0xf
	v_cmp_gt_f32_e32 vcc, v28, v26
	v_cndmask_b32_e32 v26, v26, v28, vcc
	s_nop 1
	v_mov_b32_dpp v27, v26 quad_perm:[2,3,0,1] row_mask:0xf bank_mask:0xf
	v_cmp_gt_f32_e32 vcc, v26, v27
	v_cndmask_b32_e32 v26, v27, v26, vcc
.LBB18_30:
	s_cbranch_execnz .LBB18_33
.LBB18_31:
	s_cmp_lg_u32 s4, 2
	s_waitcnt lgkmcnt(0)
	v_mov_b32_e32 v26, v28
	s_cbranch_scc1 .LBB18_33
; %bb.32:
	s_nop 0
	v_mov_b32_dpp v26, v28 quad_perm:[1,0,3,2] row_mask:0xf bank_mask:0xf
	v_cmp_gt_f32_e32 vcc, v28, v26
	v_cndmask_b32_e32 v26, v26, v28, vcc
.LBB18_33:
	v_cvt_f32_u32_e32 v27, s4
	s_waitcnt lgkmcnt(0)
	v_mul_f32_e32 v29, 0x3b124925, v26
	s_sub_i32 s2, 0, s4
	v_rcp_iflag_f32_e32 v27, v27
	v_mul_f32_e32 v26, 0x4f7ffffe, v27
	v_cvt_u32_f32_e32 v26, v26
	v_mul_u32_u24_e32 v27, 24, v0
	v_cmp_gt_u32_e32 vcc, s9, v27
	v_mul_lo_u32 v27, s2, v26
	v_mul_hi_u32 v27, v26, v27
	v_add_u32_e32 v26, v26, v27
	v_mul_hi_u32 v26, v0, v26
	v_mul_lo_u32 v27, v26, s4
	v_sub_u32_e32 v27, v0, v27
	v_add_u32_e32 v30, 1, v26
	v_cmp_le_u32_e64 s[2:3], s4, v27
	v_cndmask_b32_e64 v26, v26, v30, s[2:3]
	v_subrev_u32_e32 v30, s4, v27
	v_cndmask_b32_e64 v27, v27, v30, s[2:3]
	v_add_u32_e32 v30, 1, v26
	v_cmp_le_u32_e64 s[2:3], s4, v27
	v_cndmask_b32_e64 v30, v26, v30, s[2:3]
	v_mul_lo_u32 v26, v30, s4
	v_sub_u32_e32 v26, v0, v26
	v_cmp_eq_u32_e64 s[2:3], 0, v26
	s_and_b64 s[10:11], s[2:3], vcc
	s_mov_b64 s[4:5], 0
	s_mov_b64 s[2:3], 0
                                        ; implicit-def: $vgpr26_vgpr27
	s_and_saveexec_b64 s[18:19], s[10:11]
	s_xor_b64 s[10:11], exec, s[18:19]
	s_cbranch_execz .LBB18_42
; %bb.34:
	s_bitcmp0_b32 s15, 0
	s_cbranch_scc0 .LBB18_39
; %bb.35:
	s_ashr_i32 s2, s9, 31
	s_mul_hi_u32 s3, s9, s6
	s_mul_i32 s2, s2, s6
	s_add_i32 s19, s3, s2
	s_mul_i32 s18, s9, s6
	s_ashr_i32 s15, s14, 31
	s_or_b64 s[2:3], s[18:19], s[14:15]
	s_mov_b32 s2, 0
	s_cmp_lg_u64 s[2:3], 0
	s_cbranch_scc0 .LBB18_50
; %bb.36:
	s_add_u32 s2, s14, s15
	s_mov_b32 s24, s15
	s_mov_b32 s25, s15
	s_addc_u32 s3, s15, s15
	s_xor_b64 s[26:27], s[2:3], s[24:25]
	v_cvt_f32_u32_e32 v26, s26
	v_cvt_f32_u32_e32 v27, s27
	s_sub_u32 s2, 0, s26
	s_subb_u32 s3, 0, s27
	v_madmk_f32 v26, v27, 0x4f800000, v26
	v_rcp_f32_e32 v26, v26
	v_mul_f32_e32 v26, 0x5f7ffffc, v26
	v_mul_f32_e32 v27, 0x2f800000, v26
	v_trunc_f32_e32 v27, v27
	v_madmk_f32 v26, v27, 0xcf800000, v26
	v_cvt_u32_f32_e32 v27, v27
	v_cvt_u32_f32_e32 v26, v26
	v_readfirstlane_b32 s12, v27
	v_readfirstlane_b32 s15, v26
	s_mul_i32 s28, s2, s12
	s_mul_hi_u32 s30, s2, s15
	s_mul_i32 s29, s3, s15
	s_add_i32 s28, s30, s28
	s_add_i32 s28, s28, s29
	s_mul_i32 s31, s2, s15
	s_mul_hi_u32 s29, s15, s28
	s_mul_i32 s30, s15, s28
	s_mul_hi_u32 s15, s15, s31
	s_add_u32 s15, s15, s30
	s_addc_u32 s29, 0, s29
	s_mul_hi_u32 s33, s12, s31
	s_mul_i32 s31, s12, s31
	s_add_u32 s15, s15, s31
	s_mul_hi_u32 s30, s12, s28
	s_addc_u32 s15, s29, s33
	s_addc_u32 s29, s30, 0
	s_mul_i32 s28, s12, s28
	s_add_u32 s15, s15, s28
	s_addc_u32 s28, 0, s29
	v_add_co_u32_e32 v26, vcc, s15, v26
	s_cmp_lg_u64 vcc, 0
	s_addc_u32 s12, s12, s28
	v_readfirstlane_b32 s28, v26
	s_mul_i32 s15, s2, s12
	s_mul_hi_u32 s29, s2, s28
	s_add_i32 s15, s29, s15
	s_mul_i32 s3, s3, s28
	s_add_i32 s15, s15, s3
	s_mul_i32 s2, s2, s28
	s_mul_hi_u32 s29, s12, s2
	s_mul_i32 s30, s12, s2
	s_mul_i32 s33, s28, s15
	s_mul_hi_u32 s2, s28, s2
	s_mul_hi_u32 s31, s28, s15
	s_add_u32 s2, s2, s33
	s_addc_u32 s28, 0, s31
	s_add_u32 s2, s2, s30
	s_mul_hi_u32 s3, s12, s15
	s_addc_u32 s2, s28, s29
	s_addc_u32 s3, s3, 0
	s_mul_i32 s15, s12, s15
	s_add_u32 s2, s2, s15
	s_addc_u32 s3, 0, s3
	v_add_co_u32_e32 v26, vcc, s2, v26
	s_cmp_lg_u64 vcc, 0
	s_addc_u32 s12, s12, s3
	s_ashr_i32 s28, s19, 31
	s_add_u32 s2, s18, s28
	s_mov_b32 s29, s28
	s_addc_u32 s3, s19, s28
	s_xor_b64 s[30:31], s[2:3], s[28:29]
	v_readfirstlane_b32 s15, v26
	s_mul_i32 s3, s30, s12
	s_mul_hi_u32 s19, s30, s15
	s_mul_hi_u32 s2, s30, s12
	s_add_u32 s3, s19, s3
	s_addc_u32 s2, 0, s2
	s_mul_hi_u32 s33, s31, s15
	s_mul_i32 s15, s31, s15
	s_add_u32 s3, s3, s15
	s_mul_hi_u32 s19, s31, s12
	s_addc_u32 s2, s2, s33
	s_addc_u32 s3, s19, 0
	s_mul_i32 s12, s31, s12
	s_add_u32 s12, s2, s12
	s_addc_u32 s15, 0, s3
	s_mul_i32 s2, s26, s15
	s_mul_hi_u32 s3, s26, s12
	s_add_i32 s2, s3, s2
	s_mul_i32 s3, s27, s12
	s_add_i32 s19, s2, s3
	s_mul_i32 s3, s26, s12
	v_mov_b32_e32 v26, s3
	s_sub_i32 s2, s31, s19
	v_sub_co_u32_e32 v26, vcc, s30, v26
	s_cmp_lg_u64 vcc, 0
	s_subb_u32 s30, s2, s27
	v_subrev_co_u32_e64 v27, s[2:3], s26, v26
	s_cmp_lg_u64 s[2:3], 0
	s_subb_u32 s30, s30, 0
	s_cmp_ge_u32 s30, s27
	s_cselect_b32 s33, -1, 0
	v_cmp_le_u32_e64 s[2:3], s26, v27
	s_cmp_eq_u32 s30, s27
	v_cndmask_b32_e64 v27, 0, -1, s[2:3]
	v_mov_b32_e32 v31, s33
	s_cselect_b64 s[2:3], -1, 0
	v_cndmask_b32_e64 v27, v31, v27, s[2:3]
	s_add_u32 s2, s12, 1
	s_addc_u32 s30, s15, 0
	s_add_u32 s3, s12, 2
	s_addc_u32 s33, s15, 0
	v_mov_b32_e32 v31, s2
	v_mov_b32_e32 v32, s3
	v_cmp_ne_u32_e64 s[2:3], 0, v27
	v_cndmask_b32_e64 v27, v31, v32, s[2:3]
	v_mov_b32_e32 v31, s30
	v_mov_b32_e32 v32, s33
	s_cmp_lg_u64 vcc, 0
	v_cndmask_b32_e64 v31, v31, v32, s[2:3]
	s_subb_u32 s2, s31, s19
	s_cmp_ge_u32 s2, s27
	s_cselect_b32 s3, -1, 0
	v_cmp_le_u32_e32 vcc, s26, v26
	s_cmp_eq_u32 s2, s27
	v_cndmask_b32_e64 v26, 0, -1, vcc
	v_mov_b32_e32 v32, s3
	s_cselect_b64 vcc, -1, 0
	v_cndmask_b32_e32 v26, v32, v26, vcc
	v_mov_b32_e32 v32, s15
	v_cmp_ne_u32_e32 vcc, 0, v26
	v_cndmask_b32_e32 v26, v32, v31, vcc
	v_mov_b32_e32 v31, s12
	v_cndmask_b32_e32 v27, v31, v27, vcc
	s_xor_b64 s[2:3], s[28:29], s[24:25]
	v_xor_b32_e32 v27, s2, v27
	v_xor_b32_e32 v31, s3, v26
	v_mov_b32_e32 v32, s3
	v_subrev_co_u32_e32 v26, vcc, s2, v27
	v_subb_co_u32_e32 v27, vcc, v31, v32, vcc
	s_cbranch_execnz .LBB18_38
.LBB18_37:
	v_cvt_f32_u32_e32 v26, s14
	s_sub_i32 s2, 0, s14
	s_mov_b32 s3, 0
	v_rcp_iflag_f32_e32 v26, v26
	v_mul_f32_e32 v26, 0x4f7ffffe, v26
	v_cvt_u32_f32_e32 v26, v26
	v_readfirstlane_b32 s12, v26
	s_mul_i32 s2, s2, s12
	s_mul_hi_u32 s2, s12, s2
	s_add_i32 s12, s12, s2
	s_mul_hi_u32 s2, s18, s12
	s_mul_i32 s15, s2, s14
	s_sub_i32 s15, s18, s15
	s_add_i32 s12, s2, 1
	s_sub_i32 s18, s15, s14
	s_cmp_ge_u32 s15, s14
	s_cselect_b32 s2, s12, s2
	s_cselect_b32 s15, s18, s15
	s_add_i32 s12, s2, 1
	s_cmp_ge_u32 s15, s14
	s_cselect_b32 s2, s12, s2
	v_pk_mov_b32 v[26:27], s[2:3], s[2:3] op_sel:[0,1]
.LBB18_38:
	v_add_co_u32_e32 v26, vcc, v26, v30
	v_addc_co_u32_e32 v27, vcc, 0, v27, vcc
	s_branch .LBB18_41
.LBB18_39:
                                        ; implicit-def: $vgpr26_vgpr27
	s_cbranch_execz .LBB18_41
; %bb.40:
	v_mul_lo_u32 v26, v30, s8
	v_ashrrev_i32_e32 v27, 31, v26
	v_mov_b32_e32 v30, s7
	v_add_co_u32_e32 v26, vcc, s6, v26
	v_addc_co_u32_e32 v27, vcc, v27, v30, vcc
.LBB18_41:
	s_mov_b64 s[2:3], exec
.LBB18_42:
	s_or_b64 exec, exec, s[10:11]
	s_and_b64 vcc, exec, s[4:5]
	s_cbranch_vccz .LBB18_46
.LBB18_43:
	v_mov_b32_dpp v26, v28 quad_perm:[1,0,3,2] row_mask:0xf bank_mask:0xf
	v_cmp_gt_f32_e32 vcc, v28, v26
	v_cndmask_b32_e32 v26, v26, v28, vcc
	s_nop 1
	v_mov_b32_dpp v27, v26 quad_perm:[2,3,0,1] row_mask:0xf bank_mask:0xf
	v_cmp_gt_f32_e32 vcc, v26, v27
	v_cndmask_b32_e32 v26, v27, v26, vcc
	s_nop 1
	v_mov_b32_dpp v27, v26 row_half_mirror row_mask:0xf bank_mask:0xf
	v_cmp_gt_f32_e32 vcc, v26, v27
	v_cndmask_b32_e32 v26, v27, v26, vcc
	s_nop 1
	v_mov_b32_dpp v27, v26 row_mirror row_mask:0xf bank_mask:0xf
	v_cmp_gt_f32_e32 vcc, v26, v27
	v_cndmask_b32_e32 v26, v27, v26, vcc
	s_nop 1
	v_mov_b32_dpp v27, v26 row_bcast:15 row_mask:0xf bank_mask:0xf
	v_cmp_gt_f32_e32 vcc, v26, v27
	v_cndmask_b32_e32 v26, v27, v26, vcc
	s_nop 1
	v_mov_b32_dpp v27, v26 row_bcast:31 row_mask:0xf bank_mask:0xf
	s_and_saveexec_b64 s[2:3], s[0:1]
	s_cbranch_execz .LBB18_45
; %bb.44:
	v_lshrrev_b32_e32 v28, 4, v0
	v_cmp_gt_f32_e32 vcc, v26, v27
	v_and_b32_e32 v28, 60, v28
	v_cndmask_b32_e32 v26, v27, v26, vcc
	ds_write_b32 v28, v26
.LBB18_45:
	s_or_b64 exec, exec, s[2:3]
	s_waitcnt lgkmcnt(0)
	s_barrier
	ds_read_b32 v1, v1
	v_cmp_eq_u32_e64 s[2:3], 0, v0
	s_waitcnt lgkmcnt(0)
	v_mov_b32_dpp v26, v1 quad_perm:[1,0,3,2] row_mask:0xf bank_mask:0xf
	v_cmp_gt_f32_e32 vcc, v1, v26
	v_cndmask_b32_e32 v1, v26, v1, vcc
	s_nop 1
	v_mov_b32_dpp v26, v1 quad_perm:[2,3,0,1] row_mask:0xf bank_mask:0xf
	v_cmp_gt_f32_e32 vcc, v1, v26
	v_cndmask_b32_e32 v1, v26, v1, vcc
	v_mul_f32_e32 v29, 0x3b124925, v1
	v_pk_mov_b32 v[26:27], s[6:7], s[6:7] op_sel:[0,1]
.LBB18_46:
	s_and_saveexec_b64 s[0:1], s[2:3]
	s_cbranch_execz .LBB18_48
; %bb.47:
	v_lshlrev_b64 v[0:1], 2, v[26:27]
	v_mov_b32_e32 v26, s21
	v_add_co_u32_e32 v0, vcc, s20, v0
	v_addc_co_u32_e32 v1, vcc, v26, v1, vcc
	global_store_dword v[0:1], v29, off
.LBB18_48:
	s_or_b64 exec, exec, s[0:1]
	s_add_i32 s0, s9, 3
	s_ashr_i32 s1, s0, 31
	s_lshr_b32 s1, s1, 30
	s_add_i32 s0, s0, s1
	;;#ASMSTART
	v_rcp_f32 v0, v29
	;;#ASMEND
	v_mov_b32_e32 v1, v0
	;;#ASMSTART
	v_pk_mul_f32 v[24:25], v[24:25], v[0:1]
	;;#ASMEND
	s_and_b32 s2, s0, -4
	s_ashr_i32 s0, s13, 31
	v_mov_b32_e32 v26, 0xc3e00000
	v_mov_b32_e32 v27, 0x43e00000
	;;#ASMSTART
	v_med3_f32 v24, v24, v26, v27
v_med3_f32 v25, v25, v26, v27
v_cvt_pk_fp8_f32 v28, v24, v25
	;;#ASMEND
	;;#ASMSTART
	v_pk_mul_f32 v[22:23], v[22:23], v[0:1]
	;;#ASMEND
	s_mul_hi_u32 s1, s13, s6
	s_mul_i32 s0, s0, s6
	;;#ASMSTART
	v_med3_f32 v22, v22, v26, v27
v_med3_f32 v23, v23, v26, v27
v_cvt_pk_fp8_f32 v24, v22, v23
	;;#ASMEND
	s_mov_b32 s5, 0x5040100
	s_add_i32 s1, s1, s0
	s_mul_i32 s0, s13, s6
	v_perm_b32 v23, v24, v28, s5
	s_movk_i32 s6, 0xff
	v_and_b32_e32 v22, 0xffffff00, v24
	v_and_b32_sdwa v24, v23, s6 dst_sel:DWORD dst_unused:UNUSED_PAD src0_sel:WORD_1 src1_sel:DWORD
	s_mov_b32 s4, 0xffff
	v_or_b32_sdwa v22, v24, v22 dst_sel:WORD_1 dst_unused:UNUSED_PAD src0_sel:DWORD src1_sel:DWORD
	;;#ASMSTART
	v_pk_mul_f32 v[20:21], v[20:21], v[0:1]
	;;#ASMEND
	v_and_or_b32 v22, v23, s4, v22
	;;#ASMSTART
	v_med3_f32 v20, v20, v26, v27
v_med3_f32 v21, v21, v26, v27
v_cvt_pk_fp8_f32 v23, v20, v21
	;;#ASMEND
	;;#ASMSTART
	v_pk_mul_f32 v[16:17], v[16:17], v[0:1]
	;;#ASMEND
	s_add_u32 s0, s16, s0
	;;#ASMSTART
	v_med3_f32 v16, v16, v26, v27
v_med3_f32 v17, v17, v26, v27
v_cvt_pk_fp8_f32 v20, v16, v17
	;;#ASMEND
	s_addc_u32 s1, s17, s1
	v_lshlrev_b32_e32 v16, 16, v20
	s_and_b32 s1, s1, 0xffff
	s_mov_b32 s3, 0x20000
	v_and_or_b32 v23, v23, s4, v16
	buffer_store_dwordx2 v[22:23], v38, s[0:3], 0 offen
	;;#ASMSTART
	s_nop 0
	;;#ASMEND
	;;#ASMSTART
	v_pk_mul_f32 v[16:17], v[18:19], v[0:1]
	;;#ASMEND
	;;#ASMSTART
	v_med3_f32 v16, v16, v26, v27
v_med3_f32 v17, v17, v26, v27
v_cvt_pk_fp8_f32 v18, v16, v17
	;;#ASMEND
	;;#ASMSTART
	v_pk_mul_f32 v[14:15], v[14:15], v[0:1]
	;;#ASMEND
	;;#ASMSTART
	v_med3_f32 v14, v14, v26, v27
v_med3_f32 v15, v15, v26, v27
v_cvt_pk_fp8_f32 v16, v14, v15
	;;#ASMEND
	v_perm_b32 v15, v16, v18, s5
	v_and_b32_e32 v14, 0xffffff00, v16
	v_and_b32_sdwa v16, v15, s6 dst_sel:DWORD dst_unused:UNUSED_PAD src0_sel:WORD_1 src1_sel:DWORD
	v_or_b32_sdwa v14, v16, v14 dst_sel:WORD_1 dst_unused:UNUSED_PAD src0_sel:DWORD src1_sel:DWORD
	;;#ASMSTART
	v_pk_mul_f32 v[12:13], v[12:13], v[0:1]
	;;#ASMEND
	v_and_or_b32 v14, v15, s4, v14
	;;#ASMSTART
	v_med3_f32 v12, v12, v26, v27
v_med3_f32 v13, v13, v26, v27
v_cvt_pk_fp8_f32 v15, v12, v13
	;;#ASMEND
	;;#ASMSTART
	v_pk_mul_f32 v[8:9], v[8:9], v[0:1]
	;;#ASMEND
	;;#ASMSTART
	v_med3_f32 v8, v8, v26, v27
v_med3_f32 v9, v9, v26, v27
v_cvt_pk_fp8_f32 v12, v8, v9
	;;#ASMEND
	v_lshlrev_b32_e32 v8, 16, v12
	v_and_or_b32 v15, v15, s4, v8
	s_movk_i32 s7, 0x200
	buffer_store_dwordx2 v[14:15], v38, s[0:3], s7 offen
	;;#ASMSTART
	s_nop 0
	;;#ASMEND
	;;#ASMSTART
	v_pk_mul_f32 v[8:9], v[10:11], v[0:1]
	;;#ASMEND
	;;#ASMSTART
	v_med3_f32 v8, v8, v26, v27
v_med3_f32 v9, v9, v26, v27
v_cvt_pk_fp8_f32 v10, v8, v9
	;;#ASMEND
	;;#ASMSTART
	v_pk_mul_f32 v[6:7], v[6:7], v[0:1]
	;;#ASMEND
	;;#ASMSTART
	v_med3_f32 v6, v6, v26, v27
v_med3_f32 v7, v7, v26, v27
v_cvt_pk_fp8_f32 v8, v6, v7
	;;#ASMEND
	v_perm_b32 v7, v8, v10, s5
	v_and_b32_e32 v6, 0xffffff00, v8
	v_and_b32_sdwa v8, v7, s6 dst_sel:DWORD dst_unused:UNUSED_PAD src0_sel:WORD_1 src1_sel:DWORD
	v_or_b32_sdwa v6, v8, v6 dst_sel:WORD_1 dst_unused:UNUSED_PAD src0_sel:DWORD src1_sel:DWORD
	;;#ASMSTART
	v_pk_mul_f32 v[4:5], v[4:5], v[0:1]
	;;#ASMEND
	v_and_or_b32 v6, v7, s4, v6
	;;#ASMSTART
	v_med3_f32 v4, v4, v26, v27
v_med3_f32 v5, v5, v26, v27
v_cvt_pk_fp8_f32 v7, v4, v5
	;;#ASMEND
	;;#ASMSTART
	v_pk_mul_f32 v[0:1], v[2:3], v[0:1]
	;;#ASMEND
	;;#ASMSTART
	v_med3_f32 v0, v0, v26, v27
v_med3_f32 v1, v1, v26, v27
v_cvt_pk_fp8_f32 v2, v0, v1
	;;#ASMEND
	v_lshlrev_b32_e32 v0, 16, v2
	v_and_or_b32 v7, v7, s4, v0
	s_movk_i32 s4, 0x400
	buffer_store_dwordx2 v[6:7], v38, s[0:3], s4 offen
	;;#ASMSTART
	s_nop 0
	;;#ASMEND
.LBB18_49:
	s_endpgm
.LBB18_50:
                                        ; implicit-def: $vgpr26_vgpr27
	s_branch .LBB18_37
	.section	.rodata,"a",@progbits
	.p2align	6, 0x0
	.amdhsa_kernel _ZN5aiter24add_rmsnorm_quant_kernelItDB8_Li256ELi24ELb1ELb1ELb1ELi1EEEvPT0_PT_PfS5_S5_S5_diiiiiiib
		.amdhsa_group_segment_fixed_size 32
		.amdhsa_private_segment_fixed_size 0
		.amdhsa_kernarg_size 88
		.amdhsa_user_sgpr_count 6
		.amdhsa_user_sgpr_private_segment_buffer 1
		.amdhsa_user_sgpr_dispatch_ptr 0
		.amdhsa_user_sgpr_queue_ptr 0
		.amdhsa_user_sgpr_kernarg_segment_ptr 1
		.amdhsa_user_sgpr_dispatch_id 0
		.amdhsa_user_sgpr_flat_scratch_init 0
		.amdhsa_user_sgpr_kernarg_preload_length 0
		.amdhsa_user_sgpr_kernarg_preload_offset 0
		.amdhsa_user_sgpr_private_segment_size 0
		.amdhsa_uses_dynamic_stack 0
		.amdhsa_system_sgpr_private_segment_wavefront_offset 0
		.amdhsa_system_sgpr_workgroup_id_x 1
		.amdhsa_system_sgpr_workgroup_id_y 0
		.amdhsa_system_sgpr_workgroup_id_z 0
		.amdhsa_system_sgpr_workgroup_info 0
		.amdhsa_system_vgpr_workitem_id 0
		.amdhsa_next_free_vgpr 68
		.amdhsa_next_free_sgpr 40
		.amdhsa_accum_offset 68
		.amdhsa_reserve_vcc 1
		.amdhsa_reserve_flat_scratch 0
		.amdhsa_float_round_mode_32 0
		.amdhsa_float_round_mode_16_64 0
		.amdhsa_float_denorm_mode_32 3
		.amdhsa_float_denorm_mode_16_64 3
		.amdhsa_dx10_clamp 1
		.amdhsa_ieee_mode 1
		.amdhsa_fp16_overflow 0
		.amdhsa_tg_split 0
		.amdhsa_exception_fp_ieee_invalid_op 0
		.amdhsa_exception_fp_denorm_src 0
		.amdhsa_exception_fp_ieee_div_zero 0
		.amdhsa_exception_fp_ieee_overflow 0
		.amdhsa_exception_fp_ieee_underflow 0
		.amdhsa_exception_fp_ieee_inexact 0
		.amdhsa_exception_int_div_zero 0
	.end_amdhsa_kernel
	.section	.text._ZN5aiter24add_rmsnorm_quant_kernelItDB8_Li256ELi24ELb1ELb1ELb1ELi1EEEvPT0_PT_PfS5_S5_S5_diiiiiiib,"axG",@progbits,_ZN5aiter24add_rmsnorm_quant_kernelItDB8_Li256ELi24ELb1ELb1ELb1ELi1EEEvPT0_PT_PfS5_S5_S5_diiiiiiib,comdat
.Lfunc_end18:
	.size	_ZN5aiter24add_rmsnorm_quant_kernelItDB8_Li256ELi24ELb1ELb1ELb1ELi1EEEvPT0_PT_PfS5_S5_S5_diiiiiiib, .Lfunc_end18-_ZN5aiter24add_rmsnorm_quant_kernelItDB8_Li256ELi24ELb1ELb1ELb1ELi1EEEvPT0_PT_PfS5_S5_S5_diiiiiiib
                                        ; -- End function
	.section	.AMDGPU.csdata,"",@progbits
; Kernel info:
; codeLenInByte = 4900
; NumSgprs: 44
; NumVgprs: 68
; NumAgprs: 0
; TotalNumVgprs: 68
; ScratchSize: 0
; MemoryBound: 0
; FloatMode: 240
; IeeeMode: 1
; LDSByteSize: 32 bytes/workgroup (compile time only)
; SGPRBlocks: 5
; VGPRBlocks: 8
; NumSGPRsForWavesPerEU: 44
; NumVGPRsForWavesPerEU: 68
; AccumOffset: 68
; Occupancy: 7
; WaveLimiterHint : 0
; COMPUTE_PGM_RSRC2:SCRATCH_EN: 0
; COMPUTE_PGM_RSRC2:USER_SGPR: 6
; COMPUTE_PGM_RSRC2:TRAP_HANDLER: 0
; COMPUTE_PGM_RSRC2:TGID_X_EN: 1
; COMPUTE_PGM_RSRC2:TGID_Y_EN: 0
; COMPUTE_PGM_RSRC2:TGID_Z_EN: 0
; COMPUTE_PGM_RSRC2:TIDIG_COMP_CNT: 0
; COMPUTE_PGM_RSRC3_GFX90A:ACCUM_OFFSET: 16
; COMPUTE_PGM_RSRC3_GFX90A:TG_SPLIT: 0
	.section	.text._ZN5aiter24add_rmsnorm_quant_kernelIDF16_DB8_Li256ELi24ELb1ELb1ELb0ELi1EEEvPT0_PT_PfS5_S5_S5_diiiiiiib,"axG",@progbits,_ZN5aiter24add_rmsnorm_quant_kernelIDF16_DB8_Li256ELi24ELb1ELb1ELb0ELi1EEEvPT0_PT_PfS5_S5_S5_diiiiiiib,comdat
	.protected	_ZN5aiter24add_rmsnorm_quant_kernelIDF16_DB8_Li256ELi24ELb1ELb1ELb0ELi1EEEvPT0_PT_PfS5_S5_S5_diiiiiiib ; -- Begin function _ZN5aiter24add_rmsnorm_quant_kernelIDF16_DB8_Li256ELi24ELb1ELb1ELb0ELi1EEEvPT0_PT_PfS5_S5_S5_diiiiiiib
	.globl	_ZN5aiter24add_rmsnorm_quant_kernelIDF16_DB8_Li256ELi24ELb1ELb1ELb0ELi1EEEvPT0_PT_PfS5_S5_S5_diiiiiiib
	.p2align	8
	.type	_ZN5aiter24add_rmsnorm_quant_kernelIDF16_DB8_Li256ELi24ELb1ELb1ELb0ELi1EEEvPT0_PT_PfS5_S5_S5_diiiiiiib,@function
_ZN5aiter24add_rmsnorm_quant_kernelIDF16_DB8_Li256ELi24ELb1ELb1ELb0ELi1EEEvPT0_PT_PfS5_S5_S5_diiiiiiib: ; @_ZN5aiter24add_rmsnorm_quant_kernelIDF16_DB8_Li256ELi24ELb1ELb1ELb0ELi1EEEvPT0_PT_PfS5_S5_S5_diiiiiiib
; %bb.0:
	s_load_dwordx8 s[8:15], s[4:5], 0x38
	s_mov_b32 s7, 0
	s_waitcnt lgkmcnt(0)
	s_ashr_i32 s0, s8, 31
	v_mov_b32_e32 v2, s8
	v_mov_b32_e32 v3, s0
	v_cmp_ge_i64_e32 vcc, s[6:7], v[2:3]
	s_cbranch_vccnz .LBB19_49
; %bb.1:
	s_load_dwordx8 s[16:23], s[4:5], 0x0
	s_ashr_i32 s0, s10, 31
	s_mul_hi_u32 s1, s10, s6
	s_mul_i32 s0, s0, s6
	s_add_i32 s1, s1, s0
	s_mul_i32 s0, s10, s6
	s_lshl_b64 s[0:1], s[0:1], 1
	s_waitcnt lgkmcnt(0)
	s_add_u32 s0, s22, s0
	s_addc_u32 s1, s23, s1
	s_add_i32 s2, s9, 1
	s_lshr_b32 s3, s2, 31
	s_add_i32 s2, s2, s3
	s_lshl_b32 s2, s2, 1
	s_load_dwordx8 s[24:31], s[4:5], 0x20
	s_and_b32 s2, s2, -4
	s_and_b32 s1, s1, 0xffff
	s_mov_b32 s3, 0x20000
	v_mul_u32_u24_e32 v1, 48, v0
	buffer_load_dwordx4 v[34:37], v1, s[0:3], 16 offen
	buffer_load_dwordx4 v[14:17], v1, s[0:3], 0 offen
	;; [unrolled: 1-line block ×3, first 2 shown]
	s_ashr_i32 s0, s11, 31
	s_mul_hi_u32 s1, s11, s6
	s_mul_i32 s0, s0, s6
	s_add_i32 s1, s1, s0
	s_mul_i32 s0, s11, s6
	s_waitcnt lgkmcnt(0)
	s_and_b32 s37, s27, 0xffff
	s_lshl_b64 s[0:1], s[0:1], 1
	s_add_u32 s0, s24, s0
	s_addc_u32 s1, s25, s1
	s_and_b32 s1, s1, 0xffff
	buffer_load_dwordx4 v[30:33], v1, s[0:3], 16 offen
	buffer_load_dwordx4 v[22:25], v1, s[0:3], 32 offen
	;; [unrolled: 1-line block ×3, first 2 shown]
	s_mov_b32 s39, s3
	s_mov_b32 s36, s26
	;; [unrolled: 1-line block ×3, first 2 shown]
	buffer_load_dwordx4 v[10:13], v1, s[36:39], 0 offen
	buffer_load_dwordx4 v[6:9], v1, s[36:39], 16 offen
	;; [unrolled: 1-line block ×3, first 2 shown]
	s_ashr_i32 s4, s12, 31
	s_mul_hi_u32 s1, s12, s6
	s_mul_i32 s4, s4, s6
	s_mul_i32 s0, s12, s6
	s_add_i32 s1, s1, s4
	s_lshl_b64 s[0:1], s[0:1], 1
	s_add_u32 s0, s18, s0
	s_addc_u32 s1, s19, s1
	s_and_b32 s1, s1, 0xffff
	s_waitcnt vmcnt(8)
	v_cvt_f32_f16_e32 v38, v34
	v_cvt_f32_f16_sdwa v39, v34 dst_sel:DWORD dst_unused:UNUSED_PAD src0_sel:WORD_1
	s_waitcnt vmcnt(6)
	v_cvt_f32_f16_e32 v42, v26
	v_cvt_f32_f16_sdwa v43, v26 dst_sel:DWORD dst_unused:UNUSED_PAD src0_sel:WORD_1
	v_cvt_f32_f16_e32 v44, v27
	v_cvt_f32_f16_sdwa v45, v27 dst_sel:DWORD dst_unused:UNUSED_PAD src0_sel:WORD_1
	;; [unrolled: 2-line block ×4, first 2 shown]
	v_cvt_f32_f16_e32 v36, v37
	s_waitcnt vmcnt(5)
	v_cvt_f32_f16_e32 v26, v30
	v_cvt_f32_f16_sdwa v27, v30 dst_sel:DWORD dst_unused:UNUSED_PAD src0_sel:WORD_1
	v_cvt_f32_f16_sdwa v37, v37 dst_sel:DWORD dst_unused:UNUSED_PAD src0_sel:WORD_1
	v_cvt_f32_f16_e32 v46, v28
	v_cvt_f32_f16_sdwa v47, v28 dst_sel:DWORD dst_unused:UNUSED_PAD src0_sel:WORD_1
	v_cvt_f32_f16_e32 v48, v29
	;; [unrolled: 2-line block ×5, first 2 shown]
	v_cvt_f32_f16_sdwa v53, v33 dst_sel:DWORD dst_unused:UNUSED_PAD src0_sel:WORD_1
	s_waitcnt vmcnt(4)
	v_cvt_f32_f16_e32 v54, v22
	v_cvt_f32_f16_sdwa v55, v22 dst_sel:DWORD dst_unused:UNUSED_PAD src0_sel:WORD_1
	v_cvt_f32_f16_e32 v56, v24
	v_cvt_f32_f16_sdwa v57, v24 dst_sel:DWORD dst_unused:UNUSED_PAD src0_sel:WORD_1
	;; [unrolled: 2-line block ×4, first 2 shown]
	v_pk_add_f32 v[24:25], v[38:39], v[26:27]
	s_waitcnt vmcnt(3)
	v_cvt_f32_f16_e32 v38, v19
	v_cvt_f32_f16_sdwa v39, v19 dst_sel:DWORD dst_unused:UNUSED_PAD src0_sel:WORD_1
	v_cvt_f32_f16_e32 v50, v14
	v_cvt_f32_f16_sdwa v51, v14 dst_sel:DWORD dst_unused:UNUSED_PAD src0_sel:WORD_1
	;; [unrolled: 2-line block ×3, first 2 shown]
	v_pk_add_f32 v[32:33], v[34:35], v[28:29]
	v_pk_add_f32 v[30:31], v[40:41], v[30:31]
	;; [unrolled: 1-line block ×5, first 2 shown]
	v_cvt_f32_f16_e32 v38, v16
	v_cvt_f32_f16_sdwa v39, v16 dst_sel:DWORD dst_unused:UNUSED_PAD src0_sel:WORD_1
	v_cvt_f32_f16_e32 v40, v20
	v_cvt_f32_f16_sdwa v41, v20 dst_sel:DWORD dst_unused:UNUSED_PAD src0_sel:WORD_1
	;; [unrolled: 2-line block ×5, first 2 shown]
	v_pk_add_f32 v[34:35], v[50:51], v[62:63]
	v_pk_add_f32 v[16:17], v[38:39], v[40:41]
	;; [unrolled: 1-line block ×5, first 2 shown]
	v_cvt_f16_f32_e32 v44, v35
	v_cvt_f16_f32_e32 v45, v37
	v_cvt_f16_f32_e32 v38, v17
	v_cvt_f16_f32_e32 v39, v21
	v_cvt_f16_f32_e32 v40, v20
	v_cvt_f16_f32_e32 v42, v16
	v_cvt_f16_f32_e32 v43, v36
	v_cvt_f16_f32_e32 v46, v34
	v_pack_b32_f16 v41, v40, v39
	v_pack_b32_f16 v40, v42, v38
	;; [unrolled: 1-line block ×4, first 2 shown]
	buffer_store_dwordx4 v[38:41], v1, s[0:3], 0 offen
	v_cvt_f16_f32_e32 v42, v29
	v_cvt_f16_f32_e32 v38, v24
	;; [unrolled: 1-line block ×8, first 2 shown]
	v_pk_add_f32 v[14:15], v[48:49], v[58:59]
	v_pack_b32_f16 v41, v41, v42
	v_pack_b32_f16 v40, v40, v43
	;; [unrolled: 1-line block ×4, first 2 shown]
	;;#ASMSTART
	s_nop 0
	;;#ASMEND
	buffer_store_dwordx4 v[38:41], v1, s[0:3], 16 offen
	v_cvt_f16_f32_e32 v42, v15
	v_cvt_f16_f32_e32 v38, v26
	;; [unrolled: 1-line block ×8, first 2 shown]
	v_pack_b32_f16 v41, v41, v42
	v_pack_b32_f16 v40, v40, v43
	;; [unrolled: 1-line block ×4, first 2 shown]
	;;#ASMSTART
	s_nop 0
	;;#ASMEND
	buffer_store_dwordx4 v[38:41], v1, s[0:3], 32 offen
	v_pk_mul_f32 v[42:43], v[16:17], v[16:17]
	v_pk_mul_f32 v[38:39], v[34:35], v[34:35]
	;; [unrolled: 1-line block ×3, first 2 shown]
	v_add_f32_e32 v1, v38, v39
	v_add_f32_e32 v1, v40, v1
	v_add_f32_e32 v1, v41, v1
	v_add_f32_e32 v1, v42, v1
	v_pk_mul_f32 v[44:45], v[20:21], v[20:21]
	v_add_f32_e32 v1, v43, v1
	v_add_f32_e32 v1, v44, v1
	v_pk_mul_f32 v[46:47], v[24:25], v[24:25]
	v_add_f32_e32 v1, v45, v1
	v_add_f32_e32 v1, v46, v1
	;; [unrolled: 3-line block ×9, first 2 shown]
	v_add_f32_e32 v1, v39, v1
	v_and_b32_e32 v39, 63, v0
	v_cmp_eq_u32_e64 s[0:1], 63, v39
	v_mov_b32_dpp v38, v1 quad_perm:[1,0,3,2] row_mask:0xf bank_mask:0xf
	v_add_f32_e32 v1, v1, v38
	;;#ASMSTART
	s_nop 0
	;;#ASMEND
	s_nop 1
	v_mov_b32_dpp v38, v1 quad_perm:[2,3,0,1] row_mask:0xf bank_mask:0xf
	v_add_f32_e32 v1, v1, v38
	s_nop 1
	v_mov_b32_dpp v38, v1 row_half_mirror row_mask:0xf bank_mask:0xf
	v_add_f32_e32 v1, v1, v38
	s_nop 1
	v_mov_b32_dpp v38, v1 row_mirror row_mask:0xf bank_mask:0xf
	v_add_f32_e32 v1, v1, v38
	s_nop 1
	v_mov_b32_dpp v38, v1 row_bcast:15 row_mask:0xf bank_mask:0xf
	v_add_f32_e32 v1, v1, v38
	s_nop 1
	v_mov_b32_dpp v38, v1 row_bcast:31 row_mask:0xf bank_mask:0xf
	s_and_saveexec_b64 s[2:3], s[0:1]
	s_cbranch_execz .LBB19_3
; %bb.2:
	v_lshrrev_b32_e32 v39, 4, v0
	v_and_b32_e32 v39, 60, v39
	v_add_f32_e32 v1, v1, v38
	ds_write_b32 v39, v1 offset:16
.LBB19_3:
	s_or_b64 exec, exec, s[2:3]
	v_and_b32_e32 v1, 3, v0
	v_lshlrev_b32_e32 v1, 2, v1
	s_waitcnt lgkmcnt(0)
	s_barrier
	ds_read_b32 v38, v1 offset:16
	v_cvt_f32_i32_e32 v39, s9
	s_waitcnt vmcnt(5)
	v_cvt_f32_f16_sdwa v51, v13 dst_sel:DWORD dst_unused:UNUSED_PAD src0_sel:WORD_1
	v_cvt_f32_f16_e32 v50, v13
	s_waitcnt vmcnt(4)
	v_cvt_f32_f16_sdwa v13, v7 dst_sel:DWORD dst_unused:UNUSED_PAD src0_sel:WORD_1
	s_waitcnt lgkmcnt(0)
	v_mov_b32_dpp v40, v38 quad_perm:[1,0,3,2] row_mask:0xf bank_mask:0xf
	v_add_f32_e32 v38, v38, v40
	s_cmp_lg_u32 s14, 0
	s_nop 0
	v_mov_b32_dpp v40, v38 quad_perm:[2,3,0,1] row_mask:0xf bank_mask:0xf
	v_add_f32_e32 v38, v38, v40
	v_div_scale_f32 v40, s[2:3], v39, v39, v38
	v_rcp_f32_e32 v41, v40
	v_div_scale_f32 v42, vcc, v38, v39, v38
	s_mov_b32 s2, 0x800000
	v_fma_f32 v43, -v40, v41, 1.0
	v_fmac_f32_e32 v41, v43, v41
	v_mul_f32_e32 v43, v42, v41
	v_fma_f32 v44, -v40, v43, v42
	v_fmac_f32_e32 v43, v44, v41
	v_fma_f32 v40, -v40, v43, v42
	v_div_fmas_f32 v40, v40, v41, v43
	v_div_fixup_f32 v38, v40, v39, v38
	v_cvt_f64_f32_e32 v[38:39], v38
	v_add_f64 v[38:39], v[38:39], s[28:29]
	v_cvt_f32_f64_e32 v38, v[38:39]
	v_mul_f32_e32 v39, 0x4b800000, v38
	v_cmp_gt_f32_e32 vcc, s2, v38
	v_cndmask_b32_e32 v38, v38, v39, vcc
	v_rsq_f32_e32 v39, v38
	v_mul_u32_u24_e32 v38, 24, v0
	v_mul_f32_e32 v40, 0x45800000, v39
	v_cndmask_b32_e32 v40, v39, v40, vcc
	v_mov_b32_e32 v41, v40
	;;#ASMSTART
	v_pk_mul_f32 v[34:35], v[34:35], v[40:41]
	;;#ASMEND
	;;#ASMSTART
	v_pk_mul_f32 v[36:37], v[36:37], v[40:41]
	;;#ASMEND
	;; [unrolled: 3-line block ×12, first 2 shown]
	v_cvt_f32_f16_sdwa v15, v10 dst_sel:DWORD dst_unused:UNUSED_PAD src0_sel:WORD_1
	v_cvt_f32_f16_e32 v14, v10
	v_cvt_f32_f16_sdwa v19, v11 dst_sel:DWORD dst_unused:UNUSED_PAD src0_sel:WORD_1
	v_cvt_f32_f16_e32 v18, v11
	;; [unrolled: 2-line block ×3, first 2 shown]
	;;#ASMSTART
	v_pk_mul_f32 v[24:25], v[34:35], v[14:15]
	;;#ASMEND
	;;#ASMSTART
	v_pk_mul_f32 v[22:23], v[36:37], v[18:19]
	;;#ASMEND
	;; [unrolled: 3-line block ×3, first 2 shown]
	v_cvt_f32_f16_sdwa v11, v6 dst_sel:DWORD dst_unused:UNUSED_PAD src0_sel:WORD_1
	v_cvt_f32_f16_e32 v10, v6
	v_cvt_f32_f16_e32 v12, v7
	v_cvt_f32_f16_sdwa v7, v8 dst_sel:DWORD dst_unused:UNUSED_PAD src0_sel:WORD_1
	v_cvt_f32_f16_e32 v6, v8
	;;#ASMSTART
	v_pk_mul_f32 v[16:17], v[42:43], v[50:51]
	;;#ASMEND
	v_cvt_f32_f16_sdwa v35, v9 dst_sel:DWORD dst_unused:UNUSED_PAD src0_sel:WORD_1
	v_cvt_f32_f16_e32 v34, v9
	;;#ASMSTART
	v_pk_mul_f32 v[18:19], v[44:45], v[10:11]
	;;#ASMEND
	;;#ASMSTART
	v_pk_mul_f32 v[14:15], v[32:33], v[12:13]
	;;#ASMEND
	;;#ASMSTART
	v_pk_mul_f32 v[12:13], v[30:31], v[6:7]
	;;#ASMEND
	;;#ASMSTART
	v_pk_mul_f32 v[8:9], v[28:29], v[34:35]
	;;#ASMEND
	s_waitcnt vmcnt(3)
	v_cvt_f32_f16_sdwa v7, v2 dst_sel:DWORD dst_unused:UNUSED_PAD src0_sel:WORD_1
	v_cvt_f32_f16_e32 v6, v2
	v_cvt_f32_f16_e32 v28, v3
	v_cvt_f32_f16_sdwa v29, v3 dst_sel:DWORD dst_unused:UNUSED_PAD src0_sel:WORD_1
	v_cvt_f32_f16_sdwa v3, v4 dst_sel:DWORD dst_unused:UNUSED_PAD src0_sel:WORD_1
	v_cvt_f32_f16_e32 v2, v4
	;;#ASMSTART
	v_pk_mul_f32 v[10:11], v[26:27], v[6:7]
	;;#ASMEND
	;;#ASMSTART
	v_pk_mul_f32 v[6:7], v[46:47], v[28:29]
	;;#ASMEND
	v_and_b32_e32 v26, 0x7fffffff, v24
	v_mov_b32_e32 v28, 0x2edbe6ff
	v_cvt_f32_f16_sdwa v31, v5 dst_sel:DWORD dst_unused:UNUSED_PAD src0_sel:WORD_1
	v_cvt_f32_f16_e32 v30, v5
	;;#ASMSTART
	v_pk_mul_f32 v[4:5], v[48:49], v[2:3]
	;;#ASMEND
	;;#ASMSTART
	v_pk_mul_f32 v[2:3], v[40:41], v[30:31]
	;;#ASMEND
	v_and_b32_e32 v27, 0x7fffffff, v25
	;;#ASMSTART
	v_max3_f32 v26, v28, v26, v27

	;;#ASMEND
	v_and_b32_e32 v28, 0x7fffffff, v23
	v_and_b32_e32 v27, 0x7fffffff, v22
	;;#ASMSTART
	v_max3_f32 v26, v26, v27, v28

	;;#ASMEND
	v_and_b32_e32 v28, 0x7fffffff, v21
	;; [unrolled: 6-line block ×11, first 2 shown]
	v_and_b32_e32 v27, 0x7fffffff, v2
	;;#ASMSTART
	v_max3_f32 v28, v26, v27, v28

	;;#ASMEND
	s_cbranch_scc0 .LBB19_10
; %bb.4:
	s_mul_hi_i32 s2, s14, 0x2aaaaaab
	s_lshr_b32 s3, s2, 31
	s_ashr_i32 s10, s2, 2
	s_add_i32 s10, s10, s3
	s_cmp_lt_i32 s10, 16
	s_cbranch_scc1 .LBB19_11
; %bb.5:
	s_cmp_lt_i32 s10, 32
	s_cbranch_scc1 .LBB19_12
; %bb.6:
	;; [unrolled: 3-line block ×3, first 2 shown]
	s_cmp_eq_u32 s10, 64
	v_mov_b32_e32 v26, v28
	s_cbranch_scc0 .LBB19_9
; %bb.8:
	s_nop 0
	v_mov_b32_dpp v26, v28 quad_perm:[1,0,3,2] row_mask:0xf bank_mask:0xf
	v_cmp_gt_f32_e32 vcc, v28, v26
	v_cndmask_b32_e32 v26, v26, v28, vcc
	v_bfrev_b32_e32 v29, 0.5
	s_nop 0
	v_mov_b32_dpp v27, v26 quad_perm:[2,3,0,1] row_mask:0xf bank_mask:0xf
	v_cmp_gt_f32_e32 vcc, v26, v27
	v_cndmask_b32_e32 v26, v27, v26, vcc
	s_nop 1
	v_mov_b32_dpp v27, v26 row_ror:4 row_mask:0xf bank_mask:0xf
	v_cmp_gt_f32_e32 vcc, v26, v27
	v_cndmask_b32_e32 v26, v27, v26, vcc
	s_nop 1
	v_mov_b32_dpp v27, v26 row_ror:8 row_mask:0xf bank_mask:0xf
	v_cmp_gt_f32_e32 vcc, v26, v27
	v_cndmask_b32_e32 v26, v27, v26, vcc
	s_nop 1
	v_mov_b32_dpp v27, v26 row_bcast:15 row_mask:0xf bank_mask:0xf
	v_cmp_gt_f32_e32 vcc, v26, v27
	v_cndmask_b32_e32 v26, v27, v26, vcc
	s_nop 1
	v_mov_b32_dpp v27, v26 row_bcast:31 row_mask:0xf bank_mask:0xf
	v_cmp_gt_f32_e32 vcc, v26, v27
	v_cndmask_b32_e32 v26, v27, v26, vcc
	v_mbcnt_lo_u32_b32 v27, -1, 0
	v_mbcnt_hi_u32_b32 v27, -1, v27
	v_lshl_or_b32 v27, v27, 2, v29
	ds_bpermute_b32 v26, v27, v26
.LBB19_9:
	s_mov_b64 s[2:3], 0
	s_branch .LBB19_14
.LBB19_10:
	s_mov_b64 s[2:3], 0
                                        ; implicit-def: $vgpr29
                                        ; implicit-def: $vgpr26_vgpr27
	s_cbranch_execnz .LBB19_43
	s_branch .LBB19_46
.LBB19_11:
                                        ; implicit-def: $vgpr26
	s_branch .LBB19_21
.LBB19_12:
                                        ; implicit-def: $vgpr26
	s_branch .LBB19_18
.LBB19_13:
	s_mov_b64 s[2:3], -1
                                        ; implicit-def: $vgpr26
.LBB19_14:
	s_andn2_b64 vcc, exec, s[2:3]
	s_cbranch_vccnz .LBB19_17
; %bb.15:
	s_cmp_eq_u32 s10, 32
	s_waitcnt lgkmcnt(0)
	v_mov_b32_e32 v26, v28
	s_cbranch_scc0 .LBB19_17
; %bb.16:
	s_nop 0
	v_mov_b32_dpp v26, v28 quad_perm:[1,0,3,2] row_mask:0xf bank_mask:0xf
	v_cmp_gt_f32_e32 vcc, v28, v26
	v_cndmask_b32_e32 v26, v26, v28, vcc
	v_mov_b32_e32 v29, 0x7c
	s_nop 0
	v_mov_b32_dpp v27, v26 quad_perm:[2,3,0,1] row_mask:0xf bank_mask:0xf
	v_cmp_gt_f32_e32 vcc, v26, v27
	v_cndmask_b32_e32 v26, v27, v26, vcc
	s_nop 1
	v_mov_b32_dpp v27, v26 row_half_mirror row_mask:0xf bank_mask:0xf
	v_cmp_gt_f32_e32 vcc, v26, v27
	v_cndmask_b32_e32 v26, v27, v26, vcc
	s_nop 1
	v_mov_b32_dpp v27, v26 row_mirror row_mask:0xf bank_mask:0xf
	v_cmp_gt_f32_e32 vcc, v26, v27
	v_cndmask_b32_e32 v26, v27, v26, vcc
	s_nop 1
	v_mov_b32_dpp v27, v26 row_bcast:15 row_mask:0xa bank_mask:0xf
	v_cmp_gt_f32_e32 vcc, v26, v27
	v_cndmask_b32_e32 v26, v27, v26, vcc
	v_mbcnt_lo_u32_b32 v27, -1, 0
	v_mbcnt_hi_u32_b32 v27, -1, v27
	v_lshl_or_b32 v27, v27, 2, v29
	ds_bpermute_b32 v26, v27, v26
.LBB19_17:
	s_cbranch_execnz .LBB19_20
.LBB19_18:
	s_cmp_eq_u32 s10, 16
	s_waitcnt lgkmcnt(0)
	v_mov_b32_e32 v26, v28
	s_cbranch_scc0 .LBB19_20
; %bb.19:
	s_nop 0
	v_mov_b32_dpp v26, v28 quad_perm:[1,0,3,2] row_mask:0xf bank_mask:0xf
	v_cmp_gt_f32_e32 vcc, v28, v26
	v_cndmask_b32_e32 v26, v26, v28, vcc
	s_nop 1
	v_mov_b32_dpp v27, v26 quad_perm:[2,3,0,1] row_mask:0xf bank_mask:0xf
	v_cmp_gt_f32_e32 vcc, v26, v27
	v_cndmask_b32_e32 v26, v27, v26, vcc
	s_nop 1
	v_mov_b32_dpp v27, v26 row_half_mirror row_mask:0xf bank_mask:0xf
	v_cmp_gt_f32_e32 vcc, v26, v27
	v_cndmask_b32_e32 v26, v27, v26, vcc
	s_nop 1
	v_mov_b32_dpp v27, v26 row_mirror row_mask:0xf bank_mask:0xf
	v_cmp_gt_f32_e32 vcc, v26, v27
	v_cndmask_b32_e32 v26, v27, v26, vcc
.LBB19_20:
	s_cbranch_execnz .LBB19_33
.LBB19_21:
	s_cmp_lt_i32 s10, 4
	s_cbranch_scc1 .LBB19_25
; %bb.22:
	s_cmp_lt_i32 s10, 8
	s_cbranch_scc1 .LBB19_26
; %bb.23:
	s_cmp_eq_u32 s10, 8
	s_waitcnt lgkmcnt(0)
	v_mov_b32_e32 v26, v28
	s_cbranch_scc0 .LBB19_27
; %bb.24:
	s_nop 0
	v_mov_b32_dpp v26, v28 quad_perm:[1,0,3,2] row_mask:0xf bank_mask:0xf
	v_cmp_gt_f32_e32 vcc, v28, v26
	v_cndmask_b32_e32 v26, v26, v28, vcc
	s_nop 1
	v_mov_b32_dpp v27, v26 quad_perm:[2,3,0,1] row_mask:0xf bank_mask:0xf
	v_cmp_gt_f32_e32 vcc, v26, v27
	v_cndmask_b32_e32 v26, v27, v26, vcc
	s_nop 1
	v_mov_b32_dpp v27, v26 row_half_mirror row_mask:0xf bank_mask:0xf
	v_cmp_gt_f32_e32 vcc, v26, v27
	v_cndmask_b32_e32 v26, v27, v26, vcc
	s_cbranch_execz .LBB19_28
	s_branch .LBB19_30
.LBB19_25:
                                        ; implicit-def: $vgpr26
	s_branch .LBB19_31
.LBB19_26:
                                        ; implicit-def: $vgpr26
	s_branch .LBB19_28
.LBB19_27:
	s_cbranch_execnz .LBB19_30
.LBB19_28:
	s_cmp_eq_u32 s10, 4
	s_waitcnt lgkmcnt(0)
	v_mov_b32_e32 v26, v28
	s_cbranch_scc0 .LBB19_30
; %bb.29:
	s_nop 0
	v_mov_b32_dpp v26, v28 quad_perm:[1,0,3,2] row_mask:0xf bank_mask:0xf
	v_cmp_gt_f32_e32 vcc, v28, v26
	v_cndmask_b32_e32 v26, v26, v28, vcc
	s_nop 1
	v_mov_b32_dpp v27, v26 quad_perm:[2,3,0,1] row_mask:0xf bank_mask:0xf
	v_cmp_gt_f32_e32 vcc, v26, v27
	v_cndmask_b32_e32 v26, v27, v26, vcc
.LBB19_30:
	s_cbranch_execnz .LBB19_33
.LBB19_31:
	s_cmp_lg_u32 s10, 2
	s_waitcnt lgkmcnt(0)
	v_mov_b32_e32 v26, v28
	s_cbranch_scc1 .LBB19_33
; %bb.32:
	s_nop 0
	v_mov_b32_dpp v26, v28 quad_perm:[1,0,3,2] row_mask:0xf bank_mask:0xf
	v_cmp_gt_f32_e32 vcc, v28, v26
	v_cndmask_b32_e32 v26, v26, v28, vcc
.LBB19_33:
	v_cvt_f32_u32_e32 v27, s10
	s_waitcnt lgkmcnt(0)
	v_mul_f32_e32 v29, 0x3b124925, v26
	s_sub_i32 s2, 0, s10
	v_cmp_gt_u32_e32 vcc, s9, v38
	v_rcp_iflag_f32_e32 v27, v27
	s_mov_b64 s[4:5], 0
	v_mul_f32_e32 v26, 0x4f7ffffe, v27
	v_cvt_u32_f32_e32 v26, v26
	v_mul_lo_u32 v27, s2, v26
	v_mul_hi_u32 v27, v26, v27
	v_add_u32_e32 v26, v26, v27
	v_mul_hi_u32 v26, v0, v26
	v_mul_lo_u32 v27, v26, s10
	v_sub_u32_e32 v27, v0, v27
	v_add_u32_e32 v30, 1, v26
	v_cmp_le_u32_e64 s[2:3], s10, v27
	v_cndmask_b32_e64 v26, v26, v30, s[2:3]
	v_subrev_u32_e32 v30, s10, v27
	v_cndmask_b32_e64 v27, v27, v30, s[2:3]
	v_add_u32_e32 v30, 1, v26
	v_cmp_le_u32_e64 s[2:3], s10, v27
	v_cndmask_b32_e64 v30, v26, v30, s[2:3]
	v_mul_lo_u32 v26, v30, s10
	v_sub_u32_e32 v26, v0, v26
	v_cmp_eq_u32_e64 s[2:3], 0, v26
	s_and_b64 s[10:11], s[2:3], vcc
	s_mov_b64 s[2:3], 0
                                        ; implicit-def: $vgpr26_vgpr27
	s_and_saveexec_b64 s[18:19], s[10:11]
	s_xor_b64 s[10:11], exec, s[18:19]
	s_cbranch_execz .LBB19_42
; %bb.34:
	s_bitcmp0_b32 s15, 0
	s_cbranch_scc0 .LBB19_39
; %bb.35:
	s_ashr_i32 s2, s9, 31
	s_mul_hi_u32 s3, s9, s6
	s_mul_i32 s2, s2, s6
	s_add_i32 s19, s3, s2
	s_mul_i32 s18, s9, s6
	s_ashr_i32 s15, s14, 31
	s_or_b64 s[2:3], s[18:19], s[14:15]
	s_mov_b32 s2, 0
	s_cmp_lg_u64 s[2:3], 0
	s_cbranch_scc0 .LBB19_50
; %bb.36:
	s_add_u32 s2, s14, s15
	s_mov_b32 s24, s15
	s_mov_b32 s25, s15
	s_addc_u32 s3, s15, s15
	s_xor_b64 s[26:27], s[2:3], s[24:25]
	v_cvt_f32_u32_e32 v26, s26
	v_cvt_f32_u32_e32 v27, s27
	s_sub_u32 s2, 0, s26
	s_subb_u32 s3, 0, s27
	v_madmk_f32 v26, v27, 0x4f800000, v26
	v_rcp_f32_e32 v26, v26
	v_mul_f32_e32 v26, 0x5f7ffffc, v26
	v_mul_f32_e32 v27, 0x2f800000, v26
	v_trunc_f32_e32 v27, v27
	v_madmk_f32 v26, v27, 0xcf800000, v26
	v_cvt_u32_f32_e32 v27, v27
	v_cvt_u32_f32_e32 v26, v26
	v_readfirstlane_b32 s12, v27
	v_readfirstlane_b32 s15, v26
	s_mul_i32 s28, s2, s12
	s_mul_hi_u32 s30, s2, s15
	s_mul_i32 s29, s3, s15
	s_add_i32 s28, s30, s28
	s_add_i32 s28, s28, s29
	s_mul_i32 s31, s2, s15
	s_mul_hi_u32 s29, s15, s28
	s_mul_i32 s30, s15, s28
	s_mul_hi_u32 s15, s15, s31
	s_add_u32 s15, s15, s30
	s_addc_u32 s29, 0, s29
	s_mul_hi_u32 s33, s12, s31
	s_mul_i32 s31, s12, s31
	s_add_u32 s15, s15, s31
	s_mul_hi_u32 s30, s12, s28
	s_addc_u32 s15, s29, s33
	s_addc_u32 s29, s30, 0
	s_mul_i32 s28, s12, s28
	s_add_u32 s15, s15, s28
	s_addc_u32 s28, 0, s29
	v_add_co_u32_e32 v26, vcc, s15, v26
	s_cmp_lg_u64 vcc, 0
	s_addc_u32 s12, s12, s28
	v_readfirstlane_b32 s28, v26
	s_mul_i32 s15, s2, s12
	s_mul_hi_u32 s29, s2, s28
	s_add_i32 s15, s29, s15
	s_mul_i32 s3, s3, s28
	s_add_i32 s15, s15, s3
	s_mul_i32 s2, s2, s28
	s_mul_hi_u32 s29, s12, s2
	s_mul_i32 s30, s12, s2
	s_mul_i32 s33, s28, s15
	s_mul_hi_u32 s2, s28, s2
	s_mul_hi_u32 s31, s28, s15
	s_add_u32 s2, s2, s33
	s_addc_u32 s28, 0, s31
	s_add_u32 s2, s2, s30
	s_mul_hi_u32 s3, s12, s15
	s_addc_u32 s2, s28, s29
	s_addc_u32 s3, s3, 0
	s_mul_i32 s15, s12, s15
	s_add_u32 s2, s2, s15
	s_addc_u32 s3, 0, s3
	v_add_co_u32_e32 v26, vcc, s2, v26
	s_cmp_lg_u64 vcc, 0
	s_addc_u32 s12, s12, s3
	s_ashr_i32 s28, s19, 31
	s_add_u32 s2, s18, s28
	s_mov_b32 s29, s28
	s_addc_u32 s3, s19, s28
	s_xor_b64 s[30:31], s[2:3], s[28:29]
	v_readfirstlane_b32 s15, v26
	s_mul_i32 s3, s30, s12
	s_mul_hi_u32 s19, s30, s15
	s_mul_hi_u32 s2, s30, s12
	s_add_u32 s3, s19, s3
	s_addc_u32 s2, 0, s2
	s_mul_hi_u32 s33, s31, s15
	s_mul_i32 s15, s31, s15
	s_add_u32 s3, s3, s15
	s_mul_hi_u32 s19, s31, s12
	s_addc_u32 s2, s2, s33
	s_addc_u32 s3, s19, 0
	s_mul_i32 s12, s31, s12
	s_add_u32 s12, s2, s12
	s_addc_u32 s15, 0, s3
	s_mul_i32 s2, s26, s15
	s_mul_hi_u32 s3, s26, s12
	s_add_i32 s2, s3, s2
	s_mul_i32 s3, s27, s12
	s_add_i32 s19, s2, s3
	s_mul_i32 s3, s26, s12
	v_mov_b32_e32 v26, s3
	s_sub_i32 s2, s31, s19
	v_sub_co_u32_e32 v26, vcc, s30, v26
	s_cmp_lg_u64 vcc, 0
	s_subb_u32 s30, s2, s27
	v_subrev_co_u32_e64 v27, s[2:3], s26, v26
	s_cmp_lg_u64 s[2:3], 0
	s_subb_u32 s30, s30, 0
	s_cmp_ge_u32 s30, s27
	s_cselect_b32 s33, -1, 0
	v_cmp_le_u32_e64 s[2:3], s26, v27
	s_cmp_eq_u32 s30, s27
	v_cndmask_b32_e64 v27, 0, -1, s[2:3]
	v_mov_b32_e32 v31, s33
	s_cselect_b64 s[2:3], -1, 0
	v_cndmask_b32_e64 v27, v31, v27, s[2:3]
	s_add_u32 s2, s12, 1
	s_addc_u32 s30, s15, 0
	s_add_u32 s3, s12, 2
	s_addc_u32 s33, s15, 0
	v_mov_b32_e32 v31, s2
	v_mov_b32_e32 v32, s3
	v_cmp_ne_u32_e64 s[2:3], 0, v27
	v_cndmask_b32_e64 v27, v31, v32, s[2:3]
	v_mov_b32_e32 v31, s30
	v_mov_b32_e32 v32, s33
	s_cmp_lg_u64 vcc, 0
	v_cndmask_b32_e64 v31, v31, v32, s[2:3]
	s_subb_u32 s2, s31, s19
	s_cmp_ge_u32 s2, s27
	s_cselect_b32 s3, -1, 0
	v_cmp_le_u32_e32 vcc, s26, v26
	s_cmp_eq_u32 s2, s27
	v_cndmask_b32_e64 v26, 0, -1, vcc
	v_mov_b32_e32 v32, s3
	s_cselect_b64 vcc, -1, 0
	v_cndmask_b32_e32 v26, v32, v26, vcc
	v_mov_b32_e32 v32, s15
	v_cmp_ne_u32_e32 vcc, 0, v26
	v_cndmask_b32_e32 v26, v32, v31, vcc
	v_mov_b32_e32 v31, s12
	v_cndmask_b32_e32 v27, v31, v27, vcc
	s_xor_b64 s[2:3], s[28:29], s[24:25]
	v_xor_b32_e32 v27, s2, v27
	v_xor_b32_e32 v31, s3, v26
	v_mov_b32_e32 v32, s3
	v_subrev_co_u32_e32 v26, vcc, s2, v27
	v_subb_co_u32_e32 v27, vcc, v31, v32, vcc
	s_cbranch_execnz .LBB19_38
.LBB19_37:
	v_cvt_f32_u32_e32 v26, s14
	s_sub_i32 s2, 0, s14
	s_mov_b32 s3, 0
	v_rcp_iflag_f32_e32 v26, v26
	v_mul_f32_e32 v26, 0x4f7ffffe, v26
	v_cvt_u32_f32_e32 v26, v26
	v_readfirstlane_b32 s12, v26
	s_mul_i32 s2, s2, s12
	s_mul_hi_u32 s2, s12, s2
	s_add_i32 s12, s12, s2
	s_mul_hi_u32 s2, s18, s12
	s_mul_i32 s15, s2, s14
	s_sub_i32 s15, s18, s15
	s_add_i32 s12, s2, 1
	s_sub_i32 s18, s15, s14
	s_cmp_ge_u32 s15, s14
	s_cselect_b32 s2, s12, s2
	s_cselect_b32 s15, s18, s15
	s_add_i32 s12, s2, 1
	s_cmp_ge_u32 s15, s14
	s_cselect_b32 s2, s12, s2
	v_pk_mov_b32 v[26:27], s[2:3], s[2:3] op_sel:[0,1]
.LBB19_38:
	v_add_co_u32_e32 v26, vcc, v26, v30
	v_addc_co_u32_e32 v27, vcc, 0, v27, vcc
	s_branch .LBB19_41
.LBB19_39:
                                        ; implicit-def: $vgpr26_vgpr27
	s_cbranch_execz .LBB19_41
; %bb.40:
	v_mul_lo_u32 v26, v30, s8
	v_ashrrev_i32_e32 v27, 31, v26
	v_mov_b32_e32 v30, s7
	v_add_co_u32_e32 v26, vcc, s6, v26
	v_addc_co_u32_e32 v27, vcc, v27, v30, vcc
.LBB19_41:
	s_mov_b64 s[2:3], exec
.LBB19_42:
	s_or_b64 exec, exec, s[10:11]
	s_and_b64 vcc, exec, s[4:5]
	s_cbranch_vccz .LBB19_46
.LBB19_43:
	v_mov_b32_dpp v26, v28 quad_perm:[1,0,3,2] row_mask:0xf bank_mask:0xf
	v_cmp_gt_f32_e32 vcc, v28, v26
	v_cndmask_b32_e32 v26, v26, v28, vcc
	s_nop 1
	v_mov_b32_dpp v27, v26 quad_perm:[2,3,0,1] row_mask:0xf bank_mask:0xf
	v_cmp_gt_f32_e32 vcc, v26, v27
	v_cndmask_b32_e32 v26, v27, v26, vcc
	s_nop 1
	v_mov_b32_dpp v27, v26 row_half_mirror row_mask:0xf bank_mask:0xf
	v_cmp_gt_f32_e32 vcc, v26, v27
	v_cndmask_b32_e32 v26, v27, v26, vcc
	s_nop 1
	v_mov_b32_dpp v27, v26 row_mirror row_mask:0xf bank_mask:0xf
	v_cmp_gt_f32_e32 vcc, v26, v27
	v_cndmask_b32_e32 v26, v27, v26, vcc
	s_nop 1
	v_mov_b32_dpp v27, v26 row_bcast:15 row_mask:0xf bank_mask:0xf
	v_cmp_gt_f32_e32 vcc, v26, v27
	v_cndmask_b32_e32 v26, v27, v26, vcc
	s_nop 1
	v_mov_b32_dpp v27, v26 row_bcast:31 row_mask:0xf bank_mask:0xf
	s_and_saveexec_b64 s[2:3], s[0:1]
	s_cbranch_execz .LBB19_45
; %bb.44:
	v_lshrrev_b32_e32 v28, 4, v0
	v_cmp_gt_f32_e32 vcc, v26, v27
	v_and_b32_e32 v28, 60, v28
	v_cndmask_b32_e32 v26, v27, v26, vcc
	ds_write_b32 v28, v26
.LBB19_45:
	s_or_b64 exec, exec, s[2:3]
	s_waitcnt lgkmcnt(0)
	s_barrier
	ds_read_b32 v1, v1
	v_cmp_eq_u32_e64 s[2:3], 0, v0
	s_waitcnt lgkmcnt(0)
	v_mov_b32_dpp v26, v1 quad_perm:[1,0,3,2] row_mask:0xf bank_mask:0xf
	v_cmp_gt_f32_e32 vcc, v1, v26
	v_cndmask_b32_e32 v1, v26, v1, vcc
	s_nop 1
	v_mov_b32_dpp v26, v1 quad_perm:[2,3,0,1] row_mask:0xf bank_mask:0xf
	v_cmp_gt_f32_e32 vcc, v1, v26
	v_cndmask_b32_e32 v1, v26, v1, vcc
	v_mul_f32_e32 v29, 0x3b124925, v1
	v_pk_mov_b32 v[26:27], s[6:7], s[6:7] op_sel:[0,1]
.LBB19_46:
	s_and_saveexec_b64 s[0:1], s[2:3]
	s_cbranch_execz .LBB19_48
; %bb.47:
	v_lshlrev_b64 v[0:1], 2, v[26:27]
	v_mov_b32_e32 v26, s21
	v_add_co_u32_e32 v0, vcc, s20, v0
	v_addc_co_u32_e32 v1, vcc, v26, v1, vcc
	global_store_dword v[0:1], v29, off
.LBB19_48:
	s_or_b64 exec, exec, s[0:1]
	s_add_i32 s0, s9, 3
	s_ashr_i32 s1, s0, 31
	s_lshr_b32 s1, s1, 30
	s_add_i32 s0, s0, s1
	;;#ASMSTART
	v_rcp_f32 v0, v29
	;;#ASMEND
	v_mov_b32_e32 v1, v0
	;;#ASMSTART
	v_pk_mul_f32 v[24:25], v[24:25], v[0:1]
	;;#ASMEND
	s_and_b32 s2, s0, -4
	s_ashr_i32 s0, s13, 31
	v_mov_b32_e32 v26, 0xc3e00000
	v_mov_b32_e32 v27, 0x43e00000
	;;#ASMSTART
	v_med3_f32 v24, v24, v26, v27
v_med3_f32 v25, v25, v26, v27
v_cvt_pk_fp8_f32 v28, v24, v25
	;;#ASMEND
	;;#ASMSTART
	v_pk_mul_f32 v[22:23], v[22:23], v[0:1]
	;;#ASMEND
	s_mul_hi_u32 s1, s13, s6
	s_mul_i32 s0, s0, s6
	;;#ASMSTART
	v_med3_f32 v22, v22, v26, v27
v_med3_f32 v23, v23, v26, v27
v_cvt_pk_fp8_f32 v24, v22, v23
	;;#ASMEND
	s_mov_b32 s5, 0x5040100
	s_add_i32 s1, s1, s0
	s_mul_i32 s0, s13, s6
	v_perm_b32 v23, v24, v28, s5
	s_movk_i32 s6, 0xff
	v_and_b32_e32 v22, 0xffffff00, v24
	v_and_b32_sdwa v24, v23, s6 dst_sel:DWORD dst_unused:UNUSED_PAD src0_sel:WORD_1 src1_sel:DWORD
	s_mov_b32 s4, 0xffff
	v_or_b32_sdwa v22, v24, v22 dst_sel:WORD_1 dst_unused:UNUSED_PAD src0_sel:DWORD src1_sel:DWORD
	;;#ASMSTART
	v_pk_mul_f32 v[20:21], v[20:21], v[0:1]
	;;#ASMEND
	v_and_or_b32 v22, v23, s4, v22
	;;#ASMSTART
	v_med3_f32 v20, v20, v26, v27
v_med3_f32 v21, v21, v26, v27
v_cvt_pk_fp8_f32 v23, v20, v21
	;;#ASMEND
	;;#ASMSTART
	v_pk_mul_f32 v[16:17], v[16:17], v[0:1]
	;;#ASMEND
	s_add_u32 s0, s16, s0
	;;#ASMSTART
	v_med3_f32 v16, v16, v26, v27
v_med3_f32 v17, v17, v26, v27
v_cvt_pk_fp8_f32 v20, v16, v17
	;;#ASMEND
	s_addc_u32 s1, s17, s1
	v_lshlrev_b32_e32 v16, 16, v20
	s_and_b32 s1, s1, 0xffff
	s_mov_b32 s3, 0x20000
	v_and_or_b32 v23, v23, s4, v16
	buffer_store_dwordx2 v[22:23], v38, s[0:3], 0 offen
	;;#ASMSTART
	s_nop 0
	;;#ASMEND
	;;#ASMSTART
	v_pk_mul_f32 v[16:17], v[18:19], v[0:1]
	;;#ASMEND
	;;#ASMSTART
	v_med3_f32 v16, v16, v26, v27
v_med3_f32 v17, v17, v26, v27
v_cvt_pk_fp8_f32 v18, v16, v17
	;;#ASMEND
	;;#ASMSTART
	v_pk_mul_f32 v[14:15], v[14:15], v[0:1]
	;;#ASMEND
	;;#ASMSTART
	v_med3_f32 v14, v14, v26, v27
v_med3_f32 v15, v15, v26, v27
v_cvt_pk_fp8_f32 v16, v14, v15
	;;#ASMEND
	v_perm_b32 v15, v16, v18, s5
	v_and_b32_e32 v14, 0xffffff00, v16
	v_and_b32_sdwa v16, v15, s6 dst_sel:DWORD dst_unused:UNUSED_PAD src0_sel:WORD_1 src1_sel:DWORD
	v_or_b32_sdwa v14, v16, v14 dst_sel:WORD_1 dst_unused:UNUSED_PAD src0_sel:DWORD src1_sel:DWORD
	;;#ASMSTART
	v_pk_mul_f32 v[12:13], v[12:13], v[0:1]
	;;#ASMEND
	v_and_or_b32 v14, v15, s4, v14
	;;#ASMSTART
	v_med3_f32 v12, v12, v26, v27
v_med3_f32 v13, v13, v26, v27
v_cvt_pk_fp8_f32 v15, v12, v13
	;;#ASMEND
	;;#ASMSTART
	v_pk_mul_f32 v[8:9], v[8:9], v[0:1]
	;;#ASMEND
	;;#ASMSTART
	v_med3_f32 v8, v8, v26, v27
v_med3_f32 v9, v9, v26, v27
v_cvt_pk_fp8_f32 v12, v8, v9
	;;#ASMEND
	v_lshlrev_b32_e32 v8, 16, v12
	v_and_or_b32 v15, v15, s4, v8
	buffer_store_dwordx2 v[14:15], v38, s[0:3], 8 offen
	;;#ASMSTART
	s_nop 0
	;;#ASMEND
	;;#ASMSTART
	v_pk_mul_f32 v[8:9], v[10:11], v[0:1]
	;;#ASMEND
	;;#ASMSTART
	v_med3_f32 v8, v8, v26, v27
v_med3_f32 v9, v9, v26, v27
v_cvt_pk_fp8_f32 v10, v8, v9
	;;#ASMEND
	;;#ASMSTART
	v_pk_mul_f32 v[6:7], v[6:7], v[0:1]
	;;#ASMEND
	;;#ASMSTART
	v_med3_f32 v6, v6, v26, v27
v_med3_f32 v7, v7, v26, v27
v_cvt_pk_fp8_f32 v8, v6, v7
	;;#ASMEND
	v_perm_b32 v7, v8, v10, s5
	v_and_b32_e32 v6, 0xffffff00, v8
	v_and_b32_sdwa v8, v7, s6 dst_sel:DWORD dst_unused:UNUSED_PAD src0_sel:WORD_1 src1_sel:DWORD
	v_or_b32_sdwa v6, v8, v6 dst_sel:WORD_1 dst_unused:UNUSED_PAD src0_sel:DWORD src1_sel:DWORD
	;;#ASMSTART
	v_pk_mul_f32 v[4:5], v[4:5], v[0:1]
	;;#ASMEND
	v_and_or_b32 v6, v7, s4, v6
	;;#ASMSTART
	v_med3_f32 v4, v4, v26, v27
v_med3_f32 v5, v5, v26, v27
v_cvt_pk_fp8_f32 v7, v4, v5
	;;#ASMEND
	;;#ASMSTART
	v_pk_mul_f32 v[0:1], v[2:3], v[0:1]
	;;#ASMEND
	;;#ASMSTART
	v_med3_f32 v0, v0, v26, v27
v_med3_f32 v1, v1, v26, v27
v_cvt_pk_fp8_f32 v2, v0, v1
	;;#ASMEND
	v_lshlrev_b32_e32 v0, 16, v2
	v_and_or_b32 v7, v7, s4, v0
	buffer_store_dwordx2 v[6:7], v38, s[0:3], 16 offen
	;;#ASMSTART
	s_nop 0
	;;#ASMEND
.LBB19_49:
	s_endpgm
.LBB19_50:
                                        ; implicit-def: $vgpr26_vgpr27
	s_branch .LBB19_37
	.section	.rodata,"a",@progbits
	.p2align	6, 0x0
	.amdhsa_kernel _ZN5aiter24add_rmsnorm_quant_kernelIDF16_DB8_Li256ELi24ELb1ELb1ELb0ELi1EEEvPT0_PT_PfS5_S5_S5_diiiiiiib
		.amdhsa_group_segment_fixed_size 32
		.amdhsa_private_segment_fixed_size 0
		.amdhsa_kernarg_size 88
		.amdhsa_user_sgpr_count 6
		.amdhsa_user_sgpr_private_segment_buffer 1
		.amdhsa_user_sgpr_dispatch_ptr 0
		.amdhsa_user_sgpr_queue_ptr 0
		.amdhsa_user_sgpr_kernarg_segment_ptr 1
		.amdhsa_user_sgpr_dispatch_id 0
		.amdhsa_user_sgpr_flat_scratch_init 0
		.amdhsa_user_sgpr_kernarg_preload_length 0
		.amdhsa_user_sgpr_kernarg_preload_offset 0
		.amdhsa_user_sgpr_private_segment_size 0
		.amdhsa_uses_dynamic_stack 0
		.amdhsa_system_sgpr_private_segment_wavefront_offset 0
		.amdhsa_system_sgpr_workgroup_id_x 1
		.amdhsa_system_sgpr_workgroup_id_y 0
		.amdhsa_system_sgpr_workgroup_id_z 0
		.amdhsa_system_sgpr_workgroup_info 0
		.amdhsa_system_vgpr_workitem_id 0
		.amdhsa_next_free_vgpr 64
		.amdhsa_next_free_sgpr 40
		.amdhsa_accum_offset 64
		.amdhsa_reserve_vcc 1
		.amdhsa_reserve_flat_scratch 0
		.amdhsa_float_round_mode_32 0
		.amdhsa_float_round_mode_16_64 0
		.amdhsa_float_denorm_mode_32 3
		.amdhsa_float_denorm_mode_16_64 3
		.amdhsa_dx10_clamp 1
		.amdhsa_ieee_mode 1
		.amdhsa_fp16_overflow 0
		.amdhsa_tg_split 0
		.amdhsa_exception_fp_ieee_invalid_op 0
		.amdhsa_exception_fp_denorm_src 0
		.amdhsa_exception_fp_ieee_div_zero 0
		.amdhsa_exception_fp_ieee_overflow 0
		.amdhsa_exception_fp_ieee_underflow 0
		.amdhsa_exception_fp_ieee_inexact 0
		.amdhsa_exception_int_div_zero 0
	.end_amdhsa_kernel
	.section	.text._ZN5aiter24add_rmsnorm_quant_kernelIDF16_DB8_Li256ELi24ELb1ELb1ELb0ELi1EEEvPT0_PT_PfS5_S5_S5_diiiiiiib,"axG",@progbits,_ZN5aiter24add_rmsnorm_quant_kernelIDF16_DB8_Li256ELi24ELb1ELb1ELb0ELi1EEEvPT0_PT_PfS5_S5_S5_diiiiiiib,comdat
.Lfunc_end19:
	.size	_ZN5aiter24add_rmsnorm_quant_kernelIDF16_DB8_Li256ELi24ELb1ELb1ELb0ELi1EEEvPT0_PT_PfS5_S5_S5_diiiiiiib, .Lfunc_end19-_ZN5aiter24add_rmsnorm_quant_kernelIDF16_DB8_Li256ELi24ELb1ELb1ELb0ELi1EEEvPT0_PT_PfS5_S5_S5_diiiiiiib
                                        ; -- End function
	.section	.AMDGPU.csdata,"",@progbits
; Kernel info:
; codeLenInByte = 4804
; NumSgprs: 44
; NumVgprs: 64
; NumAgprs: 0
; TotalNumVgprs: 64
; ScratchSize: 0
; MemoryBound: 0
; FloatMode: 240
; IeeeMode: 1
; LDSByteSize: 32 bytes/workgroup (compile time only)
; SGPRBlocks: 5
; VGPRBlocks: 7
; NumSGPRsForWavesPerEU: 44
; NumVGPRsForWavesPerEU: 64
; AccumOffset: 64
; Occupancy: 8
; WaveLimiterHint : 0
; COMPUTE_PGM_RSRC2:SCRATCH_EN: 0
; COMPUTE_PGM_RSRC2:USER_SGPR: 6
; COMPUTE_PGM_RSRC2:TRAP_HANDLER: 0
; COMPUTE_PGM_RSRC2:TGID_X_EN: 1
; COMPUTE_PGM_RSRC2:TGID_Y_EN: 0
; COMPUTE_PGM_RSRC2:TGID_Z_EN: 0
; COMPUTE_PGM_RSRC2:TIDIG_COMP_CNT: 0
; COMPUTE_PGM_RSRC3_GFX90A:ACCUM_OFFSET: 15
; COMPUTE_PGM_RSRC3_GFX90A:TG_SPLIT: 0
	.section	.text._ZN5aiter24add_rmsnorm_quant_kernelItDB8_Li256ELi24ELb1ELb1ELb0ELi1EEEvPT0_PT_PfS5_S5_S5_diiiiiiib,"axG",@progbits,_ZN5aiter24add_rmsnorm_quant_kernelItDB8_Li256ELi24ELb1ELb1ELb0ELi1EEEvPT0_PT_PfS5_S5_S5_diiiiiiib,comdat
	.protected	_ZN5aiter24add_rmsnorm_quant_kernelItDB8_Li256ELi24ELb1ELb1ELb0ELi1EEEvPT0_PT_PfS5_S5_S5_diiiiiiib ; -- Begin function _ZN5aiter24add_rmsnorm_quant_kernelItDB8_Li256ELi24ELb1ELb1ELb0ELi1EEEvPT0_PT_PfS5_S5_S5_diiiiiiib
	.globl	_ZN5aiter24add_rmsnorm_quant_kernelItDB8_Li256ELi24ELb1ELb1ELb0ELi1EEEvPT0_PT_PfS5_S5_S5_diiiiiiib
	.p2align	8
	.type	_ZN5aiter24add_rmsnorm_quant_kernelItDB8_Li256ELi24ELb1ELb1ELb0ELi1EEEvPT0_PT_PfS5_S5_S5_diiiiiiib,@function
_ZN5aiter24add_rmsnorm_quant_kernelItDB8_Li256ELi24ELb1ELb1ELb0ELi1EEEvPT0_PT_PfS5_S5_S5_diiiiiiib: ; @_ZN5aiter24add_rmsnorm_quant_kernelItDB8_Li256ELi24ELb1ELb1ELb0ELi1EEEvPT0_PT_PfS5_S5_S5_diiiiiiib
; %bb.0:
	s_load_dwordx8 s[8:15], s[4:5], 0x38
	s_mov_b32 s7, 0
	s_waitcnt lgkmcnt(0)
	s_ashr_i32 s0, s8, 31
	v_mov_b32_e32 v2, s8
	v_mov_b32_e32 v3, s0
	v_cmp_ge_i64_e32 vcc, s[6:7], v[2:3]
	s_cbranch_vccnz .LBB20_49
; %bb.1:
	s_load_dwordx8 s[16:23], s[4:5], 0x0
	s_ashr_i32 s0, s10, 31
	s_mul_hi_u32 s1, s10, s6
	s_mul_i32 s0, s0, s6
	s_add_i32 s1, s1, s0
	s_mul_i32 s0, s10, s6
	s_lshl_b64 s[0:1], s[0:1], 1
	s_waitcnt lgkmcnt(0)
	s_add_u32 s0, s22, s0
	s_addc_u32 s1, s23, s1
	s_add_i32 s2, s9, 1
	s_lshr_b32 s3, s2, 31
	s_add_i32 s2, s2, s3
	s_lshl_b32 s2, s2, 1
	s_load_dwordx8 s[24:31], s[4:5], 0x20
	s_and_b32 s2, s2, -4
	s_and_b32 s1, s1, 0xffff
	s_mov_b32 s3, 0x20000
	v_mul_u32_u24_e32 v1, 48, v0
	buffer_load_dwordx4 v[34:37], v1, s[0:3], 16 offen
	buffer_load_dwordx4 v[14:17], v1, s[0:3], 0 offen
	;; [unrolled: 1-line block ×3, first 2 shown]
	s_ashr_i32 s0, s11, 31
	s_mul_hi_u32 s1, s11, s6
	s_mul_i32 s0, s0, s6
	s_add_i32 s1, s1, s0
	s_mul_i32 s0, s11, s6
	s_waitcnt lgkmcnt(0)
	s_and_b32 s37, s27, 0xffff
	s_lshl_b64 s[0:1], s[0:1], 1
	s_add_u32 s0, s24, s0
	s_addc_u32 s1, s25, s1
	s_and_b32 s1, s1, 0xffff
	buffer_load_dwordx4 v[30:33], v1, s[0:3], 16 offen
	buffer_load_dwordx4 v[22:25], v1, s[0:3], 32 offen
	;; [unrolled: 1-line block ×3, first 2 shown]
	s_mov_b32 s39, s3
	s_mov_b32 s36, s26
	s_mov_b32 s38, s2
	buffer_load_dwordx4 v[10:13], v1, s[36:39], 0 offen
	buffer_load_dwordx4 v[6:9], v1, s[36:39], 16 offen
	;; [unrolled: 1-line block ×3, first 2 shown]
	s_ashr_i32 s4, s12, 31
	s_mul_hi_u32 s1, s12, s6
	s_mul_i32 s4, s4, s6
	s_mul_i32 s0, s12, s6
	s_add_i32 s1, s1, s4
	s_lshl_b64 s[0:1], s[0:1], 1
	s_add_u32 s0, s18, s0
	s_addc_u32 s1, s19, s1
	s_mov_b32 s4, 0x7060302
	s_and_b32 s1, s1, 0xffff
	s_waitcnt vmcnt(8)
	v_cvt_f32_u32_sdwa v39, v34 dst_sel:DWORD dst_unused:UNUSED_PAD src0_sel:WORD_1
	v_cvt_f32_u32_sdwa v38, v34 dst_sel:DWORD dst_unused:UNUSED_PAD src0_sel:WORD_0
	v_cvt_f32_u32_sdwa v41, v35 dst_sel:DWORD dst_unused:UNUSED_PAD src0_sel:WORD_1
	v_cvt_f32_u32_sdwa v40, v35 dst_sel:DWORD dst_unused:UNUSED_PAD src0_sel:WORD_0
	v_cvt_f32_u32_sdwa v35, v36 dst_sel:DWORD dst_unused:UNUSED_PAD src0_sel:WORD_1
	v_cvt_f32_u32_sdwa v34, v36 dst_sel:DWORD dst_unused:UNUSED_PAD src0_sel:WORD_0
	v_cvt_f32_u32_sdwa v43, v37 dst_sel:DWORD dst_unused:UNUSED_PAD src0_sel:WORD_1
	v_cvt_f32_u32_sdwa v42, v37 dst_sel:DWORD dst_unused:UNUSED_PAD src0_sel:WORD_0
	s_waitcnt vmcnt(6)
	v_cvt_f32_u32_sdwa v37, v26 dst_sel:DWORD dst_unused:UNUSED_PAD src0_sel:WORD_1
	v_cvt_f32_u32_sdwa v36, v26 dst_sel:DWORD dst_unused:UNUSED_PAD src0_sel:WORD_0
	v_cvt_f32_u32_sdwa v45, v27 dst_sel:DWORD dst_unused:UNUSED_PAD src0_sel:WORD_1
	v_cvt_f32_u32_sdwa v44, v27 dst_sel:DWORD dst_unused:UNUSED_PAD src0_sel:WORD_0
	v_cvt_f32_u32_sdwa v47, v28 dst_sel:DWORD dst_unused:UNUSED_PAD src0_sel:WORD_1
	v_cvt_f32_u32_sdwa v46, v28 dst_sel:DWORD dst_unused:UNUSED_PAD src0_sel:WORD_0
	v_cvt_f32_u32_sdwa v49, v29 dst_sel:DWORD dst_unused:UNUSED_PAD src0_sel:WORD_1
	v_cvt_f32_u32_sdwa v48, v29 dst_sel:DWORD dst_unused:UNUSED_PAD src0_sel:WORD_0
	;; [unrolled: 9-line block ×4, first 2 shown]
	v_cvt_f32_u32_sdwa v61, v25 dst_sel:DWORD dst_unused:UNUSED_PAD src0_sel:WORD_1
	v_cvt_f32_u32_sdwa v60, v25 dst_sel:DWORD dst_unused:UNUSED_PAD src0_sel:WORD_0
	v_cvt_f32_u32_sdwa v63, v15 dst_sel:DWORD dst_unused:UNUSED_PAD src0_sel:WORD_1
	v_cvt_f32_u32_sdwa v62, v15 dst_sel:DWORD dst_unused:UNUSED_PAD src0_sel:WORD_0
	;; [unrolled: 2-line block ×3, first 2 shown]
	v_pk_add_f32 v[24:25], v[38:39], v[26:27]
	s_waitcnt vmcnt(3)
	v_cvt_f32_u32_sdwa v39, v18 dst_sel:DWORD dst_unused:UNUSED_PAD src0_sel:WORD_1
	v_cvt_f32_u32_sdwa v38, v18 dst_sel:DWORD dst_unused:UNUSED_PAD src0_sel:WORD_0
	v_pk_add_f32 v[28:29], v[40:41], v[28:29]
	v_cvt_f32_u32_sdwa v41, v19 dst_sel:DWORD dst_unused:UNUSED_PAD src0_sel:WORD_1
	v_cvt_f32_u32_sdwa v40, v19 dst_sel:DWORD dst_unused:UNUSED_PAD src0_sel:WORD_0
	v_pk_add_f32 v[32:33], v[34:35], v[30:31]
	v_pk_add_f32 v[30:31], v[42:43], v[52:53]
	;; [unrolled: 1-line block ×3, first 2 shown]
	v_cvt_f32_u32_sdwa v35, v20 dst_sel:DWORD dst_unused:UNUSED_PAD src0_sel:WORD_1
	v_cvt_f32_u32_sdwa v34, v20 dst_sel:DWORD dst_unused:UNUSED_PAD src0_sel:WORD_0
	v_cvt_f32_u32_sdwa v43, v17 dst_sel:DWORD dst_unused:UNUSED_PAD src0_sel:WORD_1
	v_cvt_f32_u32_sdwa v42, v17 dst_sel:DWORD dst_unused:UNUSED_PAD src0_sel:WORD_0
	;; [unrolled: 2-line block ×3, first 2 shown]
	v_pk_add_f32 v[26:27], v[36:37], v[54:55]
	v_pk_add_f32 v[36:37], v[50:51], v[38:39]
	;; [unrolled: 1-line block ×5, first 2 shown]
	v_perm_b32 v41, v35, v34, s4
	v_perm_b32 v40, v17, v16, s4
	;; [unrolled: 1-line block ×4, first 2 shown]
	v_pk_add_f32 v[18:19], v[46:47], v[58:59]
	v_pk_add_f32 v[14:15], v[48:49], v[60:61]
	buffer_store_dwordx4 v[38:41], v1, s[0:3], 0 offen
	;;#ASMSTART
	s_nop 0
	;;#ASMEND
	v_pk_mul_f32 v[42:43], v[16:17], v[16:17]
	v_perm_b32 v41, v31, v30, s4
	v_perm_b32 v40, v33, v32, s4
	;; [unrolled: 1-line block ×4, first 2 shown]
	buffer_store_dwordx4 v[38:41], v1, s[0:3], 16 offen
	;;#ASMSTART
	s_nop 0
	;;#ASMEND
	v_pk_mul_f32 v[44:45], v[34:35], v[34:35]
	v_perm_b32 v41, v15, v14, s4
	v_perm_b32 v40, v19, v18, s4
	;; [unrolled: 1-line block ×4, first 2 shown]
	buffer_store_dwordx4 v[38:41], v1, s[0:3], 32 offen
	v_pk_mul_f32 v[46:47], v[24:25], v[24:25]
	v_pk_mul_f32 v[38:39], v[36:37], v[36:37]
	;; [unrolled: 1-line block ×3, first 2 shown]
	v_add_f32_e32 v1, v38, v39
	v_add_f32_e32 v1, v40, v1
	;; [unrolled: 1-line block ×8, first 2 shown]
	v_pk_mul_f32 v[48:49], v[28:29], v[28:29]
	v_add_f32_e32 v1, v47, v1
	v_add_f32_e32 v1, v48, v1
	v_pk_mul_f32 v[50:51], v[32:33], v[32:33]
	v_add_f32_e32 v1, v49, v1
	v_add_f32_e32 v1, v50, v1
	;; [unrolled: 3-line block ×7, first 2 shown]
	v_add_f32_e32 v1, v39, v1
	v_and_b32_e32 v39, 63, v0
	v_cmp_eq_u32_e64 s[0:1], 63, v39
	v_mov_b32_dpp v38, v1 quad_perm:[1,0,3,2] row_mask:0xf bank_mask:0xf
	v_add_f32_e32 v1, v1, v38
	;;#ASMSTART
	s_nop 0
	;;#ASMEND
	s_nop 1
	v_mov_b32_dpp v38, v1 quad_perm:[2,3,0,1] row_mask:0xf bank_mask:0xf
	v_add_f32_e32 v1, v1, v38
	s_nop 1
	v_mov_b32_dpp v38, v1 row_half_mirror row_mask:0xf bank_mask:0xf
	v_add_f32_e32 v1, v1, v38
	s_nop 1
	v_mov_b32_dpp v38, v1 row_mirror row_mask:0xf bank_mask:0xf
	v_add_f32_e32 v1, v1, v38
	s_nop 1
	v_mov_b32_dpp v38, v1 row_bcast:15 row_mask:0xf bank_mask:0xf
	v_add_f32_e32 v1, v1, v38
	s_nop 1
	v_mov_b32_dpp v38, v1 row_bcast:31 row_mask:0xf bank_mask:0xf
	s_and_saveexec_b64 s[2:3], s[0:1]
	s_cbranch_execz .LBB20_3
; %bb.2:
	v_lshrrev_b32_e32 v39, 4, v0
	v_and_b32_e32 v39, 60, v39
	v_add_f32_e32 v1, v1, v38
	ds_write_b32 v39, v1 offset:16
.LBB20_3:
	s_or_b64 exec, exec, s[2:3]
	v_and_b32_e32 v1, 3, v0
	v_lshlrev_b32_e32 v1, 2, v1
	s_waitcnt lgkmcnt(0)
	s_barrier
	ds_read_b32 v38, v1 offset:16
	v_cvt_f32_i32_e32 v39, s9
	s_waitcnt vmcnt(5)
	v_cvt_f32_u32_sdwa v49, v13 dst_sel:DWORD dst_unused:UNUSED_PAD src0_sel:WORD_1
	v_cvt_f32_u32_sdwa v48, v13 dst_sel:DWORD dst_unused:UNUSED_PAD src0_sel:WORD_0
	s_waitcnt vmcnt(4)
	v_cvt_f32_u32_sdwa v13, v7 dst_sel:DWORD dst_unused:UNUSED_PAD src0_sel:WORD_1
	s_waitcnt lgkmcnt(0)
	v_mov_b32_dpp v40, v38 quad_perm:[1,0,3,2] row_mask:0xf bank_mask:0xf
	v_add_f32_e32 v38, v38, v40
	s_cmp_lg_u32 s14, 0
	s_nop 0
	v_mov_b32_dpp v40, v38 quad_perm:[2,3,0,1] row_mask:0xf bank_mask:0xf
	v_add_f32_e32 v38, v38, v40
	v_div_scale_f32 v40, s[2:3], v39, v39, v38
	v_rcp_f32_e32 v41, v40
	v_div_scale_f32 v42, vcc, v38, v39, v38
	s_mov_b32 s2, 0x800000
	v_fma_f32 v43, -v40, v41, 1.0
	v_fmac_f32_e32 v41, v43, v41
	v_mul_f32_e32 v43, v42, v41
	v_fma_f32 v44, -v40, v43, v42
	v_fmac_f32_e32 v43, v44, v41
	v_fma_f32 v40, -v40, v43, v42
	v_div_fmas_f32 v40, v40, v41, v43
	v_div_fixup_f32 v38, v40, v39, v38
	v_cvt_f64_f32_e32 v[38:39], v38
	v_add_f64 v[38:39], v[38:39], s[28:29]
	v_cvt_f32_f64_e32 v38, v[38:39]
	v_mul_f32_e32 v39, 0x4b800000, v38
	v_cmp_gt_f32_e32 vcc, s2, v38
	v_cndmask_b32_e32 v38, v38, v39, vcc
	v_rsq_f32_e32 v39, v38
	v_mul_u32_u24_e32 v38, 24, v0
	v_mul_f32_e32 v40, 0x45800000, v39
	v_cndmask_b32_e32 v40, v39, v40, vcc
	v_mov_b32_e32 v41, v40
	;;#ASMSTART
	v_pk_mul_f32 v[36:37], v[36:37], v[40:41]
	;;#ASMEND
	;;#ASMSTART
	v_pk_mul_f32 v[20:21], v[20:21], v[40:41]
	;;#ASMEND
	;; [unrolled: 3-line block ×12, first 2 shown]
	v_cvt_f32_u32_sdwa v15, v10 dst_sel:DWORD dst_unused:UNUSED_PAD src0_sel:WORD_1
	v_cvt_f32_u32_sdwa v14, v10 dst_sel:DWORD dst_unused:UNUSED_PAD src0_sel:WORD_0
	v_cvt_f32_u32_sdwa v19, v11 dst_sel:DWORD dst_unused:UNUSED_PAD src0_sel:WORD_1
	v_cvt_f32_u32_sdwa v18, v11 dst_sel:DWORD dst_unused:UNUSED_PAD src0_sel:WORD_0
	;; [unrolled: 2-line block ×3, first 2 shown]
	;;#ASMSTART
	v_pk_mul_f32 v[24:25], v[36:37], v[14:15]
	;;#ASMEND
	;;#ASMSTART
	v_pk_mul_f32 v[22:23], v[20:21], v[18:19]
	;;#ASMEND
	;; [unrolled: 3-line block ×3, first 2 shown]
	v_cvt_f32_u32_sdwa v11, v6 dst_sel:DWORD dst_unused:UNUSED_PAD src0_sel:WORD_1
	v_cvt_f32_u32_sdwa v10, v6 dst_sel:DWORD dst_unused:UNUSED_PAD src0_sel:WORD_0
	v_cvt_f32_u32_sdwa v12, v7 dst_sel:DWORD dst_unused:UNUSED_PAD src0_sel:WORD_0
	v_cvt_f32_u32_sdwa v7, v8 dst_sel:DWORD dst_unused:UNUSED_PAD src0_sel:WORD_1
	v_cvt_f32_u32_sdwa v6, v8 dst_sel:DWORD dst_unused:UNUSED_PAD src0_sel:WORD_0
	;;#ASMSTART
	v_pk_mul_f32 v[16:17], v[34:35], v[48:49]
	;;#ASMEND
	;;#ASMSTART
	v_pk_mul_f32 v[18:19], v[42:43], v[10:11]
	;;#ASMEND
	;; [unrolled: 3-line block ×4, first 2 shown]
	s_waitcnt vmcnt(3)
	v_cvt_f32_u32_sdwa v7, v2 dst_sel:DWORD dst_unused:UNUSED_PAD src0_sel:WORD_1
	v_cvt_f32_u32_sdwa v6, v2 dst_sel:DWORD dst_unused:UNUSED_PAD src0_sel:WORD_0
	v_cvt_f32_u32_sdwa v28, v3 dst_sel:DWORD dst_unused:UNUSED_PAD src0_sel:WORD_0
	v_cvt_f32_u32_sdwa v35, v9 dst_sel:DWORD dst_unused:UNUSED_PAD src0_sel:WORD_1
	v_cvt_f32_u32_sdwa v34, v9 dst_sel:DWORD dst_unused:UNUSED_PAD src0_sel:WORD_0
	;;#ASMSTART
	v_pk_mul_f32 v[8:9], v[30:31], v[34:35]
	;;#ASMEND
	v_cvt_f32_u32_sdwa v29, v3 dst_sel:DWORD dst_unused:UNUSED_PAD src0_sel:WORD_1
	v_cvt_f32_u32_sdwa v3, v4 dst_sel:DWORD dst_unused:UNUSED_PAD src0_sel:WORD_1
	v_cvt_f32_u32_sdwa v2, v4 dst_sel:DWORD dst_unused:UNUSED_PAD src0_sel:WORD_0
	;;#ASMSTART
	v_pk_mul_f32 v[10:11], v[26:27], v[6:7]
	;;#ASMEND
	;;#ASMSTART
	v_pk_mul_f32 v[6:7], v[44:45], v[28:29]
	;;#ASMEND
	v_and_b32_e32 v26, 0x7fffffff, v24
	v_mov_b32_e32 v28, 0x2edbe6ff
	v_cvt_f32_u32_sdwa v31, v5 dst_sel:DWORD dst_unused:UNUSED_PAD src0_sel:WORD_1
	v_cvt_f32_u32_sdwa v30, v5 dst_sel:DWORD dst_unused:UNUSED_PAD src0_sel:WORD_0
	;;#ASMSTART
	v_pk_mul_f32 v[4:5], v[46:47], v[2:3]
	;;#ASMEND
	;;#ASMSTART
	v_pk_mul_f32 v[2:3], v[40:41], v[30:31]
	;;#ASMEND
	v_and_b32_e32 v27, 0x7fffffff, v25
	;;#ASMSTART
	v_max3_f32 v26, v28, v26, v27

	;;#ASMEND
	v_and_b32_e32 v28, 0x7fffffff, v23
	v_and_b32_e32 v27, 0x7fffffff, v22
	;;#ASMSTART
	v_max3_f32 v26, v26, v27, v28

	;;#ASMEND
	v_and_b32_e32 v28, 0x7fffffff, v21
	;; [unrolled: 6-line block ×11, first 2 shown]
	v_and_b32_e32 v27, 0x7fffffff, v2
	;;#ASMSTART
	v_max3_f32 v28, v26, v27, v28

	;;#ASMEND
	s_cbranch_scc0 .LBB20_10
; %bb.4:
	s_mul_hi_i32 s2, s14, 0x2aaaaaab
	s_lshr_b32 s3, s2, 31
	s_ashr_i32 s10, s2, 2
	s_add_i32 s10, s10, s3
	s_cmp_lt_i32 s10, 16
	s_cbranch_scc1 .LBB20_11
; %bb.5:
	s_cmp_lt_i32 s10, 32
	s_cbranch_scc1 .LBB20_12
; %bb.6:
	;; [unrolled: 3-line block ×3, first 2 shown]
	s_cmp_eq_u32 s10, 64
	v_mov_b32_e32 v26, v28
	s_cbranch_scc0 .LBB20_9
; %bb.8:
	s_nop 0
	v_mov_b32_dpp v26, v28 quad_perm:[1,0,3,2] row_mask:0xf bank_mask:0xf
	v_cmp_gt_f32_e32 vcc, v28, v26
	v_cndmask_b32_e32 v26, v26, v28, vcc
	v_bfrev_b32_e32 v29, 0.5
	s_nop 0
	v_mov_b32_dpp v27, v26 quad_perm:[2,3,0,1] row_mask:0xf bank_mask:0xf
	v_cmp_gt_f32_e32 vcc, v26, v27
	v_cndmask_b32_e32 v26, v27, v26, vcc
	s_nop 1
	v_mov_b32_dpp v27, v26 row_ror:4 row_mask:0xf bank_mask:0xf
	v_cmp_gt_f32_e32 vcc, v26, v27
	v_cndmask_b32_e32 v26, v27, v26, vcc
	s_nop 1
	v_mov_b32_dpp v27, v26 row_ror:8 row_mask:0xf bank_mask:0xf
	v_cmp_gt_f32_e32 vcc, v26, v27
	v_cndmask_b32_e32 v26, v27, v26, vcc
	s_nop 1
	v_mov_b32_dpp v27, v26 row_bcast:15 row_mask:0xf bank_mask:0xf
	v_cmp_gt_f32_e32 vcc, v26, v27
	v_cndmask_b32_e32 v26, v27, v26, vcc
	s_nop 1
	v_mov_b32_dpp v27, v26 row_bcast:31 row_mask:0xf bank_mask:0xf
	v_cmp_gt_f32_e32 vcc, v26, v27
	v_cndmask_b32_e32 v26, v27, v26, vcc
	v_mbcnt_lo_u32_b32 v27, -1, 0
	v_mbcnt_hi_u32_b32 v27, -1, v27
	v_lshl_or_b32 v27, v27, 2, v29
	ds_bpermute_b32 v26, v27, v26
.LBB20_9:
	s_mov_b64 s[2:3], 0
	s_branch .LBB20_14
.LBB20_10:
	s_mov_b64 s[2:3], 0
                                        ; implicit-def: $vgpr29
                                        ; implicit-def: $vgpr26_vgpr27
	s_cbranch_execnz .LBB20_43
	s_branch .LBB20_46
.LBB20_11:
                                        ; implicit-def: $vgpr26
	s_branch .LBB20_21
.LBB20_12:
                                        ; implicit-def: $vgpr26
	s_branch .LBB20_18
.LBB20_13:
	s_mov_b64 s[2:3], -1
                                        ; implicit-def: $vgpr26
.LBB20_14:
	s_andn2_b64 vcc, exec, s[2:3]
	s_cbranch_vccnz .LBB20_17
; %bb.15:
	s_cmp_eq_u32 s10, 32
	s_waitcnt lgkmcnt(0)
	v_mov_b32_e32 v26, v28
	s_cbranch_scc0 .LBB20_17
; %bb.16:
	s_nop 0
	v_mov_b32_dpp v26, v28 quad_perm:[1,0,3,2] row_mask:0xf bank_mask:0xf
	v_cmp_gt_f32_e32 vcc, v28, v26
	v_cndmask_b32_e32 v26, v26, v28, vcc
	v_mov_b32_e32 v29, 0x7c
	s_nop 0
	v_mov_b32_dpp v27, v26 quad_perm:[2,3,0,1] row_mask:0xf bank_mask:0xf
	v_cmp_gt_f32_e32 vcc, v26, v27
	v_cndmask_b32_e32 v26, v27, v26, vcc
	s_nop 1
	v_mov_b32_dpp v27, v26 row_half_mirror row_mask:0xf bank_mask:0xf
	v_cmp_gt_f32_e32 vcc, v26, v27
	v_cndmask_b32_e32 v26, v27, v26, vcc
	s_nop 1
	v_mov_b32_dpp v27, v26 row_mirror row_mask:0xf bank_mask:0xf
	v_cmp_gt_f32_e32 vcc, v26, v27
	v_cndmask_b32_e32 v26, v27, v26, vcc
	s_nop 1
	v_mov_b32_dpp v27, v26 row_bcast:15 row_mask:0xa bank_mask:0xf
	v_cmp_gt_f32_e32 vcc, v26, v27
	v_cndmask_b32_e32 v26, v27, v26, vcc
	v_mbcnt_lo_u32_b32 v27, -1, 0
	v_mbcnt_hi_u32_b32 v27, -1, v27
	v_lshl_or_b32 v27, v27, 2, v29
	ds_bpermute_b32 v26, v27, v26
.LBB20_17:
	s_cbranch_execnz .LBB20_20
.LBB20_18:
	s_cmp_eq_u32 s10, 16
	s_waitcnt lgkmcnt(0)
	v_mov_b32_e32 v26, v28
	s_cbranch_scc0 .LBB20_20
; %bb.19:
	s_nop 0
	v_mov_b32_dpp v26, v28 quad_perm:[1,0,3,2] row_mask:0xf bank_mask:0xf
	v_cmp_gt_f32_e32 vcc, v28, v26
	v_cndmask_b32_e32 v26, v26, v28, vcc
	s_nop 1
	v_mov_b32_dpp v27, v26 quad_perm:[2,3,0,1] row_mask:0xf bank_mask:0xf
	v_cmp_gt_f32_e32 vcc, v26, v27
	v_cndmask_b32_e32 v26, v27, v26, vcc
	s_nop 1
	v_mov_b32_dpp v27, v26 row_half_mirror row_mask:0xf bank_mask:0xf
	v_cmp_gt_f32_e32 vcc, v26, v27
	v_cndmask_b32_e32 v26, v27, v26, vcc
	s_nop 1
	v_mov_b32_dpp v27, v26 row_mirror row_mask:0xf bank_mask:0xf
	v_cmp_gt_f32_e32 vcc, v26, v27
	v_cndmask_b32_e32 v26, v27, v26, vcc
.LBB20_20:
	s_cbranch_execnz .LBB20_33
.LBB20_21:
	s_cmp_lt_i32 s10, 4
	s_cbranch_scc1 .LBB20_25
; %bb.22:
	s_cmp_lt_i32 s10, 8
	s_cbranch_scc1 .LBB20_26
; %bb.23:
	s_cmp_eq_u32 s10, 8
	s_waitcnt lgkmcnt(0)
	v_mov_b32_e32 v26, v28
	s_cbranch_scc0 .LBB20_27
; %bb.24:
	s_nop 0
	v_mov_b32_dpp v26, v28 quad_perm:[1,0,3,2] row_mask:0xf bank_mask:0xf
	v_cmp_gt_f32_e32 vcc, v28, v26
	v_cndmask_b32_e32 v26, v26, v28, vcc
	s_nop 1
	v_mov_b32_dpp v27, v26 quad_perm:[2,3,0,1] row_mask:0xf bank_mask:0xf
	v_cmp_gt_f32_e32 vcc, v26, v27
	v_cndmask_b32_e32 v26, v27, v26, vcc
	s_nop 1
	v_mov_b32_dpp v27, v26 row_half_mirror row_mask:0xf bank_mask:0xf
	v_cmp_gt_f32_e32 vcc, v26, v27
	v_cndmask_b32_e32 v26, v27, v26, vcc
	s_cbranch_execz .LBB20_28
	s_branch .LBB20_30
.LBB20_25:
                                        ; implicit-def: $vgpr26
	s_branch .LBB20_31
.LBB20_26:
                                        ; implicit-def: $vgpr26
	s_branch .LBB20_28
.LBB20_27:
	s_cbranch_execnz .LBB20_30
.LBB20_28:
	s_cmp_eq_u32 s10, 4
	s_waitcnt lgkmcnt(0)
	v_mov_b32_e32 v26, v28
	s_cbranch_scc0 .LBB20_30
; %bb.29:
	s_nop 0
	v_mov_b32_dpp v26, v28 quad_perm:[1,0,3,2] row_mask:0xf bank_mask:0xf
	v_cmp_gt_f32_e32 vcc, v28, v26
	v_cndmask_b32_e32 v26, v26, v28, vcc
	s_nop 1
	v_mov_b32_dpp v27, v26 quad_perm:[2,3,0,1] row_mask:0xf bank_mask:0xf
	v_cmp_gt_f32_e32 vcc, v26, v27
	v_cndmask_b32_e32 v26, v27, v26, vcc
.LBB20_30:
	s_cbranch_execnz .LBB20_33
.LBB20_31:
	s_cmp_lg_u32 s10, 2
	s_waitcnt lgkmcnt(0)
	v_mov_b32_e32 v26, v28
	s_cbranch_scc1 .LBB20_33
; %bb.32:
	s_nop 0
	v_mov_b32_dpp v26, v28 quad_perm:[1,0,3,2] row_mask:0xf bank_mask:0xf
	v_cmp_gt_f32_e32 vcc, v28, v26
	v_cndmask_b32_e32 v26, v26, v28, vcc
.LBB20_33:
	v_cvt_f32_u32_e32 v27, s10
	s_waitcnt lgkmcnt(0)
	v_mul_f32_e32 v29, 0x3b124925, v26
	s_sub_i32 s2, 0, s10
	v_cmp_gt_u32_e32 vcc, s9, v38
	v_rcp_iflag_f32_e32 v27, v27
	s_mov_b64 s[4:5], 0
	v_mul_f32_e32 v26, 0x4f7ffffe, v27
	v_cvt_u32_f32_e32 v26, v26
	v_mul_lo_u32 v27, s2, v26
	v_mul_hi_u32 v27, v26, v27
	v_add_u32_e32 v26, v26, v27
	v_mul_hi_u32 v26, v0, v26
	v_mul_lo_u32 v27, v26, s10
	v_sub_u32_e32 v27, v0, v27
	v_add_u32_e32 v30, 1, v26
	v_cmp_le_u32_e64 s[2:3], s10, v27
	v_cndmask_b32_e64 v26, v26, v30, s[2:3]
	v_subrev_u32_e32 v30, s10, v27
	v_cndmask_b32_e64 v27, v27, v30, s[2:3]
	v_add_u32_e32 v30, 1, v26
	v_cmp_le_u32_e64 s[2:3], s10, v27
	v_cndmask_b32_e64 v30, v26, v30, s[2:3]
	v_mul_lo_u32 v26, v30, s10
	v_sub_u32_e32 v26, v0, v26
	v_cmp_eq_u32_e64 s[2:3], 0, v26
	s_and_b64 s[10:11], s[2:3], vcc
	s_mov_b64 s[2:3], 0
                                        ; implicit-def: $vgpr26_vgpr27
	s_and_saveexec_b64 s[18:19], s[10:11]
	s_xor_b64 s[10:11], exec, s[18:19]
	s_cbranch_execz .LBB20_42
; %bb.34:
	s_bitcmp0_b32 s15, 0
	s_cbranch_scc0 .LBB20_39
; %bb.35:
	s_ashr_i32 s2, s9, 31
	s_mul_hi_u32 s3, s9, s6
	s_mul_i32 s2, s2, s6
	s_add_i32 s19, s3, s2
	s_mul_i32 s18, s9, s6
	s_ashr_i32 s15, s14, 31
	s_or_b64 s[2:3], s[18:19], s[14:15]
	s_mov_b32 s2, 0
	s_cmp_lg_u64 s[2:3], 0
	s_cbranch_scc0 .LBB20_50
; %bb.36:
	s_add_u32 s2, s14, s15
	s_mov_b32 s24, s15
	s_mov_b32 s25, s15
	s_addc_u32 s3, s15, s15
	s_xor_b64 s[26:27], s[2:3], s[24:25]
	v_cvt_f32_u32_e32 v26, s26
	v_cvt_f32_u32_e32 v27, s27
	s_sub_u32 s2, 0, s26
	s_subb_u32 s3, 0, s27
	v_madmk_f32 v26, v27, 0x4f800000, v26
	v_rcp_f32_e32 v26, v26
	v_mul_f32_e32 v26, 0x5f7ffffc, v26
	v_mul_f32_e32 v27, 0x2f800000, v26
	v_trunc_f32_e32 v27, v27
	v_madmk_f32 v26, v27, 0xcf800000, v26
	v_cvt_u32_f32_e32 v27, v27
	v_cvt_u32_f32_e32 v26, v26
	v_readfirstlane_b32 s12, v27
	v_readfirstlane_b32 s15, v26
	s_mul_i32 s28, s2, s12
	s_mul_hi_u32 s30, s2, s15
	s_mul_i32 s29, s3, s15
	s_add_i32 s28, s30, s28
	s_add_i32 s28, s28, s29
	s_mul_i32 s31, s2, s15
	s_mul_hi_u32 s29, s15, s28
	s_mul_i32 s30, s15, s28
	s_mul_hi_u32 s15, s15, s31
	s_add_u32 s15, s15, s30
	s_addc_u32 s29, 0, s29
	s_mul_hi_u32 s33, s12, s31
	s_mul_i32 s31, s12, s31
	s_add_u32 s15, s15, s31
	s_mul_hi_u32 s30, s12, s28
	s_addc_u32 s15, s29, s33
	s_addc_u32 s29, s30, 0
	s_mul_i32 s28, s12, s28
	s_add_u32 s15, s15, s28
	s_addc_u32 s28, 0, s29
	v_add_co_u32_e32 v26, vcc, s15, v26
	s_cmp_lg_u64 vcc, 0
	s_addc_u32 s12, s12, s28
	v_readfirstlane_b32 s28, v26
	s_mul_i32 s15, s2, s12
	s_mul_hi_u32 s29, s2, s28
	s_add_i32 s15, s29, s15
	s_mul_i32 s3, s3, s28
	s_add_i32 s15, s15, s3
	s_mul_i32 s2, s2, s28
	s_mul_hi_u32 s29, s12, s2
	s_mul_i32 s30, s12, s2
	s_mul_i32 s33, s28, s15
	s_mul_hi_u32 s2, s28, s2
	s_mul_hi_u32 s31, s28, s15
	s_add_u32 s2, s2, s33
	s_addc_u32 s28, 0, s31
	s_add_u32 s2, s2, s30
	s_mul_hi_u32 s3, s12, s15
	s_addc_u32 s2, s28, s29
	s_addc_u32 s3, s3, 0
	s_mul_i32 s15, s12, s15
	s_add_u32 s2, s2, s15
	s_addc_u32 s3, 0, s3
	v_add_co_u32_e32 v26, vcc, s2, v26
	s_cmp_lg_u64 vcc, 0
	s_addc_u32 s12, s12, s3
	s_ashr_i32 s28, s19, 31
	s_add_u32 s2, s18, s28
	s_mov_b32 s29, s28
	s_addc_u32 s3, s19, s28
	s_xor_b64 s[30:31], s[2:3], s[28:29]
	v_readfirstlane_b32 s15, v26
	s_mul_i32 s3, s30, s12
	s_mul_hi_u32 s19, s30, s15
	s_mul_hi_u32 s2, s30, s12
	s_add_u32 s3, s19, s3
	s_addc_u32 s2, 0, s2
	s_mul_hi_u32 s33, s31, s15
	s_mul_i32 s15, s31, s15
	s_add_u32 s3, s3, s15
	s_mul_hi_u32 s19, s31, s12
	s_addc_u32 s2, s2, s33
	s_addc_u32 s3, s19, 0
	s_mul_i32 s12, s31, s12
	s_add_u32 s12, s2, s12
	s_addc_u32 s15, 0, s3
	s_mul_i32 s2, s26, s15
	s_mul_hi_u32 s3, s26, s12
	s_add_i32 s2, s3, s2
	s_mul_i32 s3, s27, s12
	s_add_i32 s19, s2, s3
	s_mul_i32 s3, s26, s12
	v_mov_b32_e32 v26, s3
	s_sub_i32 s2, s31, s19
	v_sub_co_u32_e32 v26, vcc, s30, v26
	s_cmp_lg_u64 vcc, 0
	s_subb_u32 s30, s2, s27
	v_subrev_co_u32_e64 v27, s[2:3], s26, v26
	s_cmp_lg_u64 s[2:3], 0
	s_subb_u32 s30, s30, 0
	s_cmp_ge_u32 s30, s27
	s_cselect_b32 s33, -1, 0
	v_cmp_le_u32_e64 s[2:3], s26, v27
	s_cmp_eq_u32 s30, s27
	v_cndmask_b32_e64 v27, 0, -1, s[2:3]
	v_mov_b32_e32 v31, s33
	s_cselect_b64 s[2:3], -1, 0
	v_cndmask_b32_e64 v27, v31, v27, s[2:3]
	s_add_u32 s2, s12, 1
	s_addc_u32 s30, s15, 0
	s_add_u32 s3, s12, 2
	s_addc_u32 s33, s15, 0
	v_mov_b32_e32 v31, s2
	v_mov_b32_e32 v32, s3
	v_cmp_ne_u32_e64 s[2:3], 0, v27
	v_cndmask_b32_e64 v27, v31, v32, s[2:3]
	v_mov_b32_e32 v31, s30
	v_mov_b32_e32 v32, s33
	s_cmp_lg_u64 vcc, 0
	v_cndmask_b32_e64 v31, v31, v32, s[2:3]
	s_subb_u32 s2, s31, s19
	s_cmp_ge_u32 s2, s27
	s_cselect_b32 s3, -1, 0
	v_cmp_le_u32_e32 vcc, s26, v26
	s_cmp_eq_u32 s2, s27
	v_cndmask_b32_e64 v26, 0, -1, vcc
	v_mov_b32_e32 v32, s3
	s_cselect_b64 vcc, -1, 0
	v_cndmask_b32_e32 v26, v32, v26, vcc
	v_mov_b32_e32 v32, s15
	v_cmp_ne_u32_e32 vcc, 0, v26
	v_cndmask_b32_e32 v26, v32, v31, vcc
	v_mov_b32_e32 v31, s12
	v_cndmask_b32_e32 v27, v31, v27, vcc
	s_xor_b64 s[2:3], s[28:29], s[24:25]
	v_xor_b32_e32 v27, s2, v27
	v_xor_b32_e32 v31, s3, v26
	v_mov_b32_e32 v32, s3
	v_subrev_co_u32_e32 v26, vcc, s2, v27
	v_subb_co_u32_e32 v27, vcc, v31, v32, vcc
	s_cbranch_execnz .LBB20_38
.LBB20_37:
	v_cvt_f32_u32_e32 v26, s14
	s_sub_i32 s2, 0, s14
	s_mov_b32 s3, 0
	v_rcp_iflag_f32_e32 v26, v26
	v_mul_f32_e32 v26, 0x4f7ffffe, v26
	v_cvt_u32_f32_e32 v26, v26
	v_readfirstlane_b32 s12, v26
	s_mul_i32 s2, s2, s12
	s_mul_hi_u32 s2, s12, s2
	s_add_i32 s12, s12, s2
	s_mul_hi_u32 s2, s18, s12
	s_mul_i32 s15, s2, s14
	s_sub_i32 s15, s18, s15
	s_add_i32 s12, s2, 1
	s_sub_i32 s18, s15, s14
	s_cmp_ge_u32 s15, s14
	s_cselect_b32 s2, s12, s2
	s_cselect_b32 s15, s18, s15
	s_add_i32 s12, s2, 1
	s_cmp_ge_u32 s15, s14
	s_cselect_b32 s2, s12, s2
	v_pk_mov_b32 v[26:27], s[2:3], s[2:3] op_sel:[0,1]
.LBB20_38:
	v_add_co_u32_e32 v26, vcc, v26, v30
	v_addc_co_u32_e32 v27, vcc, 0, v27, vcc
	s_branch .LBB20_41
.LBB20_39:
                                        ; implicit-def: $vgpr26_vgpr27
	s_cbranch_execz .LBB20_41
; %bb.40:
	v_mul_lo_u32 v26, v30, s8
	v_ashrrev_i32_e32 v27, 31, v26
	v_mov_b32_e32 v30, s7
	v_add_co_u32_e32 v26, vcc, s6, v26
	v_addc_co_u32_e32 v27, vcc, v27, v30, vcc
.LBB20_41:
	s_mov_b64 s[2:3], exec
.LBB20_42:
	s_or_b64 exec, exec, s[10:11]
	s_and_b64 vcc, exec, s[4:5]
	s_cbranch_vccz .LBB20_46
.LBB20_43:
	v_mov_b32_dpp v26, v28 quad_perm:[1,0,3,2] row_mask:0xf bank_mask:0xf
	v_cmp_gt_f32_e32 vcc, v28, v26
	v_cndmask_b32_e32 v26, v26, v28, vcc
	s_nop 1
	v_mov_b32_dpp v27, v26 quad_perm:[2,3,0,1] row_mask:0xf bank_mask:0xf
	v_cmp_gt_f32_e32 vcc, v26, v27
	v_cndmask_b32_e32 v26, v27, v26, vcc
	s_nop 1
	v_mov_b32_dpp v27, v26 row_half_mirror row_mask:0xf bank_mask:0xf
	v_cmp_gt_f32_e32 vcc, v26, v27
	v_cndmask_b32_e32 v26, v27, v26, vcc
	s_nop 1
	v_mov_b32_dpp v27, v26 row_mirror row_mask:0xf bank_mask:0xf
	v_cmp_gt_f32_e32 vcc, v26, v27
	v_cndmask_b32_e32 v26, v27, v26, vcc
	s_nop 1
	v_mov_b32_dpp v27, v26 row_bcast:15 row_mask:0xf bank_mask:0xf
	v_cmp_gt_f32_e32 vcc, v26, v27
	v_cndmask_b32_e32 v26, v27, v26, vcc
	s_nop 1
	v_mov_b32_dpp v27, v26 row_bcast:31 row_mask:0xf bank_mask:0xf
	s_and_saveexec_b64 s[2:3], s[0:1]
	s_cbranch_execz .LBB20_45
; %bb.44:
	v_lshrrev_b32_e32 v28, 4, v0
	v_cmp_gt_f32_e32 vcc, v26, v27
	v_and_b32_e32 v28, 60, v28
	v_cndmask_b32_e32 v26, v27, v26, vcc
	ds_write_b32 v28, v26
.LBB20_45:
	s_or_b64 exec, exec, s[2:3]
	s_waitcnt lgkmcnt(0)
	s_barrier
	ds_read_b32 v1, v1
	v_cmp_eq_u32_e64 s[2:3], 0, v0
	s_waitcnt lgkmcnt(0)
	v_mov_b32_dpp v26, v1 quad_perm:[1,0,3,2] row_mask:0xf bank_mask:0xf
	v_cmp_gt_f32_e32 vcc, v1, v26
	v_cndmask_b32_e32 v1, v26, v1, vcc
	s_nop 1
	v_mov_b32_dpp v26, v1 quad_perm:[2,3,0,1] row_mask:0xf bank_mask:0xf
	v_cmp_gt_f32_e32 vcc, v1, v26
	v_cndmask_b32_e32 v1, v26, v1, vcc
	v_mul_f32_e32 v29, 0x3b124925, v1
	v_pk_mov_b32 v[26:27], s[6:7], s[6:7] op_sel:[0,1]
.LBB20_46:
	s_and_saveexec_b64 s[0:1], s[2:3]
	s_cbranch_execz .LBB20_48
; %bb.47:
	v_lshlrev_b64 v[0:1], 2, v[26:27]
	v_mov_b32_e32 v26, s21
	v_add_co_u32_e32 v0, vcc, s20, v0
	v_addc_co_u32_e32 v1, vcc, v26, v1, vcc
	global_store_dword v[0:1], v29, off
.LBB20_48:
	s_or_b64 exec, exec, s[0:1]
	s_add_i32 s0, s9, 3
	s_ashr_i32 s1, s0, 31
	s_lshr_b32 s1, s1, 30
	s_add_i32 s0, s0, s1
	;;#ASMSTART
	v_rcp_f32 v0, v29
	;;#ASMEND
	v_mov_b32_e32 v1, v0
	;;#ASMSTART
	v_pk_mul_f32 v[24:25], v[24:25], v[0:1]
	;;#ASMEND
	s_and_b32 s2, s0, -4
	s_ashr_i32 s0, s13, 31
	v_mov_b32_e32 v26, 0xc3e00000
	v_mov_b32_e32 v27, 0x43e00000
	;;#ASMSTART
	v_med3_f32 v24, v24, v26, v27
v_med3_f32 v25, v25, v26, v27
v_cvt_pk_fp8_f32 v28, v24, v25
	;;#ASMEND
	;;#ASMSTART
	v_pk_mul_f32 v[22:23], v[22:23], v[0:1]
	;;#ASMEND
	s_mul_hi_u32 s1, s13, s6
	s_mul_i32 s0, s0, s6
	;;#ASMSTART
	v_med3_f32 v22, v22, v26, v27
v_med3_f32 v23, v23, v26, v27
v_cvt_pk_fp8_f32 v24, v22, v23
	;;#ASMEND
	s_mov_b32 s5, 0x5040100
	s_add_i32 s1, s1, s0
	s_mul_i32 s0, s13, s6
	v_perm_b32 v23, v24, v28, s5
	s_movk_i32 s6, 0xff
	v_and_b32_e32 v22, 0xffffff00, v24
	v_and_b32_sdwa v24, v23, s6 dst_sel:DWORD dst_unused:UNUSED_PAD src0_sel:WORD_1 src1_sel:DWORD
	s_mov_b32 s4, 0xffff
	v_or_b32_sdwa v22, v24, v22 dst_sel:WORD_1 dst_unused:UNUSED_PAD src0_sel:DWORD src1_sel:DWORD
	;;#ASMSTART
	v_pk_mul_f32 v[20:21], v[20:21], v[0:1]
	;;#ASMEND
	v_and_or_b32 v22, v23, s4, v22
	;;#ASMSTART
	v_med3_f32 v20, v20, v26, v27
v_med3_f32 v21, v21, v26, v27
v_cvt_pk_fp8_f32 v23, v20, v21
	;;#ASMEND
	;;#ASMSTART
	v_pk_mul_f32 v[16:17], v[16:17], v[0:1]
	;;#ASMEND
	s_add_u32 s0, s16, s0
	;;#ASMSTART
	v_med3_f32 v16, v16, v26, v27
v_med3_f32 v17, v17, v26, v27
v_cvt_pk_fp8_f32 v20, v16, v17
	;;#ASMEND
	s_addc_u32 s1, s17, s1
	v_lshlrev_b32_e32 v16, 16, v20
	s_and_b32 s1, s1, 0xffff
	s_mov_b32 s3, 0x20000
	v_and_or_b32 v23, v23, s4, v16
	buffer_store_dwordx2 v[22:23], v38, s[0:3], 0 offen
	;;#ASMSTART
	s_nop 0
	;;#ASMEND
	;;#ASMSTART
	v_pk_mul_f32 v[16:17], v[18:19], v[0:1]
	;;#ASMEND
	;;#ASMSTART
	v_med3_f32 v16, v16, v26, v27
v_med3_f32 v17, v17, v26, v27
v_cvt_pk_fp8_f32 v18, v16, v17
	;;#ASMEND
	;;#ASMSTART
	v_pk_mul_f32 v[14:15], v[14:15], v[0:1]
	;;#ASMEND
	;;#ASMSTART
	v_med3_f32 v14, v14, v26, v27
v_med3_f32 v15, v15, v26, v27
v_cvt_pk_fp8_f32 v16, v14, v15
	;;#ASMEND
	v_perm_b32 v15, v16, v18, s5
	v_and_b32_e32 v14, 0xffffff00, v16
	v_and_b32_sdwa v16, v15, s6 dst_sel:DWORD dst_unused:UNUSED_PAD src0_sel:WORD_1 src1_sel:DWORD
	v_or_b32_sdwa v14, v16, v14 dst_sel:WORD_1 dst_unused:UNUSED_PAD src0_sel:DWORD src1_sel:DWORD
	;;#ASMSTART
	v_pk_mul_f32 v[12:13], v[12:13], v[0:1]
	;;#ASMEND
	v_and_or_b32 v14, v15, s4, v14
	;;#ASMSTART
	v_med3_f32 v12, v12, v26, v27
v_med3_f32 v13, v13, v26, v27
v_cvt_pk_fp8_f32 v15, v12, v13
	;;#ASMEND
	;;#ASMSTART
	v_pk_mul_f32 v[8:9], v[8:9], v[0:1]
	;;#ASMEND
	;;#ASMSTART
	v_med3_f32 v8, v8, v26, v27
v_med3_f32 v9, v9, v26, v27
v_cvt_pk_fp8_f32 v12, v8, v9
	;;#ASMEND
	v_lshlrev_b32_e32 v8, 16, v12
	v_and_or_b32 v15, v15, s4, v8
	buffer_store_dwordx2 v[14:15], v38, s[0:3], 8 offen
	;;#ASMSTART
	s_nop 0
	;;#ASMEND
	;;#ASMSTART
	v_pk_mul_f32 v[8:9], v[10:11], v[0:1]
	;;#ASMEND
	;;#ASMSTART
	v_med3_f32 v8, v8, v26, v27
v_med3_f32 v9, v9, v26, v27
v_cvt_pk_fp8_f32 v10, v8, v9
	;;#ASMEND
	;;#ASMSTART
	v_pk_mul_f32 v[6:7], v[6:7], v[0:1]
	;;#ASMEND
	;;#ASMSTART
	v_med3_f32 v6, v6, v26, v27
v_med3_f32 v7, v7, v26, v27
v_cvt_pk_fp8_f32 v8, v6, v7
	;;#ASMEND
	v_perm_b32 v7, v8, v10, s5
	v_and_b32_e32 v6, 0xffffff00, v8
	v_and_b32_sdwa v8, v7, s6 dst_sel:DWORD dst_unused:UNUSED_PAD src0_sel:WORD_1 src1_sel:DWORD
	v_or_b32_sdwa v6, v8, v6 dst_sel:WORD_1 dst_unused:UNUSED_PAD src0_sel:DWORD src1_sel:DWORD
	;;#ASMSTART
	v_pk_mul_f32 v[4:5], v[4:5], v[0:1]
	;;#ASMEND
	v_and_or_b32 v6, v7, s4, v6
	;;#ASMSTART
	v_med3_f32 v4, v4, v26, v27
v_med3_f32 v5, v5, v26, v27
v_cvt_pk_fp8_f32 v7, v4, v5
	;;#ASMEND
	;;#ASMSTART
	v_pk_mul_f32 v[0:1], v[2:3], v[0:1]
	;;#ASMEND
	;;#ASMSTART
	v_med3_f32 v0, v0, v26, v27
v_med3_f32 v1, v1, v26, v27
v_cvt_pk_fp8_f32 v2, v0, v1
	;;#ASMEND
	v_lshlrev_b32_e32 v0, 16, v2
	v_and_or_b32 v7, v7, s4, v0
	buffer_store_dwordx2 v[6:7], v38, s[0:3], 16 offen
	;;#ASMSTART
	s_nop 0
	;;#ASMEND
.LBB20_49:
	s_endpgm
.LBB20_50:
                                        ; implicit-def: $vgpr26_vgpr27
	s_branch .LBB20_37
	.section	.rodata,"a",@progbits
	.p2align	6, 0x0
	.amdhsa_kernel _ZN5aiter24add_rmsnorm_quant_kernelItDB8_Li256ELi24ELb1ELb1ELb0ELi1EEEvPT0_PT_PfS5_S5_S5_diiiiiiib
		.amdhsa_group_segment_fixed_size 32
		.amdhsa_private_segment_fixed_size 0
		.amdhsa_kernarg_size 88
		.amdhsa_user_sgpr_count 6
		.amdhsa_user_sgpr_private_segment_buffer 1
		.amdhsa_user_sgpr_dispatch_ptr 0
		.amdhsa_user_sgpr_queue_ptr 0
		.amdhsa_user_sgpr_kernarg_segment_ptr 1
		.amdhsa_user_sgpr_dispatch_id 0
		.amdhsa_user_sgpr_flat_scratch_init 0
		.amdhsa_user_sgpr_kernarg_preload_length 0
		.amdhsa_user_sgpr_kernarg_preload_offset 0
		.amdhsa_user_sgpr_private_segment_size 0
		.amdhsa_uses_dynamic_stack 0
		.amdhsa_system_sgpr_private_segment_wavefront_offset 0
		.amdhsa_system_sgpr_workgroup_id_x 1
		.amdhsa_system_sgpr_workgroup_id_y 0
		.amdhsa_system_sgpr_workgroup_id_z 0
		.amdhsa_system_sgpr_workgroup_info 0
		.amdhsa_system_vgpr_workitem_id 0
		.amdhsa_next_free_vgpr 66
		.amdhsa_next_free_sgpr 40
		.amdhsa_accum_offset 68
		.amdhsa_reserve_vcc 1
		.amdhsa_reserve_flat_scratch 0
		.amdhsa_float_round_mode_32 0
		.amdhsa_float_round_mode_16_64 0
		.amdhsa_float_denorm_mode_32 3
		.amdhsa_float_denorm_mode_16_64 3
		.amdhsa_dx10_clamp 1
		.amdhsa_ieee_mode 1
		.amdhsa_fp16_overflow 0
		.amdhsa_tg_split 0
		.amdhsa_exception_fp_ieee_invalid_op 0
		.amdhsa_exception_fp_denorm_src 0
		.amdhsa_exception_fp_ieee_div_zero 0
		.amdhsa_exception_fp_ieee_overflow 0
		.amdhsa_exception_fp_ieee_underflow 0
		.amdhsa_exception_fp_ieee_inexact 0
		.amdhsa_exception_int_div_zero 0
	.end_amdhsa_kernel
	.section	.text._ZN5aiter24add_rmsnorm_quant_kernelItDB8_Li256ELi24ELb1ELb1ELb0ELi1EEEvPT0_PT_PfS5_S5_S5_diiiiiiib,"axG",@progbits,_ZN5aiter24add_rmsnorm_quant_kernelItDB8_Li256ELi24ELb1ELb1ELb0ELi1EEEvPT0_PT_PfS5_S5_S5_diiiiiiib,comdat
.Lfunc_end20:
	.size	_ZN5aiter24add_rmsnorm_quant_kernelItDB8_Li256ELi24ELb1ELb1ELb0ELi1EEEvPT0_PT_PfS5_S5_S5_diiiiiiib, .Lfunc_end20-_ZN5aiter24add_rmsnorm_quant_kernelItDB8_Li256ELi24ELb1ELb1ELb0ELi1EEEvPT0_PT_PfS5_S5_S5_diiiiiiib
                                        ; -- End function
	.section	.AMDGPU.csdata,"",@progbits
; Kernel info:
; codeLenInByte = 4860
; NumSgprs: 44
; NumVgprs: 66
; NumAgprs: 0
; TotalNumVgprs: 66
; ScratchSize: 0
; MemoryBound: 0
; FloatMode: 240
; IeeeMode: 1
; LDSByteSize: 32 bytes/workgroup (compile time only)
; SGPRBlocks: 5
; VGPRBlocks: 8
; NumSGPRsForWavesPerEU: 44
; NumVGPRsForWavesPerEU: 66
; AccumOffset: 68
; Occupancy: 7
; WaveLimiterHint : 0
; COMPUTE_PGM_RSRC2:SCRATCH_EN: 0
; COMPUTE_PGM_RSRC2:USER_SGPR: 6
; COMPUTE_PGM_RSRC2:TRAP_HANDLER: 0
; COMPUTE_PGM_RSRC2:TGID_X_EN: 1
; COMPUTE_PGM_RSRC2:TGID_Y_EN: 0
; COMPUTE_PGM_RSRC2:TGID_Z_EN: 0
; COMPUTE_PGM_RSRC2:TIDIG_COMP_CNT: 0
; COMPUTE_PGM_RSRC3_GFX90A:ACCUM_OFFSET: 16
; COMPUTE_PGM_RSRC3_GFX90A:TG_SPLIT: 0
	.section	.text._ZN5aiter24add_rmsnorm_quant_kernelIDF16_DB8_Li256ELi32ELb1ELb1ELb1ELi1EEEvPT0_PT_PfS5_S5_S5_diiiiiiib,"axG",@progbits,_ZN5aiter24add_rmsnorm_quant_kernelIDF16_DB8_Li256ELi32ELb1ELb1ELb1ELi1EEEvPT0_PT_PfS5_S5_S5_diiiiiiib,comdat
	.protected	_ZN5aiter24add_rmsnorm_quant_kernelIDF16_DB8_Li256ELi32ELb1ELb1ELb1ELi1EEEvPT0_PT_PfS5_S5_S5_diiiiiiib ; -- Begin function _ZN5aiter24add_rmsnorm_quant_kernelIDF16_DB8_Li256ELi32ELb1ELb1ELb1ELi1EEEvPT0_PT_PfS5_S5_S5_diiiiiiib
	.globl	_ZN5aiter24add_rmsnorm_quant_kernelIDF16_DB8_Li256ELi32ELb1ELb1ELb1ELi1EEEvPT0_PT_PfS5_S5_S5_diiiiiiib
	.p2align	8
	.type	_ZN5aiter24add_rmsnorm_quant_kernelIDF16_DB8_Li256ELi32ELb1ELb1ELb1ELi1EEEvPT0_PT_PfS5_S5_S5_diiiiiiib,@function
_ZN5aiter24add_rmsnorm_quant_kernelIDF16_DB8_Li256ELi32ELb1ELb1ELb1ELi1EEEvPT0_PT_PfS5_S5_S5_diiiiiiib: ; @_ZN5aiter24add_rmsnorm_quant_kernelIDF16_DB8_Li256ELi32ELb1ELb1ELb1ELi1EEEvPT0_PT_PfS5_S5_S5_diiiiiiib
; %bb.0:
	s_load_dwordx8 s[8:15], s[4:5], 0x38
	s_mov_b32 s7, 0
	s_waitcnt lgkmcnt(0)
	s_ashr_i32 s0, s8, 31
	v_mov_b32_e32 v2, s8
	v_mov_b32_e32 v3, s0
	v_cmp_ge_i64_e32 vcc, s[6:7], v[2:3]
	s_cbranch_vccnz .LBB21_49
; %bb.1:
	s_load_dwordx8 s[16:23], s[4:5], 0x0
	s_load_dwordx8 s[24:31], s[4:5], 0x20
	s_ashr_i32 s0, s10, 31
	s_mul_hi_u32 s1, s10, s6
	s_mul_i32 s0, s0, s6
	s_add_i32 s1, s1, s0
	s_mul_i32 s0, s10, s6
	s_lshl_b64 s[0:1], s[0:1], 1
	s_waitcnt lgkmcnt(0)
	s_add_u32 s0, s22, s0
	s_addc_u32 s1, s23, s1
	s_add_i32 s2, s9, 1
	s_lshr_b32 s3, s2, 31
	v_lshlrev_b32_e32 v1, 5, v0
	s_add_i32 s2, s2, s3
	v_lshlrev_b32_e32 v2, 3, v0
	v_and_b32_e32 v3, 0x7800, v1
	s_movk_i32 s4, 0x1f8
	s_lshl_b32 s2, s2, 1
	v_and_or_b32 v50, v2, s4, v3
	s_and_b32 s2, s2, -4
	s_and_b32 s1, s1, 0xffff
	s_mov_b32 s3, 0x20000
	v_lshlrev_b32_e32 v51, 1, v50
	s_movk_i32 s10, 0x400
	s_movk_i32 s5, 0x800
	buffer_load_dwordx4 v[2:5], v51, s[0:3], s10 offen glc slc
	buffer_load_dwordx4 v[10:13], v51, s[0:3], 0 offen glc slc
	s_movk_i32 s4, 0xc00
	buffer_load_dwordx4 v[6:9], v51, s[0:3], s5 offen glc slc
	buffer_load_dwordx4 v[18:21], v51, s[0:3], s4 offen glc slc
	s_ashr_i32 s0, s11, 31
	s_mul_hi_u32 s1, s11, s6
	s_mul_i32 s0, s0, s6
	s_add_i32 s1, s1, s0
	s_mul_i32 s0, s11, s6
	s_and_b32 s37, s27, 0xffff
	s_lshl_b64 s[0:1], s[0:1], 1
	s_add_u32 s0, s24, s0
	s_addc_u32 s1, s25, s1
	s_and_b32 s1, s1, 0xffff
	buffer_load_dwordx4 v[26:29], v51, s[0:3], s10 offen glc slc
	buffer_load_dwordx4 v[30:33], v51, s[0:3], s5 offen glc slc
	;; [unrolled: 1-line block ×4, first 2 shown]
	s_mov_b32 s39, s3
	s_mov_b32 s36, s26
	s_mov_b32 s38, s2
	s_ashr_i32 s0, s12, 31
	s_mul_hi_u32 s1, s12, s6
	s_mul_i32 s0, s0, s6
	s_add_i32 s1, s1, s0
	s_mul_i32 s0, s12, s6
	s_lshl_b64 s[0:1], s[0:1], 1
	s_add_u32 s0, s18, s0
	s_addc_u32 s1, s19, s1
	s_and_b32 s1, s1, 0xffff
	s_waitcnt vmcnt(7)
	v_cvt_f32_f16_e32 v34, v2
	v_cvt_f32_f16_sdwa v35, v2 dst_sel:DWORD dst_unused:UNUSED_PAD src0_sel:WORD_1
	v_cvt_f32_f16_e32 v36, v3
	v_cvt_f32_f16_sdwa v37, v3 dst_sel:DWORD dst_unused:UNUSED_PAD src0_sel:WORD_1
	v_cvt_f32_f16_e32 v38, v4
	v_cvt_f32_f16_sdwa v39, v4 dst_sel:DWORD dst_unused:UNUSED_PAD src0_sel:WORD_1
	v_cvt_f32_f16_e32 v40, v5
	v_cvt_f32_f16_sdwa v41, v5 dst_sel:DWORD dst_unused:UNUSED_PAD src0_sel:WORD_1
	s_waitcnt vmcnt(5)
	v_cvt_f32_f16_e32 v42, v6
	v_cvt_f32_f16_sdwa v43, v6 dst_sel:DWORD dst_unused:UNUSED_PAD src0_sel:WORD_1
	v_cvt_f32_f16_e32 v44, v7
	v_cvt_f32_f16_sdwa v45, v7 dst_sel:DWORD dst_unused:UNUSED_PAD src0_sel:WORD_1
	v_cvt_f32_f16_e32 v46, v8
	v_cvt_f32_f16_sdwa v47, v8 dst_sel:DWORD dst_unused:UNUSED_PAD src0_sel:WORD_1
	v_cvt_f32_f16_e32 v48, v9
	v_cvt_f32_f16_sdwa v49, v9 dst_sel:DWORD dst_unused:UNUSED_PAD src0_sel:WORD_1
	;; [unrolled: 9-line block ×4, first 2 shown]
	v_pk_add_f32 v[26:27], v[34:35], v[52:53]
	v_cvt_f32_f16_e32 v52, v18
	v_cvt_f32_f16_sdwa v53, v18 dst_sel:DWORD dst_unused:UNUSED_PAD src0_sel:WORD_1
	v_pk_add_f32 v[28:29], v[36:37], v[54:55]
	v_cvt_f32_f16_e32 v54, v19
	v_cvt_f32_f16_sdwa v55, v19 dst_sel:DWORD dst_unused:UNUSED_PAD src0_sel:WORD_1
	;; [unrolled: 3-line block ×3, first 2 shown]
	v_pk_add_f32 v[30:31], v[40:41], v[58:59]
	s_waitcnt vmcnt(1)
	v_cvt_f32_f16_e32 v40, v22
	v_cvt_f32_f16_sdwa v41, v22 dst_sel:DWORD dst_unused:UNUSED_PAD src0_sel:WORD_1
	v_pk_add_f32 v[32:33], v[42:43], v[60:61]
	v_cvt_f32_f16_e32 v42, v23
	v_cvt_f32_f16_sdwa v43, v23 dst_sel:DWORD dst_unused:UNUSED_PAD src0_sel:WORD_1
	v_pk_add_f32 v[36:37], v[44:45], v[62:63]
	v_pk_add_f32 v[34:35], v[46:47], v[64:65]
	;; [unrolled: 1-line block ×3, first 2 shown]
	v_cvt_f32_f16_e32 v44, v24
	v_cvt_f32_f16_sdwa v45, v24 dst_sel:DWORD dst_unused:UNUSED_PAD src0_sel:WORD_1
	v_cvt_f32_f16_e32 v46, v21
	v_cvt_f32_f16_sdwa v47, v21 dst_sel:DWORD dst_unused:UNUSED_PAD src0_sel:WORD_1
	;; [unrolled: 2-line block ×3, first 2 shown]
	v_pk_add_f32 v[24:25], v[54:55], v[42:43]
	v_pk_add_f32 v[20:21], v[38:39], v[44:45]
	v_cvt_f32_f16_e32 v42, v10
	v_pk_add_f32 v[38:39], v[46:47], v[48:49]
	v_cvt_f32_f16_sdwa v43, v10 dst_sel:DWORD dst_unused:UNUSED_PAD src0_sel:WORD_1
	s_waitcnt vmcnt(0)
	v_cvt_f32_f16_e32 v44, v14
	v_cvt_f32_f16_sdwa v45, v14 dst_sel:DWORD dst_unused:UNUSED_PAD src0_sel:WORD_1
	v_cvt_f32_f16_e32 v46, v12
	v_cvt_f32_f16_sdwa v47, v12 dst_sel:DWORD dst_unused:UNUSED_PAD src0_sel:WORD_1
	;; [unrolled: 2-line block ×5, first 2 shown]
	buffer_load_dwordx4 v[6:9], v51, s[36:39], 0 offen
	buffer_load_dwordx4 v[2:5], v51, s[36:39], s10 offen
	v_pk_add_f32 v[40:41], v[52:53], v[40:41]
	v_cvt_f32_f16_e32 v48, v11
	v_cvt_f32_f16_sdwa v49, v11 dst_sel:DWORD dst_unused:UNUSED_PAD src0_sel:WORD_1
	v_cvt_f32_f16_e32 v52, v15
	v_cvt_f32_f16_sdwa v53, v15 dst_sel:DWORD dst_unused:UNUSED_PAD src0_sel:WORD_1
	buffer_load_dwordx4 v[14:17], v51, s[36:39], s5 offen
	buffer_load_dwordx4 v[10:13], v51, s[36:39], s4 offen
	v_pk_add_f32 v[44:45], v[42:43], v[44:45]
	v_pk_add_f32 v[42:43], v[46:47], v[54:55]
	;; [unrolled: 1-line block ×3, first 2 shown]
	v_cvt_f16_f32_e32 v55, v47
	v_cvt_f16_f32_e32 v56, v46
	v_pk_add_f32 v[48:49], v[48:49], v[52:53]
	v_cvt_f16_f32_e32 v60, v45
	v_cvt_f16_f32_e32 v54, v43
	v_cvt_f16_f32_e32 v57, v42
	v_cvt_f16_f32_e32 v52, v49
	v_pack_b32_f16 v55, v56, v55
	v_cvt_f16_f32_e32 v53, v48
	v_cvt_f16_f32_e32 v56, v44
	v_pack_b32_f16 v54, v57, v54
	v_cvt_f16_f32_e32 v57, v26
	v_pack_b32_f16 v53, v53, v52
	v_pack_b32_f16 v52, v56, v60
	buffer_store_dwordx4 v[52:55], v51, s[0:3], 0 offen glc slc
	v_cvt_f16_f32_e32 v56, v19
	v_cvt_f16_f32_e32 v52, v18
	;; [unrolled: 1-line block ×5, first 2 shown]
	;;#ASMSTART
	s_nop 0
	;;#ASMEND
	v_pack_b32_f16 v55, v53, v54
	v_pack_b32_f16 v54, v52, v56
	v_cvt_f16_f32_e32 v52, v29
	v_cvt_f16_f32_e32 v56, v27
	v_pack_b32_f16 v53, v58, v52
	v_pack_b32_f16 v52, v57, v56
	buffer_store_dwordx4 v[52:55], v51, s[0:3], s10 offen glc slc
	v_cvt_f16_f32_e32 v52, v34
	v_cvt_f16_f32_e32 v53, v22
	;; [unrolled: 1-line block ×6, first 2 shown]
	v_pack_b32_f16 v55, v53, v54
	v_pack_b32_f16 v54, v52, v56
	v_cvt_f16_f32_e32 v52, v37
	v_cvt_f16_f32_e32 v56, v33
	;;#ASMSTART
	s_nop 0
	;;#ASMEND
	v_pack_b32_f16 v53, v58, v52
	v_pack_b32_f16 v52, v57, v56
	buffer_store_dwordx4 v[52:55], v51, s[0:3], s5 offen glc slc
	v_cvt_f16_f32_e32 v52, v20
	v_cvt_f16_f32_e32 v53, v38
	;; [unrolled: 1-line block ×6, first 2 shown]
	v_pack_b32_f16 v55, v53, v54
	v_pack_b32_f16 v54, v52, v56
	v_cvt_f16_f32_e32 v52, v25
	v_cvt_f16_f32_e32 v56, v41
	;;#ASMSTART
	s_nop 0
	;;#ASMEND
	v_pack_b32_f16 v53, v58, v52
	v_pack_b32_f16 v52, v57, v56
	buffer_store_dwordx4 v[52:55], v51, s[0:3], s4 offen glc slc
	v_pk_mul_f32 v[52:53], v[44:45], v[44:45]
	v_pk_mul_f32 v[54:55], v[48:49], v[48:49]
	v_add_f32_e32 v51, v52, v53
	v_add_f32_e32 v51, v54, v51
	v_pk_mul_f32 v[56:57], v[42:43], v[42:43]
	v_add_f32_e32 v51, v55, v51
	v_add_f32_e32 v51, v56, v51
	;; [unrolled: 3-line block ×15, first 2 shown]
	v_add_f32_e32 v51, v59, v51
	v_and_b32_e32 v53, 63, v0
	v_cmp_eq_u32_e64 s[0:1], 63, v53
	v_mov_b32_dpp v52, v51 quad_perm:[1,0,3,2] row_mask:0xf bank_mask:0xf
	v_add_f32_e32 v51, v51, v52
	;;#ASMSTART
	s_nop 0
	;;#ASMEND
	s_nop 1
	v_mov_b32_dpp v52, v51 quad_perm:[2,3,0,1] row_mask:0xf bank_mask:0xf
	v_add_f32_e32 v51, v51, v52
	s_nop 1
	v_mov_b32_dpp v52, v51 row_half_mirror row_mask:0xf bank_mask:0xf
	v_add_f32_e32 v51, v51, v52
	s_nop 1
	v_mov_b32_dpp v52, v51 row_mirror row_mask:0xf bank_mask:0xf
	v_add_f32_e32 v51, v51, v52
	s_nop 1
	v_mov_b32_dpp v52, v51 row_bcast:15 row_mask:0xf bank_mask:0xf
	v_add_f32_e32 v51, v51, v52
	s_nop 1
	v_mov_b32_dpp v52, v51 row_bcast:31 row_mask:0xf bank_mask:0xf
	s_and_saveexec_b64 s[2:3], s[0:1]
	s_cbranch_execz .LBB21_3
; %bb.2:
	v_lshrrev_b32_e32 v53, 4, v0
	v_and_b32_e32 v53, 60, v53
	v_add_f32_e32 v51, v51, v52
	ds_write_b32 v53, v51 offset:16
.LBB21_3:
	s_or_b64 exec, exec, s[2:3]
	v_and_b32_e32 v51, 3, v0
	v_lshlrev_b32_e32 v51, 2, v51
	s_waitcnt lgkmcnt(0)
	s_barrier
	ds_read_b32 v52, v51 offset:16
	v_cvt_f32_i32_e32 v53, s9
	s_cmp_lg_u32 s14, 0
	s_waitcnt lgkmcnt(0)
	v_mov_b32_dpp v54, v52 quad_perm:[1,0,3,2] row_mask:0xf bank_mask:0xf
	v_add_f32_e32 v52, v52, v54
	s_nop 1
	v_mov_b32_dpp v54, v52 quad_perm:[2,3,0,1] row_mask:0xf bank_mask:0xf
	v_add_f32_e32 v52, v52, v54
	v_div_scale_f32 v54, s[2:3], v53, v53, v52
	v_rcp_f32_e32 v55, v54
	v_div_scale_f32 v56, vcc, v52, v53, v52
	s_mov_b32 s2, 0x800000
	v_fma_f32 v57, -v54, v55, 1.0
	v_fmac_f32_e32 v55, v57, v55
	v_mul_f32_e32 v57, v56, v55
	v_fma_f32 v58, -v54, v57, v56
	v_fmac_f32_e32 v57, v58, v55
	v_fma_f32 v54, -v54, v57, v56
	v_div_fmas_f32 v54, v54, v55, v57
	v_div_fixup_f32 v52, v54, v53, v52
	v_cvt_f64_f32_e32 v[52:53], v52
	v_add_f64 v[52:53], v[52:53], s[28:29]
	v_cvt_f32_f64_e32 v52, v[52:53]
	v_mul_f32_e32 v53, 0x4b800000, v52
	v_cmp_gt_f32_e32 vcc, s2, v52
	v_cndmask_b32_e32 v52, v52, v53, vcc
	v_rsq_f32_e32 v52, v52
	v_mul_f32_e32 v53, 0x45800000, v52
	v_cndmask_b32_e32 v52, v52, v53, vcc
	v_mov_b32_e32 v53, v52
	;;#ASMSTART
	v_pk_mul_f32 v[44:45], v[44:45], v[52:53]
	;;#ASMEND
	;;#ASMSTART
	v_pk_mul_f32 v[48:49], v[48:49], v[52:53]
	;;#ASMEND
	;; [unrolled: 3-line block ×15, first 2 shown]
	s_waitcnt vmcnt(7)
	v_cvt_f32_f16_sdwa v21, v6 dst_sel:DWORD dst_unused:UNUSED_PAD src0_sel:WORD_1
	v_cvt_f32_f16_e32 v20, v6
	v_cvt_f32_f16_sdwa v23, v7 dst_sel:DWORD dst_unused:UNUSED_PAD src0_sel:WORD_1
	v_cvt_f32_f16_e32 v22, v7
	;; [unrolled: 2-line block ×3, first 2 shown]
	;;#ASMSTART
	v_pk_mul_f32 v[38:39], v[38:39], v[52:53]
	;;#ASMEND
	v_cvt_f32_f16_sdwa v25, v9 dst_sel:DWORD dst_unused:UNUSED_PAD src0_sel:WORD_1
	v_cvt_f32_f16_e32 v24, v9
	;;#ASMSTART
	v_pk_mul_f32 v[34:35], v[44:45], v[20:21]
	;;#ASMEND
	;;#ASMSTART
	v_pk_mul_f32 v[32:33], v[48:49], v[22:23]
	;;#ASMEND
	;; [unrolled: 3-line block ×3, first 2 shown]
	s_waitcnt vmcnt(6)
	v_cvt_f32_f16_sdwa v7, v2 dst_sel:DWORD dst_unused:UNUSED_PAD src0_sel:WORD_1
	v_cvt_f32_f16_e32 v6, v2
	v_cvt_f32_f16_sdwa v9, v3 dst_sel:DWORD dst_unused:UNUSED_PAD src0_sel:WORD_1
	v_cvt_f32_f16_e32 v8, v3
	;; [unrolled: 2-line block ×4, first 2 shown]
	s_waitcnt vmcnt(5)
	v_cvt_f32_f16_sdwa v5, v15 dst_sel:DWORD dst_unused:UNUSED_PAD src0_sel:WORD_1
	v_cvt_f32_f16_e32 v4, v15
	;;#ASMSTART
	v_pk_mul_f32 v[26:27], v[46:47], v[24:25]
	;;#ASMEND
	;;#ASMSTART
	v_pk_mul_f32 v[28:29], v[54:55], v[6:7]
	;;#ASMEND
	;; [unrolled: 3-line block ×5, first 2 shown]
	v_cvt_f32_f16_sdwa v3, v14 dst_sel:DWORD dst_unused:UNUSED_PAD src0_sel:WORD_1
	v_cvt_f32_f16_e32 v2, v14
	v_cvt_f32_f16_sdwa v7, v16 dst_sel:DWORD dst_unused:UNUSED_PAD src0_sel:WORD_1
	v_cvt_f32_f16_e32 v6, v16
	;; [unrolled: 2-line block ×3, first 2 shown]
	;;#ASMSTART
	v_pk_mul_f32 v[20:21], v[60:61], v[2:3]
	;;#ASMEND
	;;#ASMSTART
	v_pk_mul_f32 v[16:17], v[36:37], v[4:5]
	;;#ASMEND
	s_waitcnt vmcnt(4)
	v_cvt_f32_f16_sdwa v5, v11 dst_sel:DWORD dst_unused:UNUSED_PAD src0_sel:WORD_1
	v_cvt_f32_f16_e32 v4, v11
	v_cvt_f32_f16_e32 v36, v12
	;;#ASMSTART
	v_pk_mul_f32 v[14:15], v[62:63], v[6:7]
	;;#ASMEND
	;;#ASMSTART
	v_pk_mul_f32 v[8:9], v[64:65], v[8:9]
	;;#ASMEND
	v_cvt_f32_f16_sdwa v3, v10 dst_sel:DWORD dst_unused:UNUSED_PAD src0_sel:WORD_1
	v_cvt_f32_f16_e32 v2, v10
	v_cvt_f32_f16_sdwa v37, v12 dst_sel:DWORD dst_unused:UNUSED_PAD src0_sel:WORD_1
	;;#ASMSTART
	v_pk_mul_f32 v[10:11], v[40:41], v[2:3]
	;;#ASMEND
	;;#ASMSTART
	v_pk_mul_f32 v[6:7], v[66:67], v[4:5]
	;;#ASMEND
	;; [unrolled: 3-line block ×3, first 2 shown]
	v_and_b32_e32 v12, 0x7fffffff, v34
	v_mov_b32_e32 v36, 0x2edbe6ff
	v_cvt_f32_f16_sdwa v43, v13 dst_sel:DWORD dst_unused:UNUSED_PAD src0_sel:WORD_1
	v_cvt_f32_f16_e32 v42, v13
	;;#ASMSTART
	v_pk_mul_f32 v[2:3], v[38:39], v[42:43]
	;;#ASMEND
	v_and_b32_e32 v13, 0x7fffffff, v35
	;;#ASMSTART
	v_max3_f32 v12, v36, v12, v13

	;;#ASMEND
	v_and_b32_e32 v36, 0x7fffffff, v33
	v_and_b32_e32 v13, 0x7fffffff, v32
	;;#ASMSTART
	v_max3_f32 v12, v12, v13, v36

	;;#ASMEND
	v_and_b32_e32 v36, 0x7fffffff, v31
	;; [unrolled: 6-line block ×15, first 2 shown]
	v_and_b32_e32 v13, 0x7fffffff, v2
	;;#ASMSTART
	v_max3_f32 v36, v12, v13, v36

	;;#ASMEND
	s_cbranch_scc0 .LBB21_10
; %bb.4:
	s_ashr_i32 s12, s14, 31
	s_lshr_b32 s2, s12, 27
	s_add_i32 s2, s14, s2
	s_ashr_i32 s10, s2, 5
	s_cmp_lt_i32 s10, 16
	s_cbranch_scc1 .LBB21_11
; %bb.5:
	s_cmp_lt_i32 s10, 32
	s_cbranch_scc1 .LBB21_12
; %bb.6:
	;; [unrolled: 3-line block ×3, first 2 shown]
	s_cmp_eq_u32 s10, 64
	v_mov_b32_e32 v12, v36
	s_cbranch_scc0 .LBB21_9
; %bb.8:
	s_nop 0
	v_mov_b32_dpp v12, v36 quad_perm:[1,0,3,2] row_mask:0xf bank_mask:0xf
	v_cmp_gt_f32_e32 vcc, v36, v12
	v_cndmask_b32_e32 v12, v12, v36, vcc
	v_bfrev_b32_e32 v37, 0.5
	s_nop 0
	v_mov_b32_dpp v13, v12 quad_perm:[2,3,0,1] row_mask:0xf bank_mask:0xf
	v_cmp_gt_f32_e32 vcc, v12, v13
	v_cndmask_b32_e32 v12, v13, v12, vcc
	s_nop 1
	v_mov_b32_dpp v13, v12 row_ror:4 row_mask:0xf bank_mask:0xf
	v_cmp_gt_f32_e32 vcc, v12, v13
	v_cndmask_b32_e32 v12, v13, v12, vcc
	s_nop 1
	v_mov_b32_dpp v13, v12 row_ror:8 row_mask:0xf bank_mask:0xf
	v_cmp_gt_f32_e32 vcc, v12, v13
	v_cndmask_b32_e32 v12, v13, v12, vcc
	s_nop 1
	v_mov_b32_dpp v13, v12 row_bcast:15 row_mask:0xf bank_mask:0xf
	v_cmp_gt_f32_e32 vcc, v12, v13
	v_cndmask_b32_e32 v12, v13, v12, vcc
	s_nop 1
	v_mov_b32_dpp v13, v12 row_bcast:31 row_mask:0xf bank_mask:0xf
	v_cmp_gt_f32_e32 vcc, v12, v13
	v_cndmask_b32_e32 v12, v13, v12, vcc
	v_mbcnt_lo_u32_b32 v13, -1, 0
	v_mbcnt_hi_u32_b32 v13, -1, v13
	v_lshl_or_b32 v13, v13, 2, v37
	ds_bpermute_b32 v12, v13, v12
.LBB21_9:
	s_mov_b64 s[2:3], 0
	s_branch .LBB21_14
.LBB21_10:
	s_mov_b64 s[2:3], 0
                                        ; implicit-def: $vgpr37
                                        ; implicit-def: $vgpr12_vgpr13
	s_cbranch_execnz .LBB21_43
	s_branch .LBB21_46
.LBB21_11:
                                        ; implicit-def: $vgpr12
	s_branch .LBB21_21
.LBB21_12:
                                        ; implicit-def: $vgpr12
	s_branch .LBB21_18
.LBB21_13:
	s_mov_b64 s[2:3], -1
                                        ; implicit-def: $vgpr12
.LBB21_14:
	s_andn2_b64 vcc, exec, s[2:3]
	s_cbranch_vccnz .LBB21_17
; %bb.15:
	s_cmp_eq_u32 s10, 32
	s_waitcnt lgkmcnt(0)
	v_mov_b32_e32 v12, v36
	s_cbranch_scc0 .LBB21_17
; %bb.16:
	s_nop 0
	v_mov_b32_dpp v12, v36 quad_perm:[1,0,3,2] row_mask:0xf bank_mask:0xf
	v_cmp_gt_f32_e32 vcc, v36, v12
	v_cndmask_b32_e32 v12, v12, v36, vcc
	v_mov_b32_e32 v37, 0x7c
	s_nop 0
	v_mov_b32_dpp v13, v12 quad_perm:[2,3,0,1] row_mask:0xf bank_mask:0xf
	v_cmp_gt_f32_e32 vcc, v12, v13
	v_cndmask_b32_e32 v12, v13, v12, vcc
	s_nop 1
	v_mov_b32_dpp v13, v12 row_half_mirror row_mask:0xf bank_mask:0xf
	v_cmp_gt_f32_e32 vcc, v12, v13
	v_cndmask_b32_e32 v12, v13, v12, vcc
	s_nop 1
	v_mov_b32_dpp v13, v12 row_mirror row_mask:0xf bank_mask:0xf
	v_cmp_gt_f32_e32 vcc, v12, v13
	v_cndmask_b32_e32 v12, v13, v12, vcc
	s_nop 1
	v_mov_b32_dpp v13, v12 row_bcast:15 row_mask:0xa bank_mask:0xf
	v_cmp_gt_f32_e32 vcc, v12, v13
	v_cndmask_b32_e32 v12, v13, v12, vcc
	v_mbcnt_lo_u32_b32 v13, -1, 0
	v_mbcnt_hi_u32_b32 v13, -1, v13
	v_lshl_or_b32 v13, v13, 2, v37
	ds_bpermute_b32 v12, v13, v12
.LBB21_17:
	s_cbranch_execnz .LBB21_20
.LBB21_18:
	s_cmp_eq_u32 s10, 16
	s_waitcnt lgkmcnt(0)
	v_mov_b32_e32 v12, v36
	s_cbranch_scc0 .LBB21_20
; %bb.19:
	s_nop 0
	v_mov_b32_dpp v12, v36 quad_perm:[1,0,3,2] row_mask:0xf bank_mask:0xf
	v_cmp_gt_f32_e32 vcc, v36, v12
	v_cndmask_b32_e32 v12, v12, v36, vcc
	s_nop 1
	v_mov_b32_dpp v13, v12 quad_perm:[2,3,0,1] row_mask:0xf bank_mask:0xf
	v_cmp_gt_f32_e32 vcc, v12, v13
	v_cndmask_b32_e32 v12, v13, v12, vcc
	s_nop 1
	v_mov_b32_dpp v13, v12 row_half_mirror row_mask:0xf bank_mask:0xf
	v_cmp_gt_f32_e32 vcc, v12, v13
	v_cndmask_b32_e32 v12, v13, v12, vcc
	s_nop 1
	v_mov_b32_dpp v13, v12 row_mirror row_mask:0xf bank_mask:0xf
	v_cmp_gt_f32_e32 vcc, v12, v13
	v_cndmask_b32_e32 v12, v13, v12, vcc
.LBB21_20:
	s_cbranch_execnz .LBB21_33
.LBB21_21:
	s_cmp_lt_i32 s10, 4
	s_cbranch_scc1 .LBB21_25
; %bb.22:
	s_cmp_lt_i32 s10, 8
	s_cbranch_scc1 .LBB21_26
; %bb.23:
	s_cmp_eq_u32 s10, 8
	s_waitcnt lgkmcnt(0)
	v_mov_b32_e32 v12, v36
	s_cbranch_scc0 .LBB21_27
; %bb.24:
	s_nop 0
	v_mov_b32_dpp v12, v36 quad_perm:[1,0,3,2] row_mask:0xf bank_mask:0xf
	v_cmp_gt_f32_e32 vcc, v36, v12
	v_cndmask_b32_e32 v12, v12, v36, vcc
	s_nop 1
	v_mov_b32_dpp v13, v12 quad_perm:[2,3,0,1] row_mask:0xf bank_mask:0xf
	v_cmp_gt_f32_e32 vcc, v12, v13
	v_cndmask_b32_e32 v12, v13, v12, vcc
	s_nop 1
	v_mov_b32_dpp v13, v12 row_half_mirror row_mask:0xf bank_mask:0xf
	v_cmp_gt_f32_e32 vcc, v12, v13
	v_cndmask_b32_e32 v12, v13, v12, vcc
	s_cbranch_execz .LBB21_28
	s_branch .LBB21_30
.LBB21_25:
                                        ; implicit-def: $vgpr12
	s_branch .LBB21_31
.LBB21_26:
                                        ; implicit-def: $vgpr12
	s_branch .LBB21_28
.LBB21_27:
	s_cbranch_execnz .LBB21_30
.LBB21_28:
	s_cmp_eq_u32 s10, 4
	s_waitcnt lgkmcnt(0)
	v_mov_b32_e32 v12, v36
	s_cbranch_scc0 .LBB21_30
; %bb.29:
	s_nop 0
	v_mov_b32_dpp v12, v36 quad_perm:[1,0,3,2] row_mask:0xf bank_mask:0xf
	v_cmp_gt_f32_e32 vcc, v36, v12
	v_cndmask_b32_e32 v12, v12, v36, vcc
	s_nop 1
	v_mov_b32_dpp v13, v12 quad_perm:[2,3,0,1] row_mask:0xf bank_mask:0xf
	v_cmp_gt_f32_e32 vcc, v12, v13
	v_cndmask_b32_e32 v12, v13, v12, vcc
.LBB21_30:
	s_cbranch_execnz .LBB21_33
.LBB21_31:
	s_cmp_lg_u32 s10, 2
	s_waitcnt lgkmcnt(0)
	v_mov_b32_e32 v12, v36
	s_cbranch_scc1 .LBB21_33
; %bb.32:
	s_nop 0
	v_mov_b32_dpp v12, v36 quad_perm:[1,0,3,2] row_mask:0xf bank_mask:0xf
	v_cmp_gt_f32_e32 vcc, v36, v12
	v_cndmask_b32_e32 v12, v12, v36, vcc
.LBB21_33:
	v_cvt_f32_u32_e32 v13, s10
	s_waitcnt lgkmcnt(0)
	v_mul_f32_e32 v37, 0x3b124925, v12
	s_sub_i32 s2, 0, s10
	v_cmp_gt_u32_e32 vcc, s9, v1
	v_rcp_iflag_f32_e32 v13, v13
	s_mov_b64 s[4:5], 0
	v_mul_f32_e32 v12, 0x4f7ffffe, v13
	v_cvt_u32_f32_e32 v12, v12
	v_mul_lo_u32 v1, s2, v12
	v_mul_hi_u32 v1, v12, v1
	v_add_u32_e32 v1, v12, v1
	v_mul_hi_u32 v1, v0, v1
	v_mul_lo_u32 v12, v1, s10
	v_sub_u32_e32 v12, v0, v12
	v_add_u32_e32 v13, 1, v1
	v_cmp_le_u32_e64 s[2:3], s10, v12
	v_cndmask_b32_e64 v1, v1, v13, s[2:3]
	v_subrev_u32_e32 v13, s10, v12
	v_cndmask_b32_e64 v12, v12, v13, s[2:3]
	v_add_u32_e32 v13, 1, v1
	v_cmp_le_u32_e64 s[2:3], s10, v12
	v_cndmask_b32_e64 v1, v1, v13, s[2:3]
	v_mul_lo_u32 v12, v1, s10
	v_sub_u32_e32 v12, v0, v12
	v_cmp_eq_u32_e64 s[2:3], 0, v12
	s_and_b64 s[10:11], s[2:3], vcc
	s_mov_b64 s[2:3], 0
                                        ; implicit-def: $vgpr12_vgpr13
	s_and_saveexec_b64 s[18:19], s[10:11]
	s_xor_b64 s[10:11], exec, s[18:19]
	s_cbranch_execz .LBB21_42
; %bb.34:
	s_bitcmp0_b32 s15, 0
	s_cbranch_scc0 .LBB21_39
; %bb.35:
	s_ashr_i32 s2, s9, 31
	s_mul_hi_u32 s3, s9, s6
	s_mul_i32 s2, s2, s6
	s_add_i32 s19, s3, s2
	s_mul_i32 s18, s9, s6
	s_mov_b32 s15, s12
	s_or_b64 s[2:3], s[18:19], s[14:15]
	s_mov_b32 s2, 0
	s_cmp_lg_u64 s[2:3], 0
	s_cbranch_scc0 .LBB21_50
; %bb.36:
	s_add_u32 s2, s14, s15
	s_mov_b32 s24, s15
	s_mov_b32 s25, s15
	s_addc_u32 s3, s15, s15
	s_xor_b64 s[26:27], s[2:3], s[24:25]
	v_cvt_f32_u32_e32 v12, s26
	v_cvt_f32_u32_e32 v13, s27
	s_sub_u32 s2, 0, s26
	s_subb_u32 s3, 0, s27
	v_madmk_f32 v12, v13, 0x4f800000, v12
	v_rcp_f32_e32 v12, v12
	v_mul_f32_e32 v12, 0x5f7ffffc, v12
	v_mul_f32_e32 v13, 0x2f800000, v12
	v_trunc_f32_e32 v13, v13
	v_madmk_f32 v12, v13, 0xcf800000, v12
	v_cvt_u32_f32_e32 v13, v13
	v_cvt_u32_f32_e32 v12, v12
	v_readfirstlane_b32 s12, v13
	v_readfirstlane_b32 s15, v12
	s_mul_i32 s28, s2, s12
	s_mul_hi_u32 s30, s2, s15
	s_mul_i32 s29, s3, s15
	s_add_i32 s28, s30, s28
	s_add_i32 s28, s28, s29
	s_mul_i32 s31, s2, s15
	s_mul_hi_u32 s29, s15, s28
	s_mul_i32 s30, s15, s28
	s_mul_hi_u32 s15, s15, s31
	s_add_u32 s15, s15, s30
	s_addc_u32 s29, 0, s29
	s_mul_hi_u32 s33, s12, s31
	s_mul_i32 s31, s12, s31
	s_add_u32 s15, s15, s31
	s_mul_hi_u32 s30, s12, s28
	s_addc_u32 s15, s29, s33
	s_addc_u32 s29, s30, 0
	s_mul_i32 s28, s12, s28
	s_add_u32 s15, s15, s28
	s_addc_u32 s28, 0, s29
	v_add_co_u32_e32 v12, vcc, s15, v12
	s_cmp_lg_u64 vcc, 0
	s_addc_u32 s12, s12, s28
	v_readfirstlane_b32 s28, v12
	s_mul_i32 s15, s2, s12
	s_mul_hi_u32 s29, s2, s28
	s_add_i32 s15, s29, s15
	s_mul_i32 s3, s3, s28
	s_add_i32 s15, s15, s3
	s_mul_i32 s2, s2, s28
	s_mul_hi_u32 s29, s12, s2
	s_mul_i32 s30, s12, s2
	s_mul_i32 s33, s28, s15
	s_mul_hi_u32 s2, s28, s2
	s_mul_hi_u32 s31, s28, s15
	s_add_u32 s2, s2, s33
	s_addc_u32 s28, 0, s31
	s_add_u32 s2, s2, s30
	s_mul_hi_u32 s3, s12, s15
	s_addc_u32 s2, s28, s29
	s_addc_u32 s3, s3, 0
	s_mul_i32 s15, s12, s15
	s_add_u32 s2, s2, s15
	s_addc_u32 s3, 0, s3
	v_add_co_u32_e32 v12, vcc, s2, v12
	s_cmp_lg_u64 vcc, 0
	s_addc_u32 s12, s12, s3
	s_ashr_i32 s28, s19, 31
	s_add_u32 s2, s18, s28
	s_mov_b32 s29, s28
	s_addc_u32 s3, s19, s28
	s_xor_b64 s[30:31], s[2:3], s[28:29]
	v_readfirstlane_b32 s15, v12
	s_mul_i32 s3, s30, s12
	s_mul_hi_u32 s19, s30, s15
	s_mul_hi_u32 s2, s30, s12
	s_add_u32 s3, s19, s3
	s_addc_u32 s2, 0, s2
	s_mul_hi_u32 s33, s31, s15
	s_mul_i32 s15, s31, s15
	s_add_u32 s3, s3, s15
	s_mul_hi_u32 s19, s31, s12
	s_addc_u32 s2, s2, s33
	s_addc_u32 s3, s19, 0
	s_mul_i32 s12, s31, s12
	s_add_u32 s12, s2, s12
	s_addc_u32 s15, 0, s3
	s_mul_i32 s2, s26, s15
	s_mul_hi_u32 s3, s26, s12
	s_add_i32 s2, s3, s2
	s_mul_i32 s3, s27, s12
	s_add_i32 s19, s2, s3
	s_mul_i32 s3, s26, s12
	v_mov_b32_e32 v12, s3
	s_sub_i32 s2, s31, s19
	v_sub_co_u32_e32 v12, vcc, s30, v12
	s_cmp_lg_u64 vcc, 0
	s_subb_u32 s30, s2, s27
	v_subrev_co_u32_e64 v13, s[2:3], s26, v12
	s_cmp_lg_u64 s[2:3], 0
	s_subb_u32 s30, s30, 0
	s_cmp_ge_u32 s30, s27
	s_cselect_b32 s33, -1, 0
	v_cmp_le_u32_e64 s[2:3], s26, v13
	s_cmp_eq_u32 s30, s27
	v_cndmask_b32_e64 v13, 0, -1, s[2:3]
	v_mov_b32_e32 v38, s33
	s_cselect_b64 s[2:3], -1, 0
	v_cndmask_b32_e64 v13, v38, v13, s[2:3]
	s_add_u32 s2, s12, 1
	s_addc_u32 s30, s15, 0
	s_add_u32 s3, s12, 2
	s_addc_u32 s33, s15, 0
	v_mov_b32_e32 v38, s2
	v_mov_b32_e32 v39, s3
	v_cmp_ne_u32_e64 s[2:3], 0, v13
	v_cndmask_b32_e64 v13, v38, v39, s[2:3]
	v_mov_b32_e32 v38, s30
	v_mov_b32_e32 v39, s33
	s_cmp_lg_u64 vcc, 0
	v_cndmask_b32_e64 v38, v38, v39, s[2:3]
	s_subb_u32 s2, s31, s19
	s_cmp_ge_u32 s2, s27
	s_cselect_b32 s3, -1, 0
	v_cmp_le_u32_e32 vcc, s26, v12
	s_cmp_eq_u32 s2, s27
	v_cndmask_b32_e64 v12, 0, -1, vcc
	v_mov_b32_e32 v39, s3
	s_cselect_b64 vcc, -1, 0
	v_cndmask_b32_e32 v12, v39, v12, vcc
	v_mov_b32_e32 v39, s15
	v_cmp_ne_u32_e32 vcc, 0, v12
	v_cndmask_b32_e32 v12, v39, v38, vcc
	v_mov_b32_e32 v38, s12
	v_cndmask_b32_e32 v13, v38, v13, vcc
	s_xor_b64 s[2:3], s[28:29], s[24:25]
	v_xor_b32_e32 v13, s2, v13
	v_xor_b32_e32 v38, s3, v12
	v_mov_b32_e32 v39, s3
	v_subrev_co_u32_e32 v12, vcc, s2, v13
	v_subb_co_u32_e32 v13, vcc, v38, v39, vcc
	s_cbranch_execnz .LBB21_38
.LBB21_37:
	v_cvt_f32_u32_e32 v12, s14
	s_sub_i32 s2, 0, s14
	s_mov_b32 s3, 0
	v_rcp_iflag_f32_e32 v12, v12
	v_mul_f32_e32 v12, 0x4f7ffffe, v12
	v_cvt_u32_f32_e32 v12, v12
	v_readfirstlane_b32 s12, v12
	s_mul_i32 s2, s2, s12
	s_mul_hi_u32 s2, s12, s2
	s_add_i32 s12, s12, s2
	s_mul_hi_u32 s2, s18, s12
	s_mul_i32 s15, s2, s14
	s_sub_i32 s15, s18, s15
	s_add_i32 s12, s2, 1
	s_sub_i32 s18, s15, s14
	s_cmp_ge_u32 s15, s14
	s_cselect_b32 s2, s12, s2
	s_cselect_b32 s15, s18, s15
	s_add_i32 s12, s2, 1
	s_cmp_ge_u32 s15, s14
	s_cselect_b32 s2, s12, s2
	v_pk_mov_b32 v[12:13], s[2:3], s[2:3] op_sel:[0,1]
.LBB21_38:
	v_add_co_u32_e32 v12, vcc, v12, v1
	v_addc_co_u32_e32 v13, vcc, 0, v13, vcc
	s_branch .LBB21_41
.LBB21_39:
                                        ; implicit-def: $vgpr12_vgpr13
	s_cbranch_execz .LBB21_41
; %bb.40:
	v_mul_lo_u32 v1, v1, s8
	v_ashrrev_i32_e32 v13, 31, v1
	v_mov_b32_e32 v38, s7
	v_add_co_u32_e32 v12, vcc, s6, v1
	v_addc_co_u32_e32 v13, vcc, v13, v38, vcc
.LBB21_41:
	s_mov_b64 s[2:3], exec
.LBB21_42:
	s_or_b64 exec, exec, s[10:11]
	s_and_b64 vcc, exec, s[4:5]
	s_cbranch_vccz .LBB21_46
.LBB21_43:
	v_mov_b32_dpp v1, v36 quad_perm:[1,0,3,2] row_mask:0xf bank_mask:0xf
	v_cmp_gt_f32_e32 vcc, v36, v1
	v_cndmask_b32_e32 v1, v1, v36, vcc
	s_nop 1
	v_mov_b32_dpp v12, v1 quad_perm:[2,3,0,1] row_mask:0xf bank_mask:0xf
	v_cmp_gt_f32_e32 vcc, v1, v12
	v_cndmask_b32_e32 v1, v12, v1, vcc
	s_nop 1
	v_mov_b32_dpp v12, v1 row_half_mirror row_mask:0xf bank_mask:0xf
	v_cmp_gt_f32_e32 vcc, v1, v12
	v_cndmask_b32_e32 v1, v12, v1, vcc
	s_nop 1
	v_mov_b32_dpp v12, v1 row_mirror row_mask:0xf bank_mask:0xf
	v_cmp_gt_f32_e32 vcc, v1, v12
	v_cndmask_b32_e32 v1, v12, v1, vcc
	s_nop 1
	v_mov_b32_dpp v12, v1 row_bcast:15 row_mask:0xf bank_mask:0xf
	v_cmp_gt_f32_e32 vcc, v1, v12
	v_cndmask_b32_e32 v1, v12, v1, vcc
	s_nop 1
	v_mov_b32_dpp v12, v1 row_bcast:31 row_mask:0xf bank_mask:0xf
	s_and_saveexec_b64 s[2:3], s[0:1]
	s_cbranch_execz .LBB21_45
; %bb.44:
	v_lshrrev_b32_e32 v13, 4, v0
	v_cmp_gt_f32_e32 vcc, v1, v12
	v_and_b32_e32 v13, 60, v13
	v_cndmask_b32_e32 v1, v12, v1, vcc
	ds_write_b32 v13, v1
.LBB21_45:
	s_or_b64 exec, exec, s[2:3]
	s_waitcnt lgkmcnt(0)
	s_barrier
	ds_read_b32 v1, v51
	v_cmp_eq_u32_e64 s[2:3], 0, v0
	s_waitcnt lgkmcnt(0)
	v_mov_b32_dpp v12, v1 quad_perm:[1,0,3,2] row_mask:0xf bank_mask:0xf
	v_cmp_gt_f32_e32 vcc, v1, v12
	v_cndmask_b32_e32 v1, v12, v1, vcc
	s_nop 1
	v_mov_b32_dpp v12, v1 quad_perm:[2,3,0,1] row_mask:0xf bank_mask:0xf
	v_cmp_gt_f32_e32 vcc, v1, v12
	v_cndmask_b32_e32 v1, v12, v1, vcc
	v_mul_f32_e32 v37, 0x3b124925, v1
	v_pk_mov_b32 v[12:13], s[6:7], s[6:7] op_sel:[0,1]
.LBB21_46:
	s_and_saveexec_b64 s[0:1], s[2:3]
	s_cbranch_execz .LBB21_48
; %bb.47:
	v_lshlrev_b64 v[0:1], 2, v[12:13]
	v_mov_b32_e32 v12, s21
	v_add_co_u32_e32 v0, vcc, s20, v0
	v_addc_co_u32_e32 v1, vcc, v12, v1, vcc
	global_store_dword v[0:1], v37, off
.LBB21_48:
	s_or_b64 exec, exec, s[0:1]
	s_add_i32 s0, s9, 3
	s_ashr_i32 s1, s0, 31
	s_lshr_b32 s1, s1, 30
	;;#ASMSTART
	v_rcp_f32 v0, v37
	;;#ASMEND
	v_mov_b32_e32 v1, v0
	;;#ASMSTART
	v_pk_mul_f32 v[12:13], v[34:35], v[0:1]
	;;#ASMEND
	s_add_i32 s0, s0, s1
	v_mov_b32_e32 v34, 0xc3e00000
	v_mov_b32_e32 v35, 0x43e00000
	;;#ASMSTART
	v_med3_f32 v12, v12, v34, v35
v_med3_f32 v13, v13, v34, v35
v_cvt_pk_fp8_f32 v36, v12, v13
	;;#ASMEND
	s_and_b32 s2, s0, -4
	s_ashr_i32 s0, s13, 31
	;;#ASMSTART
	v_pk_mul_f32 v[12:13], v[32:33], v[0:1]
	;;#ASMEND
	s_mul_hi_u32 s1, s13, s6
	s_mul_i32 s0, s0, s6
	;;#ASMSTART
	v_med3_f32 v12, v12, v34, v35
v_med3_f32 v13, v13, v34, v35
v_cvt_pk_fp8_f32 v32, v12, v13
	;;#ASMEND
	s_mov_b32 s5, 0x5040100
	s_add_i32 s1, s1, s0
	s_mul_i32 s0, s13, s6
	v_perm_b32 v13, v32, v36, s5
	s_movk_i32 s6, 0xff
	v_and_b32_e32 v12, 0xffffff00, v32
	v_and_b32_sdwa v32, v13, s6 dst_sel:DWORD dst_unused:UNUSED_PAD src0_sel:WORD_1 src1_sel:DWORD
	s_mov_b32 s4, 0xffff
	v_or_b32_sdwa v12, v32, v12 dst_sel:WORD_1 dst_unused:UNUSED_PAD src0_sel:DWORD src1_sel:DWORD
	v_and_or_b32 v12, v13, s4, v12
	;;#ASMSTART
	v_pk_mul_f32 v[30:31], v[30:31], v[0:1]
	;;#ASMEND
	v_mov_b32_e32 v13, v31
	;;#ASMSTART
	v_med3_f32 v30, v30, v34, v35
v_med3_f32 v13, v13, v34, v35
v_cvt_pk_fp8_f32 v31, v30, v13
	;;#ASMEND
	;;#ASMSTART
	v_pk_mul_f32 v[26:27], v[26:27], v[0:1]
	;;#ASMEND
	v_mov_b32_e32 v13, v27
	s_add_u32 s0, s16, s0
	;;#ASMSTART
	v_med3_f32 v26, v26, v34, v35
v_med3_f32 v13, v13, v34, v35
v_cvt_pk_fp8_f32 v27, v26, v13
	;;#ASMEND
	s_addc_u32 s1, s17, s1
	v_lshlrev_b32_e32 v13, 16, v27
	s_and_b32 s1, s1, 0xffff
	s_mov_b32 s3, 0x20000
	v_and_or_b32 v13, v31, s4, v13
	buffer_store_dwordx2 v[12:13], v50, s[0:3], 0 offen
	;;#ASMSTART
	s_nop 0
	;;#ASMEND
	;;#ASMSTART
	v_pk_mul_f32 v[12:13], v[28:29], v[0:1]
	;;#ASMEND
	;;#ASMSTART
	v_med3_f32 v12, v12, v34, v35
v_med3_f32 v13, v13, v34, v35
v_cvt_pk_fp8_f32 v26, v12, v13
	;;#ASMEND
	;;#ASMSTART
	v_pk_mul_f32 v[12:13], v[24:25], v[0:1]
	;;#ASMEND
	;;#ASMSTART
	v_med3_f32 v12, v12, v34, v35
v_med3_f32 v13, v13, v34, v35
v_cvt_pk_fp8_f32 v24, v12, v13
	;;#ASMEND
	v_perm_b32 v13, v24, v26, s5
	v_and_b32_e32 v12, 0xffffff00, v24
	v_and_b32_sdwa v24, v13, s6 dst_sel:DWORD dst_unused:UNUSED_PAD src0_sel:WORD_1 src1_sel:DWORD
	v_or_b32_sdwa v12, v24, v12 dst_sel:WORD_1 dst_unused:UNUSED_PAD src0_sel:DWORD src1_sel:DWORD
	v_and_or_b32 v12, v13, s4, v12
	;;#ASMSTART
	v_pk_mul_f32 v[22:23], v[22:23], v[0:1]
	;;#ASMEND
	v_mov_b32_e32 v13, v23
	;;#ASMSTART
	v_med3_f32 v22, v22, v34, v35
v_med3_f32 v13, v13, v34, v35
v_cvt_pk_fp8_f32 v23, v22, v13
	;;#ASMEND
	;;#ASMSTART
	v_pk_mul_f32 v[18:19], v[18:19], v[0:1]
	;;#ASMEND
	v_mov_b32_e32 v13, v19
	;;#ASMSTART
	v_med3_f32 v18, v18, v34, v35
v_med3_f32 v13, v13, v34, v35
v_cvt_pk_fp8_f32 v19, v18, v13
	;;#ASMEND
	v_lshlrev_b32_e32 v13, 16, v19
	v_and_or_b32 v13, v23, s4, v13
	s_movk_i32 s7, 0x200
	buffer_store_dwordx2 v[12:13], v50, s[0:3], s7 offen
	;;#ASMSTART
	s_nop 0
	;;#ASMEND
	;;#ASMSTART
	v_pk_mul_f32 v[12:13], v[20:21], v[0:1]
	;;#ASMEND
	;;#ASMSTART
	v_med3_f32 v12, v12, v34, v35
v_med3_f32 v13, v13, v34, v35
v_cvt_pk_fp8_f32 v18, v12, v13
	;;#ASMEND
	;;#ASMSTART
	v_pk_mul_f32 v[12:13], v[16:17], v[0:1]
	;;#ASMEND
	;;#ASMSTART
	v_med3_f32 v12, v12, v34, v35
v_med3_f32 v13, v13, v34, v35
v_cvt_pk_fp8_f32 v16, v12, v13
	;;#ASMEND
	v_perm_b32 v13, v16, v18, s5
	v_and_b32_e32 v12, 0xffffff00, v16
	v_and_b32_sdwa v16, v13, s6 dst_sel:DWORD dst_unused:UNUSED_PAD src0_sel:WORD_1 src1_sel:DWORD
	v_or_b32_sdwa v12, v16, v12 dst_sel:WORD_1 dst_unused:UNUSED_PAD src0_sel:DWORD src1_sel:DWORD
	v_and_or_b32 v12, v13, s4, v12
	;;#ASMSTART
	v_pk_mul_f32 v[14:15], v[14:15], v[0:1]
	;;#ASMEND
	v_mov_b32_e32 v13, v15
	;;#ASMSTART
	v_med3_f32 v14, v14, v34, v35
v_med3_f32 v13, v13, v34, v35
v_cvt_pk_fp8_f32 v15, v14, v13
	;;#ASMEND
	;;#ASMSTART
	v_pk_mul_f32 v[8:9], v[8:9], v[0:1]
	;;#ASMEND
	;;#ASMSTART
	v_med3_f32 v8, v8, v34, v35
v_med3_f32 v9, v9, v34, v35
v_cvt_pk_fp8_f32 v13, v8, v9
	;;#ASMEND
	v_lshlrev_b32_e32 v8, 16, v13
	v_and_or_b32 v13, v15, s4, v8
	s_movk_i32 s7, 0x400
	buffer_store_dwordx2 v[12:13], v50, s[0:3], s7 offen
	;;#ASMSTART
	s_nop 0
	;;#ASMEND
	;;#ASMSTART
	v_pk_mul_f32 v[8:9], v[10:11], v[0:1]
	;;#ASMEND
	;;#ASMSTART
	v_med3_f32 v8, v8, v34, v35
v_med3_f32 v9, v9, v34, v35
v_cvt_pk_fp8_f32 v10, v8, v9
	;;#ASMEND
	;;#ASMSTART
	v_pk_mul_f32 v[6:7], v[6:7], v[0:1]
	;;#ASMEND
	;;#ASMSTART
	v_med3_f32 v6, v6, v34, v35
v_med3_f32 v7, v7, v34, v35
v_cvt_pk_fp8_f32 v8, v6, v7
	;;#ASMEND
	v_perm_b32 v7, v8, v10, s5
	v_and_b32_e32 v6, 0xffffff00, v8
	v_and_b32_sdwa v8, v7, s6 dst_sel:DWORD dst_unused:UNUSED_PAD src0_sel:WORD_1 src1_sel:DWORD
	v_or_b32_sdwa v6, v8, v6 dst_sel:WORD_1 dst_unused:UNUSED_PAD src0_sel:DWORD src1_sel:DWORD
	;;#ASMSTART
	v_pk_mul_f32 v[4:5], v[4:5], v[0:1]
	;;#ASMEND
	v_and_or_b32 v6, v7, s4, v6
	;;#ASMSTART
	v_med3_f32 v4, v4, v34, v35
v_med3_f32 v5, v5, v34, v35
v_cvt_pk_fp8_f32 v7, v4, v5
	;;#ASMEND
	;;#ASMSTART
	v_pk_mul_f32 v[0:1], v[2:3], v[0:1]
	;;#ASMEND
	;;#ASMSTART
	v_med3_f32 v0, v0, v34, v35
v_med3_f32 v1, v1, v34, v35
v_cvt_pk_fp8_f32 v2, v0, v1
	;;#ASMEND
	v_lshlrev_b32_e32 v0, 16, v2
	v_and_or_b32 v7, v7, s4, v0
	s_movk_i32 s4, 0x600
	buffer_store_dwordx2 v[6:7], v50, s[0:3], s4 offen
	;;#ASMSTART
	s_nop 0
	;;#ASMEND
.LBB21_49:
	s_endpgm
.LBB21_50:
                                        ; implicit-def: $vgpr12_vgpr13
	s_branch .LBB21_37
	.section	.rodata,"a",@progbits
	.p2align	6, 0x0
	.amdhsa_kernel _ZN5aiter24add_rmsnorm_quant_kernelIDF16_DB8_Li256ELi32ELb1ELb1ELb1ELi1EEEvPT0_PT_PfS5_S5_S5_diiiiiiib
		.amdhsa_group_segment_fixed_size 32
		.amdhsa_private_segment_fixed_size 0
		.amdhsa_kernarg_size 88
		.amdhsa_user_sgpr_count 6
		.amdhsa_user_sgpr_private_segment_buffer 1
		.amdhsa_user_sgpr_dispatch_ptr 0
		.amdhsa_user_sgpr_queue_ptr 0
		.amdhsa_user_sgpr_kernarg_segment_ptr 1
		.amdhsa_user_sgpr_dispatch_id 0
		.amdhsa_user_sgpr_flat_scratch_init 0
		.amdhsa_user_sgpr_kernarg_preload_length 0
		.amdhsa_user_sgpr_kernarg_preload_offset 0
		.amdhsa_user_sgpr_private_segment_size 0
		.amdhsa_uses_dynamic_stack 0
		.amdhsa_system_sgpr_private_segment_wavefront_offset 0
		.amdhsa_system_sgpr_workgroup_id_x 1
		.amdhsa_system_sgpr_workgroup_id_y 0
		.amdhsa_system_sgpr_workgroup_id_z 0
		.amdhsa_system_sgpr_workgroup_info 0
		.amdhsa_system_vgpr_workitem_id 0
		.amdhsa_next_free_vgpr 70
		.amdhsa_next_free_sgpr 40
		.amdhsa_accum_offset 72
		.amdhsa_reserve_vcc 1
		.amdhsa_reserve_flat_scratch 0
		.amdhsa_float_round_mode_32 0
		.amdhsa_float_round_mode_16_64 0
		.amdhsa_float_denorm_mode_32 3
		.amdhsa_float_denorm_mode_16_64 3
		.amdhsa_dx10_clamp 1
		.amdhsa_ieee_mode 1
		.amdhsa_fp16_overflow 0
		.amdhsa_tg_split 0
		.amdhsa_exception_fp_ieee_invalid_op 0
		.amdhsa_exception_fp_denorm_src 0
		.amdhsa_exception_fp_ieee_div_zero 0
		.amdhsa_exception_fp_ieee_overflow 0
		.amdhsa_exception_fp_ieee_underflow 0
		.amdhsa_exception_fp_ieee_inexact 0
		.amdhsa_exception_int_div_zero 0
	.end_amdhsa_kernel
	.section	.text._ZN5aiter24add_rmsnorm_quant_kernelIDF16_DB8_Li256ELi32ELb1ELb1ELb1ELi1EEEvPT0_PT_PfS5_S5_S5_diiiiiiib,"axG",@progbits,_ZN5aiter24add_rmsnorm_quant_kernelIDF16_DB8_Li256ELi32ELb1ELb1ELb1ELi1EEEvPT0_PT_PfS5_S5_S5_diiiiiiib,comdat
.Lfunc_end21:
	.size	_ZN5aiter24add_rmsnorm_quant_kernelIDF16_DB8_Li256ELi32ELb1ELb1ELb1ELi1EEEvPT0_PT_PfS5_S5_S5_diiiiiiib, .Lfunc_end21-_ZN5aiter24add_rmsnorm_quant_kernelIDF16_DB8_Li256ELi32ELb1ELb1ELb1ELi1EEEvPT0_PT_PfS5_S5_S5_diiiiiiib
                                        ; -- End function
	.section	.AMDGPU.csdata,"",@progbits
; Kernel info:
; codeLenInByte = 5572
; NumSgprs: 44
; NumVgprs: 70
; NumAgprs: 0
; TotalNumVgprs: 70
; ScratchSize: 0
; MemoryBound: 0
; FloatMode: 240
; IeeeMode: 1
; LDSByteSize: 32 bytes/workgroup (compile time only)
; SGPRBlocks: 5
; VGPRBlocks: 8
; NumSGPRsForWavesPerEU: 44
; NumVGPRsForWavesPerEU: 70
; AccumOffset: 72
; Occupancy: 7
; WaveLimiterHint : 0
; COMPUTE_PGM_RSRC2:SCRATCH_EN: 0
; COMPUTE_PGM_RSRC2:USER_SGPR: 6
; COMPUTE_PGM_RSRC2:TRAP_HANDLER: 0
; COMPUTE_PGM_RSRC2:TGID_X_EN: 1
; COMPUTE_PGM_RSRC2:TGID_Y_EN: 0
; COMPUTE_PGM_RSRC2:TGID_Z_EN: 0
; COMPUTE_PGM_RSRC2:TIDIG_COMP_CNT: 0
; COMPUTE_PGM_RSRC3_GFX90A:ACCUM_OFFSET: 17
; COMPUTE_PGM_RSRC3_GFX90A:TG_SPLIT: 0
	.section	.text._ZN5aiter24add_rmsnorm_quant_kernelItDB8_Li256ELi32ELb1ELb1ELb1ELi1EEEvPT0_PT_PfS5_S5_S5_diiiiiiib,"axG",@progbits,_ZN5aiter24add_rmsnorm_quant_kernelItDB8_Li256ELi32ELb1ELb1ELb1ELi1EEEvPT0_PT_PfS5_S5_S5_diiiiiiib,comdat
	.protected	_ZN5aiter24add_rmsnorm_quant_kernelItDB8_Li256ELi32ELb1ELb1ELb1ELi1EEEvPT0_PT_PfS5_S5_S5_diiiiiiib ; -- Begin function _ZN5aiter24add_rmsnorm_quant_kernelItDB8_Li256ELi32ELb1ELb1ELb1ELi1EEEvPT0_PT_PfS5_S5_S5_diiiiiiib
	.globl	_ZN5aiter24add_rmsnorm_quant_kernelItDB8_Li256ELi32ELb1ELb1ELb1ELi1EEEvPT0_PT_PfS5_S5_S5_diiiiiiib
	.p2align	8
	.type	_ZN5aiter24add_rmsnorm_quant_kernelItDB8_Li256ELi32ELb1ELb1ELb1ELi1EEEvPT0_PT_PfS5_S5_S5_diiiiiiib,@function
_ZN5aiter24add_rmsnorm_quant_kernelItDB8_Li256ELi32ELb1ELb1ELb1ELi1EEEvPT0_PT_PfS5_S5_S5_diiiiiiib: ; @_ZN5aiter24add_rmsnorm_quant_kernelItDB8_Li256ELi32ELb1ELb1ELb1ELi1EEEvPT0_PT_PfS5_S5_S5_diiiiiiib
; %bb.0:
	s_load_dwordx8 s[8:15], s[4:5], 0x38
	s_mov_b32 s7, 0
	s_waitcnt lgkmcnt(0)
	s_ashr_i32 s0, s8, 31
	v_mov_b32_e32 v2, s8
	v_mov_b32_e32 v3, s0
	v_cmp_ge_i64_e32 vcc, s[6:7], v[2:3]
	s_cbranch_vccnz .LBB22_49
; %bb.1:
	s_load_dwordx8 s[16:23], s[4:5], 0x0
	s_load_dwordx8 s[24:31], s[4:5], 0x20
	s_ashr_i32 s0, s10, 31
	s_mul_hi_u32 s1, s10, s6
	s_mul_i32 s0, s0, s6
	s_add_i32 s1, s1, s0
	s_mul_i32 s0, s10, s6
	s_lshl_b64 s[0:1], s[0:1], 1
	s_waitcnt lgkmcnt(0)
	s_add_u32 s0, s22, s0
	s_addc_u32 s1, s23, s1
	s_add_i32 s2, s9, 1
	s_lshr_b32 s3, s2, 31
	v_lshlrev_b32_e32 v1, 5, v0
	s_add_i32 s2, s2, s3
	v_lshlrev_b32_e32 v2, 3, v0
	v_and_b32_e32 v3, 0x7800, v1
	s_movk_i32 s4, 0x1f8
	s_lshl_b32 s2, s2, 1
	v_and_or_b32 v50, v2, s4, v3
	s_and_b32 s2, s2, -4
	s_and_b32 s1, s1, 0xffff
	s_mov_b32 s3, 0x20000
	v_lshlrev_b32_e32 v51, 1, v50
	s_movk_i32 s10, 0x400
	s_movk_i32 s5, 0x800
	buffer_load_dwordx4 v[2:5], v51, s[0:3], s10 offen glc slc
	buffer_load_dwordx4 v[10:13], v51, s[0:3], 0 offen glc slc
	s_movk_i32 s4, 0xc00
	buffer_load_dwordx4 v[6:9], v51, s[0:3], s5 offen glc slc
	buffer_load_dwordx4 v[18:21], v51, s[0:3], s4 offen glc slc
	s_ashr_i32 s0, s11, 31
	s_mul_hi_u32 s1, s11, s6
	s_mul_i32 s0, s0, s6
	s_add_i32 s1, s1, s0
	s_mul_i32 s0, s11, s6
	s_and_b32 s37, s27, 0xffff
	s_lshl_b64 s[0:1], s[0:1], 1
	s_add_u32 s0, s24, s0
	s_addc_u32 s1, s25, s1
	s_and_b32 s1, s1, 0xffff
	buffer_load_dwordx4 v[26:29], v51, s[0:3], s10 offen glc slc
	buffer_load_dwordx4 v[30:33], v51, s[0:3], s5 offen glc slc
	;; [unrolled: 1-line block ×4, first 2 shown]
	s_mov_b32 s39, s3
	s_mov_b32 s36, s26
	;; [unrolled: 1-line block ×3, first 2 shown]
	s_ashr_i32 s0, s12, 31
	s_mul_hi_u32 s1, s12, s6
	s_mul_i32 s0, s0, s6
	s_add_i32 s1, s1, s0
	s_mul_i32 s0, s12, s6
	s_lshl_b64 s[0:1], s[0:1], 1
	s_add_u32 s0, s18, s0
	s_addc_u32 s1, s19, s1
	s_mov_b32 s11, 0x7060302
	s_and_b32 s1, s1, 0xffff
	s_waitcnt vmcnt(7)
	v_cvt_f32_u32_sdwa v35, v2 dst_sel:DWORD dst_unused:UNUSED_PAD src0_sel:WORD_1
	v_cvt_f32_u32_sdwa v34, v2 dst_sel:DWORD dst_unused:UNUSED_PAD src0_sel:WORD_0
	v_cvt_f32_u32_sdwa v37, v3 dst_sel:DWORD dst_unused:UNUSED_PAD src0_sel:WORD_1
	v_cvt_f32_u32_sdwa v36, v3 dst_sel:DWORD dst_unused:UNUSED_PAD src0_sel:WORD_0
	v_cvt_f32_u32_sdwa v39, v4 dst_sel:DWORD dst_unused:UNUSED_PAD src0_sel:WORD_1
	v_cvt_f32_u32_sdwa v38, v4 dst_sel:DWORD dst_unused:UNUSED_PAD src0_sel:WORD_0
	v_cvt_f32_u32_sdwa v41, v5 dst_sel:DWORD dst_unused:UNUSED_PAD src0_sel:WORD_1
	v_cvt_f32_u32_sdwa v40, v5 dst_sel:DWORD dst_unused:UNUSED_PAD src0_sel:WORD_0
	s_waitcnt vmcnt(5)
	v_cvt_f32_u32_sdwa v43, v6 dst_sel:DWORD dst_unused:UNUSED_PAD src0_sel:WORD_1
	v_cvt_f32_u32_sdwa v42, v6 dst_sel:DWORD dst_unused:UNUSED_PAD src0_sel:WORD_0
	v_cvt_f32_u32_sdwa v45, v7 dst_sel:DWORD dst_unused:UNUSED_PAD src0_sel:WORD_1
	v_cvt_f32_u32_sdwa v44, v7 dst_sel:DWORD dst_unused:UNUSED_PAD src0_sel:WORD_0
	v_cvt_f32_u32_sdwa v47, v8 dst_sel:DWORD dst_unused:UNUSED_PAD src0_sel:WORD_1
	v_cvt_f32_u32_sdwa v46, v8 dst_sel:DWORD dst_unused:UNUSED_PAD src0_sel:WORD_0
	v_cvt_f32_u32_sdwa v49, v9 dst_sel:DWORD dst_unused:UNUSED_PAD src0_sel:WORD_1
	v_cvt_f32_u32_sdwa v48, v9 dst_sel:DWORD dst_unused:UNUSED_PAD src0_sel:WORD_0
	;; [unrolled: 9-line block ×4, first 2 shown]
	v_pk_add_f32 v[26:27], v[34:35], v[52:53]
	v_cvt_f32_u32_sdwa v53, v18 dst_sel:DWORD dst_unused:UNUSED_PAD src0_sel:WORD_1
	v_cvt_f32_u32_sdwa v52, v18 dst_sel:DWORD dst_unused:UNUSED_PAD src0_sel:WORD_0
	v_pk_add_f32 v[28:29], v[36:37], v[54:55]
	v_cvt_f32_u32_sdwa v55, v19 dst_sel:DWORD dst_unused:UNUSED_PAD src0_sel:WORD_1
	v_cvt_f32_u32_sdwa v54, v19 dst_sel:DWORD dst_unused:UNUSED_PAD src0_sel:WORD_0
	;; [unrolled: 3-line block ×3, first 2 shown]
	v_pk_add_f32 v[30:31], v[40:41], v[58:59]
	s_waitcnt vmcnt(1)
	v_cvt_f32_u32_sdwa v41, v22 dst_sel:DWORD dst_unused:UNUSED_PAD src0_sel:WORD_1
	v_cvt_f32_u32_sdwa v40, v22 dst_sel:DWORD dst_unused:UNUSED_PAD src0_sel:WORD_0
	v_pk_add_f32 v[32:33], v[42:43], v[60:61]
	v_cvt_f32_u32_sdwa v43, v23 dst_sel:DWORD dst_unused:UNUSED_PAD src0_sel:WORD_1
	v_cvt_f32_u32_sdwa v42, v23 dst_sel:DWORD dst_unused:UNUSED_PAD src0_sel:WORD_0
	v_pk_add_f32 v[36:37], v[44:45], v[62:63]
	v_pk_add_f32 v[34:35], v[46:47], v[64:65]
	v_pk_add_f32 v[22:23], v[48:49], v[66:67]
	v_cvt_f32_u32_sdwa v45, v24 dst_sel:DWORD dst_unused:UNUSED_PAD src0_sel:WORD_1
	v_cvt_f32_u32_sdwa v44, v24 dst_sel:DWORD dst_unused:UNUSED_PAD src0_sel:WORD_0
	v_cvt_f32_u32_sdwa v47, v21 dst_sel:DWORD dst_unused:UNUSED_PAD src0_sel:WORD_1
	v_cvt_f32_u32_sdwa v46, v21 dst_sel:DWORD dst_unused:UNUSED_PAD src0_sel:WORD_0
	;; [unrolled: 2-line block ×3, first 2 shown]
	buffer_load_dwordx4 v[6:9], v51, s[36:39], 0 offen
	buffer_load_dwordx4 v[2:5], v51, s[36:39], s10 offen
	v_pk_add_f32 v[40:41], v[52:53], v[40:41]
	v_pk_add_f32 v[24:25], v[54:55], v[42:43]
	;; [unrolled: 1-line block ×4, first 2 shown]
	v_cvt_f32_u32_sdwa v43, v10 dst_sel:DWORD dst_unused:UNUSED_PAD src0_sel:WORD_1
	v_cvt_f32_u32_sdwa v42, v10 dst_sel:DWORD dst_unused:UNUSED_PAD src0_sel:WORD_0
	s_waitcnt vmcnt(2)
	v_cvt_f32_u32_sdwa v45, v14 dst_sel:DWORD dst_unused:UNUSED_PAD src0_sel:WORD_1
	v_cvt_f32_u32_sdwa v44, v14 dst_sel:DWORD dst_unused:UNUSED_PAD src0_sel:WORD_0
	v_cvt_f32_u32_sdwa v47, v11 dst_sel:DWORD dst_unused:UNUSED_PAD src0_sel:WORD_1
	v_cvt_f32_u32_sdwa v46, v11 dst_sel:DWORD dst_unused:UNUSED_PAD src0_sel:WORD_0
	;; [unrolled: 2-line block ×7, first 2 shown]
	buffer_load_dwordx4 v[14:17], v51, s[36:39], s5 offen
	buffer_load_dwordx4 v[10:13], v51, s[36:39], s4 offen
	v_pk_add_f32 v[48:49], v[42:43], v[44:45]
	v_pk_add_f32 v[44:45], v[46:47], v[52:53]
	;; [unrolled: 1-line block ×4, first 2 shown]
	v_perm_b32 v55, v47, v46, s11
	v_perm_b32 v54, v43, v42, s11
	;; [unrolled: 1-line block ×4, first 2 shown]
	buffer_store_dwordx4 v[52:55], v51, s[0:3], 0 offen glc slc
	;;#ASMSTART
	s_nop 0
	;;#ASMEND
	v_pk_mul_f32 v[56:57], v[42:43], v[42:43]
	v_perm_b32 v55, v31, v30, s11
	v_perm_b32 v54, v19, v18, s11
	;; [unrolled: 1-line block ×4, first 2 shown]
	buffer_store_dwordx4 v[52:55], v51, s[0:3], s10 offen glc slc
	v_perm_b32 v55, v23, v22, s11
	v_perm_b32 v54, v35, v34, s11
	;; [unrolled: 1-line block ×4, first 2 shown]
	;;#ASMSTART
	s_nop 0
	;;#ASMEND
	buffer_store_dwordx4 v[52:55], v51, s[0:3], s5 offen glc slc
	v_perm_b32 v55, v39, v38, s11
	v_perm_b32 v54, v21, v20, s11
	;; [unrolled: 1-line block ×4, first 2 shown]
	;;#ASMSTART
	s_nop 0
	;;#ASMEND
	buffer_store_dwordx4 v[52:55], v51, s[0:3], s4 offen glc slc
	v_pk_mul_f32 v[52:53], v[48:49], v[48:49]
	v_pk_mul_f32 v[54:55], v[44:45], v[44:45]
	v_add_f32_e32 v51, v52, v53
	v_add_f32_e32 v51, v54, v51
	;; [unrolled: 1-line block ×4, first 2 shown]
	v_pk_mul_f32 v[58:59], v[46:47], v[46:47]
	v_add_f32_e32 v51, v57, v51
	v_add_f32_e32 v51, v58, v51
	v_pk_mul_f32 v[52:53], v[26:27], v[26:27]
	v_add_f32_e32 v51, v59, v51
	v_add_f32_e32 v51, v52, v51
	;; [unrolled: 3-line block ×13, first 2 shown]
	v_add_f32_e32 v51, v59, v51
	v_and_b32_e32 v53, 63, v0
	v_cmp_eq_u32_e64 s[0:1], 63, v53
	v_mov_b32_dpp v52, v51 quad_perm:[1,0,3,2] row_mask:0xf bank_mask:0xf
	v_add_f32_e32 v51, v51, v52
	;;#ASMSTART
	s_nop 0
	;;#ASMEND
	s_nop 1
	v_mov_b32_dpp v52, v51 quad_perm:[2,3,0,1] row_mask:0xf bank_mask:0xf
	v_add_f32_e32 v51, v51, v52
	s_nop 1
	v_mov_b32_dpp v52, v51 row_half_mirror row_mask:0xf bank_mask:0xf
	v_add_f32_e32 v51, v51, v52
	s_nop 1
	v_mov_b32_dpp v52, v51 row_mirror row_mask:0xf bank_mask:0xf
	v_add_f32_e32 v51, v51, v52
	s_nop 1
	v_mov_b32_dpp v52, v51 row_bcast:15 row_mask:0xf bank_mask:0xf
	v_add_f32_e32 v51, v51, v52
	s_nop 1
	v_mov_b32_dpp v52, v51 row_bcast:31 row_mask:0xf bank_mask:0xf
	s_and_saveexec_b64 s[2:3], s[0:1]
	s_cbranch_execz .LBB22_3
; %bb.2:
	v_lshrrev_b32_e32 v53, 4, v0
	v_and_b32_e32 v53, 60, v53
	v_add_f32_e32 v51, v51, v52
	ds_write_b32 v53, v51 offset:16
.LBB22_3:
	s_or_b64 exec, exec, s[2:3]
	v_and_b32_e32 v51, 3, v0
	v_lshlrev_b32_e32 v51, 2, v51
	s_waitcnt lgkmcnt(0)
	s_barrier
	ds_read_b32 v52, v51 offset:16
	v_cvt_f32_i32_e32 v53, s9
	s_cmp_lg_u32 s14, 0
	s_waitcnt lgkmcnt(0)
	v_mov_b32_dpp v54, v52 quad_perm:[1,0,3,2] row_mask:0xf bank_mask:0xf
	v_add_f32_e32 v52, v52, v54
	s_nop 1
	v_mov_b32_dpp v54, v52 quad_perm:[2,3,0,1] row_mask:0xf bank_mask:0xf
	v_add_f32_e32 v52, v52, v54
	v_div_scale_f32 v54, s[2:3], v53, v53, v52
	v_rcp_f32_e32 v55, v54
	v_div_scale_f32 v56, vcc, v52, v53, v52
	s_mov_b32 s2, 0x800000
	v_fma_f32 v57, -v54, v55, 1.0
	v_fmac_f32_e32 v55, v57, v55
	v_mul_f32_e32 v57, v56, v55
	v_fma_f32 v58, -v54, v57, v56
	v_fmac_f32_e32 v57, v58, v55
	v_fma_f32 v54, -v54, v57, v56
	v_div_fmas_f32 v54, v54, v55, v57
	v_div_fixup_f32 v52, v54, v53, v52
	v_cvt_f64_f32_e32 v[52:53], v52
	v_add_f64 v[52:53], v[52:53], s[28:29]
	v_cvt_f32_f64_e32 v52, v[52:53]
	v_mul_f32_e32 v53, 0x4b800000, v52
	v_cmp_gt_f32_e32 vcc, s2, v52
	v_cndmask_b32_e32 v52, v52, v53, vcc
	v_rsq_f32_e32 v52, v52
	v_mul_f32_e32 v53, 0x45800000, v52
	v_cndmask_b32_e32 v52, v52, v53, vcc
	v_mov_b32_e32 v53, v52
	;;#ASMSTART
	v_pk_mul_f32 v[48:49], v[48:49], v[52:53]
	;;#ASMEND
	;;#ASMSTART
	v_pk_mul_f32 v[44:45], v[44:45], v[52:53]
	;;#ASMEND
	;;#ASMSTART
	v_pk_mul_f32 v[42:43], v[42:43], v[52:53]
	;;#ASMEND
	;;#ASMSTART
	v_pk_mul_f32 v[46:47], v[46:47], v[52:53]
	;;#ASMEND
	;;#ASMSTART
	v_pk_mul_f32 v[54:55], v[26:27], v[52:53]
	;;#ASMEND
	;;#ASMSTART
	v_pk_mul_f32 v[56:57], v[28:29], v[52:53]
	;;#ASMEND
	;;#ASMSTART
	v_pk_mul_f32 v[18:19], v[18:19], v[52:53]
	;;#ASMEND
	;;#ASMSTART
	v_pk_mul_f32 v[58:59], v[30:31], v[52:53]
	;;#ASMEND
	;;#ASMSTART
	v_pk_mul_f32 v[60:61], v[32:33], v[52:53]
	;;#ASMEND
	;;#ASMSTART
	v_pk_mul_f32 v[36:37], v[36:37], v[52:53]
	;;#ASMEND
	;;#ASMSTART
	v_pk_mul_f32 v[62:63], v[34:35], v[52:53]
	;;#ASMEND
	;;#ASMSTART
	v_pk_mul_f32 v[64:65], v[22:23], v[52:53]
	;;#ASMEND
	;;#ASMSTART
	v_pk_mul_f32 v[40:41], v[40:41], v[52:53]
	;;#ASMEND
	;;#ASMSTART
	v_pk_mul_f32 v[66:67], v[24:25], v[52:53]
	;;#ASMEND
	;;#ASMSTART
	v_pk_mul_f32 v[68:69], v[20:21], v[52:53]
	;;#ASMEND
	s_waitcnt vmcnt(7)
	v_cvt_f32_u32_sdwa v21, v6 dst_sel:DWORD dst_unused:UNUSED_PAD src0_sel:WORD_1
	v_cvt_f32_u32_sdwa v20, v6 dst_sel:DWORD dst_unused:UNUSED_PAD src0_sel:WORD_0
	v_cvt_f32_u32_sdwa v23, v7 dst_sel:DWORD dst_unused:UNUSED_PAD src0_sel:WORD_1
	v_cvt_f32_u32_sdwa v22, v7 dst_sel:DWORD dst_unused:UNUSED_PAD src0_sel:WORD_0
	;; [unrolled: 2-line block ×3, first 2 shown]
	;;#ASMSTART
	v_pk_mul_f32 v[38:39], v[38:39], v[52:53]
	;;#ASMEND
	v_cvt_f32_u32_sdwa v25, v9 dst_sel:DWORD dst_unused:UNUSED_PAD src0_sel:WORD_1
	v_cvt_f32_u32_sdwa v24, v9 dst_sel:DWORD dst_unused:UNUSED_PAD src0_sel:WORD_0
	;;#ASMSTART
	v_pk_mul_f32 v[34:35], v[48:49], v[20:21]
	;;#ASMEND
	;;#ASMSTART
	v_pk_mul_f32 v[32:33], v[44:45], v[22:23]
	;;#ASMEND
	;; [unrolled: 3-line block ×3, first 2 shown]
	s_waitcnt vmcnt(6)
	v_cvt_f32_u32_sdwa v7, v2 dst_sel:DWORD dst_unused:UNUSED_PAD src0_sel:WORD_1
	v_cvt_f32_u32_sdwa v6, v2 dst_sel:DWORD dst_unused:UNUSED_PAD src0_sel:WORD_0
	v_cvt_f32_u32_sdwa v9, v3 dst_sel:DWORD dst_unused:UNUSED_PAD src0_sel:WORD_1
	v_cvt_f32_u32_sdwa v8, v3 dst_sel:DWORD dst_unused:UNUSED_PAD src0_sel:WORD_0
	;; [unrolled: 2-line block ×4, first 2 shown]
	s_waitcnt vmcnt(5)
	v_cvt_f32_u32_sdwa v5, v15 dst_sel:DWORD dst_unused:UNUSED_PAD src0_sel:WORD_1
	v_cvt_f32_u32_sdwa v4, v15 dst_sel:DWORD dst_unused:UNUSED_PAD src0_sel:WORD_0
	;;#ASMSTART
	v_pk_mul_f32 v[26:27], v[46:47], v[24:25]
	;;#ASMEND
	;;#ASMSTART
	v_pk_mul_f32 v[28:29], v[54:55], v[6:7]
	;;#ASMEND
	;; [unrolled: 3-line block ×5, first 2 shown]
	v_cvt_f32_u32_sdwa v3, v14 dst_sel:DWORD dst_unused:UNUSED_PAD src0_sel:WORD_1
	v_cvt_f32_u32_sdwa v2, v14 dst_sel:DWORD dst_unused:UNUSED_PAD src0_sel:WORD_0
	v_cvt_f32_u32_sdwa v7, v16 dst_sel:DWORD dst_unused:UNUSED_PAD src0_sel:WORD_1
	v_cvt_f32_u32_sdwa v6, v16 dst_sel:DWORD dst_unused:UNUSED_PAD src0_sel:WORD_0
	;; [unrolled: 2-line block ×3, first 2 shown]
	;;#ASMSTART
	v_pk_mul_f32 v[20:21], v[60:61], v[2:3]
	;;#ASMEND
	;;#ASMSTART
	v_pk_mul_f32 v[16:17], v[36:37], v[4:5]
	;;#ASMEND
	s_waitcnt vmcnt(4)
	v_cvt_f32_u32_sdwa v5, v11 dst_sel:DWORD dst_unused:UNUSED_PAD src0_sel:WORD_1
	v_cvt_f32_u32_sdwa v4, v11 dst_sel:DWORD dst_unused:UNUSED_PAD src0_sel:WORD_0
	v_cvt_f32_u32_sdwa v36, v12 dst_sel:DWORD dst_unused:UNUSED_PAD src0_sel:WORD_0
	;;#ASMSTART
	v_pk_mul_f32 v[14:15], v[62:63], v[6:7]
	;;#ASMEND
	;;#ASMSTART
	v_pk_mul_f32 v[8:9], v[64:65], v[8:9]
	;;#ASMEND
	v_cvt_f32_u32_sdwa v3, v10 dst_sel:DWORD dst_unused:UNUSED_PAD src0_sel:WORD_1
	v_cvt_f32_u32_sdwa v2, v10 dst_sel:DWORD dst_unused:UNUSED_PAD src0_sel:WORD_0
	v_cvt_f32_u32_sdwa v37, v12 dst_sel:DWORD dst_unused:UNUSED_PAD src0_sel:WORD_1
	;;#ASMSTART
	v_pk_mul_f32 v[10:11], v[40:41], v[2:3]
	;;#ASMEND
	;;#ASMSTART
	v_pk_mul_f32 v[6:7], v[66:67], v[4:5]
	;;#ASMEND
	;; [unrolled: 3-line block ×3, first 2 shown]
	v_and_b32_e32 v12, 0x7fffffff, v34
	v_mov_b32_e32 v36, 0x2edbe6ff
	v_cvt_f32_u32_sdwa v43, v13 dst_sel:DWORD dst_unused:UNUSED_PAD src0_sel:WORD_1
	v_cvt_f32_u32_sdwa v42, v13 dst_sel:DWORD dst_unused:UNUSED_PAD src0_sel:WORD_0
	;;#ASMSTART
	v_pk_mul_f32 v[2:3], v[38:39], v[42:43]
	;;#ASMEND
	v_and_b32_e32 v13, 0x7fffffff, v35
	;;#ASMSTART
	v_max3_f32 v12, v36, v12, v13

	;;#ASMEND
	v_and_b32_e32 v36, 0x7fffffff, v33
	v_and_b32_e32 v13, 0x7fffffff, v32
	;;#ASMSTART
	v_max3_f32 v12, v12, v13, v36

	;;#ASMEND
	v_and_b32_e32 v36, 0x7fffffff, v31
	;; [unrolled: 6-line block ×15, first 2 shown]
	v_and_b32_e32 v13, 0x7fffffff, v2
	;;#ASMSTART
	v_max3_f32 v36, v12, v13, v36

	;;#ASMEND
	s_cbranch_scc0 .LBB22_10
; %bb.4:
	s_ashr_i32 s12, s14, 31
	s_lshr_b32 s2, s12, 27
	s_add_i32 s2, s14, s2
	s_ashr_i32 s10, s2, 5
	s_cmp_lt_i32 s10, 16
	s_cbranch_scc1 .LBB22_11
; %bb.5:
	s_cmp_lt_i32 s10, 32
	s_cbranch_scc1 .LBB22_12
; %bb.6:
	;; [unrolled: 3-line block ×3, first 2 shown]
	s_cmp_eq_u32 s10, 64
	v_mov_b32_e32 v12, v36
	s_cbranch_scc0 .LBB22_9
; %bb.8:
	s_nop 0
	v_mov_b32_dpp v12, v36 quad_perm:[1,0,3,2] row_mask:0xf bank_mask:0xf
	v_cmp_gt_f32_e32 vcc, v36, v12
	v_cndmask_b32_e32 v12, v12, v36, vcc
	v_bfrev_b32_e32 v37, 0.5
	s_nop 0
	v_mov_b32_dpp v13, v12 quad_perm:[2,3,0,1] row_mask:0xf bank_mask:0xf
	v_cmp_gt_f32_e32 vcc, v12, v13
	v_cndmask_b32_e32 v12, v13, v12, vcc
	s_nop 1
	v_mov_b32_dpp v13, v12 row_ror:4 row_mask:0xf bank_mask:0xf
	v_cmp_gt_f32_e32 vcc, v12, v13
	v_cndmask_b32_e32 v12, v13, v12, vcc
	s_nop 1
	v_mov_b32_dpp v13, v12 row_ror:8 row_mask:0xf bank_mask:0xf
	v_cmp_gt_f32_e32 vcc, v12, v13
	v_cndmask_b32_e32 v12, v13, v12, vcc
	s_nop 1
	v_mov_b32_dpp v13, v12 row_bcast:15 row_mask:0xf bank_mask:0xf
	v_cmp_gt_f32_e32 vcc, v12, v13
	v_cndmask_b32_e32 v12, v13, v12, vcc
	s_nop 1
	v_mov_b32_dpp v13, v12 row_bcast:31 row_mask:0xf bank_mask:0xf
	v_cmp_gt_f32_e32 vcc, v12, v13
	v_cndmask_b32_e32 v12, v13, v12, vcc
	v_mbcnt_lo_u32_b32 v13, -1, 0
	v_mbcnt_hi_u32_b32 v13, -1, v13
	v_lshl_or_b32 v13, v13, 2, v37
	ds_bpermute_b32 v12, v13, v12
.LBB22_9:
	s_mov_b64 s[2:3], 0
	s_branch .LBB22_14
.LBB22_10:
	s_mov_b64 s[2:3], 0
                                        ; implicit-def: $vgpr37
                                        ; implicit-def: $vgpr12_vgpr13
	s_cbranch_execnz .LBB22_43
	s_branch .LBB22_46
.LBB22_11:
                                        ; implicit-def: $vgpr12
	s_branch .LBB22_21
.LBB22_12:
                                        ; implicit-def: $vgpr12
	s_branch .LBB22_18
.LBB22_13:
	s_mov_b64 s[2:3], -1
                                        ; implicit-def: $vgpr12
.LBB22_14:
	s_andn2_b64 vcc, exec, s[2:3]
	s_cbranch_vccnz .LBB22_17
; %bb.15:
	s_cmp_eq_u32 s10, 32
	s_waitcnt lgkmcnt(0)
	v_mov_b32_e32 v12, v36
	s_cbranch_scc0 .LBB22_17
; %bb.16:
	s_nop 0
	v_mov_b32_dpp v12, v36 quad_perm:[1,0,3,2] row_mask:0xf bank_mask:0xf
	v_cmp_gt_f32_e32 vcc, v36, v12
	v_cndmask_b32_e32 v12, v12, v36, vcc
	v_mov_b32_e32 v37, 0x7c
	s_nop 0
	v_mov_b32_dpp v13, v12 quad_perm:[2,3,0,1] row_mask:0xf bank_mask:0xf
	v_cmp_gt_f32_e32 vcc, v12, v13
	v_cndmask_b32_e32 v12, v13, v12, vcc
	s_nop 1
	v_mov_b32_dpp v13, v12 row_half_mirror row_mask:0xf bank_mask:0xf
	v_cmp_gt_f32_e32 vcc, v12, v13
	v_cndmask_b32_e32 v12, v13, v12, vcc
	s_nop 1
	v_mov_b32_dpp v13, v12 row_mirror row_mask:0xf bank_mask:0xf
	v_cmp_gt_f32_e32 vcc, v12, v13
	v_cndmask_b32_e32 v12, v13, v12, vcc
	s_nop 1
	v_mov_b32_dpp v13, v12 row_bcast:15 row_mask:0xa bank_mask:0xf
	v_cmp_gt_f32_e32 vcc, v12, v13
	v_cndmask_b32_e32 v12, v13, v12, vcc
	v_mbcnt_lo_u32_b32 v13, -1, 0
	v_mbcnt_hi_u32_b32 v13, -1, v13
	v_lshl_or_b32 v13, v13, 2, v37
	ds_bpermute_b32 v12, v13, v12
.LBB22_17:
	s_cbranch_execnz .LBB22_20
.LBB22_18:
	s_cmp_eq_u32 s10, 16
	s_waitcnt lgkmcnt(0)
	v_mov_b32_e32 v12, v36
	s_cbranch_scc0 .LBB22_20
; %bb.19:
	s_nop 0
	v_mov_b32_dpp v12, v36 quad_perm:[1,0,3,2] row_mask:0xf bank_mask:0xf
	v_cmp_gt_f32_e32 vcc, v36, v12
	v_cndmask_b32_e32 v12, v12, v36, vcc
	s_nop 1
	v_mov_b32_dpp v13, v12 quad_perm:[2,3,0,1] row_mask:0xf bank_mask:0xf
	v_cmp_gt_f32_e32 vcc, v12, v13
	v_cndmask_b32_e32 v12, v13, v12, vcc
	s_nop 1
	v_mov_b32_dpp v13, v12 row_half_mirror row_mask:0xf bank_mask:0xf
	v_cmp_gt_f32_e32 vcc, v12, v13
	v_cndmask_b32_e32 v12, v13, v12, vcc
	s_nop 1
	v_mov_b32_dpp v13, v12 row_mirror row_mask:0xf bank_mask:0xf
	v_cmp_gt_f32_e32 vcc, v12, v13
	v_cndmask_b32_e32 v12, v13, v12, vcc
.LBB22_20:
	s_cbranch_execnz .LBB22_33
.LBB22_21:
	s_cmp_lt_i32 s10, 4
	s_cbranch_scc1 .LBB22_25
; %bb.22:
	s_cmp_lt_i32 s10, 8
	s_cbranch_scc1 .LBB22_26
; %bb.23:
	s_cmp_eq_u32 s10, 8
	s_waitcnt lgkmcnt(0)
	v_mov_b32_e32 v12, v36
	s_cbranch_scc0 .LBB22_27
; %bb.24:
	s_nop 0
	v_mov_b32_dpp v12, v36 quad_perm:[1,0,3,2] row_mask:0xf bank_mask:0xf
	v_cmp_gt_f32_e32 vcc, v36, v12
	v_cndmask_b32_e32 v12, v12, v36, vcc
	s_nop 1
	v_mov_b32_dpp v13, v12 quad_perm:[2,3,0,1] row_mask:0xf bank_mask:0xf
	v_cmp_gt_f32_e32 vcc, v12, v13
	v_cndmask_b32_e32 v12, v13, v12, vcc
	s_nop 1
	v_mov_b32_dpp v13, v12 row_half_mirror row_mask:0xf bank_mask:0xf
	v_cmp_gt_f32_e32 vcc, v12, v13
	v_cndmask_b32_e32 v12, v13, v12, vcc
	s_cbranch_execz .LBB22_28
	s_branch .LBB22_30
.LBB22_25:
                                        ; implicit-def: $vgpr12
	s_branch .LBB22_31
.LBB22_26:
                                        ; implicit-def: $vgpr12
	s_branch .LBB22_28
.LBB22_27:
	s_cbranch_execnz .LBB22_30
.LBB22_28:
	s_cmp_eq_u32 s10, 4
	s_waitcnt lgkmcnt(0)
	v_mov_b32_e32 v12, v36
	s_cbranch_scc0 .LBB22_30
; %bb.29:
	s_nop 0
	v_mov_b32_dpp v12, v36 quad_perm:[1,0,3,2] row_mask:0xf bank_mask:0xf
	v_cmp_gt_f32_e32 vcc, v36, v12
	v_cndmask_b32_e32 v12, v12, v36, vcc
	s_nop 1
	v_mov_b32_dpp v13, v12 quad_perm:[2,3,0,1] row_mask:0xf bank_mask:0xf
	v_cmp_gt_f32_e32 vcc, v12, v13
	v_cndmask_b32_e32 v12, v13, v12, vcc
.LBB22_30:
	s_cbranch_execnz .LBB22_33
.LBB22_31:
	s_cmp_lg_u32 s10, 2
	s_waitcnt lgkmcnt(0)
	v_mov_b32_e32 v12, v36
	s_cbranch_scc1 .LBB22_33
; %bb.32:
	s_nop 0
	v_mov_b32_dpp v12, v36 quad_perm:[1,0,3,2] row_mask:0xf bank_mask:0xf
	v_cmp_gt_f32_e32 vcc, v36, v12
	v_cndmask_b32_e32 v12, v12, v36, vcc
.LBB22_33:
	v_cvt_f32_u32_e32 v13, s10
	s_waitcnt lgkmcnt(0)
	v_mul_f32_e32 v37, 0x3b124925, v12
	s_sub_i32 s2, 0, s10
	v_cmp_gt_u32_e32 vcc, s9, v1
	v_rcp_iflag_f32_e32 v13, v13
	s_mov_b64 s[4:5], 0
	v_mul_f32_e32 v12, 0x4f7ffffe, v13
	v_cvt_u32_f32_e32 v12, v12
	v_mul_lo_u32 v1, s2, v12
	v_mul_hi_u32 v1, v12, v1
	v_add_u32_e32 v1, v12, v1
	v_mul_hi_u32 v1, v0, v1
	v_mul_lo_u32 v12, v1, s10
	v_sub_u32_e32 v12, v0, v12
	v_add_u32_e32 v13, 1, v1
	v_cmp_le_u32_e64 s[2:3], s10, v12
	v_cndmask_b32_e64 v1, v1, v13, s[2:3]
	v_subrev_u32_e32 v13, s10, v12
	v_cndmask_b32_e64 v12, v12, v13, s[2:3]
	v_add_u32_e32 v13, 1, v1
	v_cmp_le_u32_e64 s[2:3], s10, v12
	v_cndmask_b32_e64 v1, v1, v13, s[2:3]
	v_mul_lo_u32 v12, v1, s10
	v_sub_u32_e32 v12, v0, v12
	v_cmp_eq_u32_e64 s[2:3], 0, v12
	s_and_b64 s[10:11], s[2:3], vcc
	s_mov_b64 s[2:3], 0
                                        ; implicit-def: $vgpr12_vgpr13
	s_and_saveexec_b64 s[18:19], s[10:11]
	s_xor_b64 s[10:11], exec, s[18:19]
	s_cbranch_execz .LBB22_42
; %bb.34:
	s_bitcmp0_b32 s15, 0
	s_cbranch_scc0 .LBB22_39
; %bb.35:
	s_ashr_i32 s2, s9, 31
	s_mul_hi_u32 s3, s9, s6
	s_mul_i32 s2, s2, s6
	s_add_i32 s19, s3, s2
	s_mul_i32 s18, s9, s6
	s_mov_b32 s15, s12
	s_or_b64 s[2:3], s[18:19], s[14:15]
	s_mov_b32 s2, 0
	s_cmp_lg_u64 s[2:3], 0
	s_cbranch_scc0 .LBB22_50
; %bb.36:
	s_add_u32 s2, s14, s15
	s_mov_b32 s24, s15
	s_mov_b32 s25, s15
	s_addc_u32 s3, s15, s15
	s_xor_b64 s[26:27], s[2:3], s[24:25]
	v_cvt_f32_u32_e32 v12, s26
	v_cvt_f32_u32_e32 v13, s27
	s_sub_u32 s2, 0, s26
	s_subb_u32 s3, 0, s27
	v_madmk_f32 v12, v13, 0x4f800000, v12
	v_rcp_f32_e32 v12, v12
	v_mul_f32_e32 v12, 0x5f7ffffc, v12
	v_mul_f32_e32 v13, 0x2f800000, v12
	v_trunc_f32_e32 v13, v13
	v_madmk_f32 v12, v13, 0xcf800000, v12
	v_cvt_u32_f32_e32 v13, v13
	v_cvt_u32_f32_e32 v12, v12
	v_readfirstlane_b32 s12, v13
	v_readfirstlane_b32 s15, v12
	s_mul_i32 s28, s2, s12
	s_mul_hi_u32 s30, s2, s15
	s_mul_i32 s29, s3, s15
	s_add_i32 s28, s30, s28
	s_add_i32 s28, s28, s29
	s_mul_i32 s31, s2, s15
	s_mul_hi_u32 s29, s15, s28
	s_mul_i32 s30, s15, s28
	s_mul_hi_u32 s15, s15, s31
	s_add_u32 s15, s15, s30
	s_addc_u32 s29, 0, s29
	s_mul_hi_u32 s33, s12, s31
	s_mul_i32 s31, s12, s31
	s_add_u32 s15, s15, s31
	s_mul_hi_u32 s30, s12, s28
	s_addc_u32 s15, s29, s33
	s_addc_u32 s29, s30, 0
	s_mul_i32 s28, s12, s28
	s_add_u32 s15, s15, s28
	s_addc_u32 s28, 0, s29
	v_add_co_u32_e32 v12, vcc, s15, v12
	s_cmp_lg_u64 vcc, 0
	s_addc_u32 s12, s12, s28
	v_readfirstlane_b32 s28, v12
	s_mul_i32 s15, s2, s12
	s_mul_hi_u32 s29, s2, s28
	s_add_i32 s15, s29, s15
	s_mul_i32 s3, s3, s28
	s_add_i32 s15, s15, s3
	s_mul_i32 s2, s2, s28
	s_mul_hi_u32 s29, s12, s2
	s_mul_i32 s30, s12, s2
	s_mul_i32 s33, s28, s15
	s_mul_hi_u32 s2, s28, s2
	s_mul_hi_u32 s31, s28, s15
	s_add_u32 s2, s2, s33
	s_addc_u32 s28, 0, s31
	s_add_u32 s2, s2, s30
	s_mul_hi_u32 s3, s12, s15
	s_addc_u32 s2, s28, s29
	s_addc_u32 s3, s3, 0
	s_mul_i32 s15, s12, s15
	s_add_u32 s2, s2, s15
	s_addc_u32 s3, 0, s3
	v_add_co_u32_e32 v12, vcc, s2, v12
	s_cmp_lg_u64 vcc, 0
	s_addc_u32 s12, s12, s3
	s_ashr_i32 s28, s19, 31
	s_add_u32 s2, s18, s28
	s_mov_b32 s29, s28
	s_addc_u32 s3, s19, s28
	s_xor_b64 s[30:31], s[2:3], s[28:29]
	v_readfirstlane_b32 s15, v12
	s_mul_i32 s3, s30, s12
	s_mul_hi_u32 s19, s30, s15
	s_mul_hi_u32 s2, s30, s12
	s_add_u32 s3, s19, s3
	s_addc_u32 s2, 0, s2
	s_mul_hi_u32 s33, s31, s15
	s_mul_i32 s15, s31, s15
	s_add_u32 s3, s3, s15
	s_mul_hi_u32 s19, s31, s12
	s_addc_u32 s2, s2, s33
	s_addc_u32 s3, s19, 0
	s_mul_i32 s12, s31, s12
	s_add_u32 s12, s2, s12
	s_addc_u32 s15, 0, s3
	s_mul_i32 s2, s26, s15
	s_mul_hi_u32 s3, s26, s12
	s_add_i32 s2, s3, s2
	s_mul_i32 s3, s27, s12
	s_add_i32 s19, s2, s3
	s_mul_i32 s3, s26, s12
	v_mov_b32_e32 v12, s3
	s_sub_i32 s2, s31, s19
	v_sub_co_u32_e32 v12, vcc, s30, v12
	s_cmp_lg_u64 vcc, 0
	s_subb_u32 s30, s2, s27
	v_subrev_co_u32_e64 v13, s[2:3], s26, v12
	s_cmp_lg_u64 s[2:3], 0
	s_subb_u32 s30, s30, 0
	s_cmp_ge_u32 s30, s27
	s_cselect_b32 s33, -1, 0
	v_cmp_le_u32_e64 s[2:3], s26, v13
	s_cmp_eq_u32 s30, s27
	v_cndmask_b32_e64 v13, 0, -1, s[2:3]
	v_mov_b32_e32 v38, s33
	s_cselect_b64 s[2:3], -1, 0
	v_cndmask_b32_e64 v13, v38, v13, s[2:3]
	s_add_u32 s2, s12, 1
	s_addc_u32 s30, s15, 0
	s_add_u32 s3, s12, 2
	s_addc_u32 s33, s15, 0
	v_mov_b32_e32 v38, s2
	v_mov_b32_e32 v39, s3
	v_cmp_ne_u32_e64 s[2:3], 0, v13
	v_cndmask_b32_e64 v13, v38, v39, s[2:3]
	v_mov_b32_e32 v38, s30
	v_mov_b32_e32 v39, s33
	s_cmp_lg_u64 vcc, 0
	v_cndmask_b32_e64 v38, v38, v39, s[2:3]
	s_subb_u32 s2, s31, s19
	s_cmp_ge_u32 s2, s27
	s_cselect_b32 s3, -1, 0
	v_cmp_le_u32_e32 vcc, s26, v12
	s_cmp_eq_u32 s2, s27
	v_cndmask_b32_e64 v12, 0, -1, vcc
	v_mov_b32_e32 v39, s3
	s_cselect_b64 vcc, -1, 0
	v_cndmask_b32_e32 v12, v39, v12, vcc
	v_mov_b32_e32 v39, s15
	v_cmp_ne_u32_e32 vcc, 0, v12
	v_cndmask_b32_e32 v12, v39, v38, vcc
	v_mov_b32_e32 v38, s12
	v_cndmask_b32_e32 v13, v38, v13, vcc
	s_xor_b64 s[2:3], s[28:29], s[24:25]
	v_xor_b32_e32 v13, s2, v13
	v_xor_b32_e32 v38, s3, v12
	v_mov_b32_e32 v39, s3
	v_subrev_co_u32_e32 v12, vcc, s2, v13
	v_subb_co_u32_e32 v13, vcc, v38, v39, vcc
	s_cbranch_execnz .LBB22_38
.LBB22_37:
	v_cvt_f32_u32_e32 v12, s14
	s_sub_i32 s2, 0, s14
	s_mov_b32 s3, 0
	v_rcp_iflag_f32_e32 v12, v12
	v_mul_f32_e32 v12, 0x4f7ffffe, v12
	v_cvt_u32_f32_e32 v12, v12
	v_readfirstlane_b32 s12, v12
	s_mul_i32 s2, s2, s12
	s_mul_hi_u32 s2, s12, s2
	s_add_i32 s12, s12, s2
	s_mul_hi_u32 s2, s18, s12
	s_mul_i32 s15, s2, s14
	s_sub_i32 s15, s18, s15
	s_add_i32 s12, s2, 1
	s_sub_i32 s18, s15, s14
	s_cmp_ge_u32 s15, s14
	s_cselect_b32 s2, s12, s2
	s_cselect_b32 s15, s18, s15
	s_add_i32 s12, s2, 1
	s_cmp_ge_u32 s15, s14
	s_cselect_b32 s2, s12, s2
	v_pk_mov_b32 v[12:13], s[2:3], s[2:3] op_sel:[0,1]
.LBB22_38:
	v_add_co_u32_e32 v12, vcc, v12, v1
	v_addc_co_u32_e32 v13, vcc, 0, v13, vcc
	s_branch .LBB22_41
.LBB22_39:
                                        ; implicit-def: $vgpr12_vgpr13
	s_cbranch_execz .LBB22_41
; %bb.40:
	v_mul_lo_u32 v1, v1, s8
	v_ashrrev_i32_e32 v13, 31, v1
	v_mov_b32_e32 v38, s7
	v_add_co_u32_e32 v12, vcc, s6, v1
	v_addc_co_u32_e32 v13, vcc, v13, v38, vcc
.LBB22_41:
	s_mov_b64 s[2:3], exec
.LBB22_42:
	s_or_b64 exec, exec, s[10:11]
	s_and_b64 vcc, exec, s[4:5]
	s_cbranch_vccz .LBB22_46
.LBB22_43:
	v_mov_b32_dpp v1, v36 quad_perm:[1,0,3,2] row_mask:0xf bank_mask:0xf
	v_cmp_gt_f32_e32 vcc, v36, v1
	v_cndmask_b32_e32 v1, v1, v36, vcc
	s_nop 1
	v_mov_b32_dpp v12, v1 quad_perm:[2,3,0,1] row_mask:0xf bank_mask:0xf
	v_cmp_gt_f32_e32 vcc, v1, v12
	v_cndmask_b32_e32 v1, v12, v1, vcc
	s_nop 1
	v_mov_b32_dpp v12, v1 row_half_mirror row_mask:0xf bank_mask:0xf
	v_cmp_gt_f32_e32 vcc, v1, v12
	v_cndmask_b32_e32 v1, v12, v1, vcc
	s_nop 1
	v_mov_b32_dpp v12, v1 row_mirror row_mask:0xf bank_mask:0xf
	v_cmp_gt_f32_e32 vcc, v1, v12
	v_cndmask_b32_e32 v1, v12, v1, vcc
	s_nop 1
	v_mov_b32_dpp v12, v1 row_bcast:15 row_mask:0xf bank_mask:0xf
	v_cmp_gt_f32_e32 vcc, v1, v12
	v_cndmask_b32_e32 v1, v12, v1, vcc
	s_nop 1
	v_mov_b32_dpp v12, v1 row_bcast:31 row_mask:0xf bank_mask:0xf
	s_and_saveexec_b64 s[2:3], s[0:1]
	s_cbranch_execz .LBB22_45
; %bb.44:
	v_lshrrev_b32_e32 v13, 4, v0
	v_cmp_gt_f32_e32 vcc, v1, v12
	v_and_b32_e32 v13, 60, v13
	v_cndmask_b32_e32 v1, v12, v1, vcc
	ds_write_b32 v13, v1
.LBB22_45:
	s_or_b64 exec, exec, s[2:3]
	s_waitcnt lgkmcnt(0)
	s_barrier
	ds_read_b32 v1, v51
	v_cmp_eq_u32_e64 s[2:3], 0, v0
	s_waitcnt lgkmcnt(0)
	v_mov_b32_dpp v12, v1 quad_perm:[1,0,3,2] row_mask:0xf bank_mask:0xf
	v_cmp_gt_f32_e32 vcc, v1, v12
	v_cndmask_b32_e32 v1, v12, v1, vcc
	s_nop 1
	v_mov_b32_dpp v12, v1 quad_perm:[2,3,0,1] row_mask:0xf bank_mask:0xf
	v_cmp_gt_f32_e32 vcc, v1, v12
	v_cndmask_b32_e32 v1, v12, v1, vcc
	v_mul_f32_e32 v37, 0x3b124925, v1
	v_pk_mov_b32 v[12:13], s[6:7], s[6:7] op_sel:[0,1]
.LBB22_46:
	s_and_saveexec_b64 s[0:1], s[2:3]
	s_cbranch_execz .LBB22_48
; %bb.47:
	v_lshlrev_b64 v[0:1], 2, v[12:13]
	v_mov_b32_e32 v12, s21
	v_add_co_u32_e32 v0, vcc, s20, v0
	v_addc_co_u32_e32 v1, vcc, v12, v1, vcc
	global_store_dword v[0:1], v37, off
.LBB22_48:
	s_or_b64 exec, exec, s[0:1]
	s_add_i32 s0, s9, 3
	s_ashr_i32 s1, s0, 31
	s_lshr_b32 s1, s1, 30
	;;#ASMSTART
	v_rcp_f32 v0, v37
	;;#ASMEND
	v_mov_b32_e32 v1, v0
	;;#ASMSTART
	v_pk_mul_f32 v[12:13], v[34:35], v[0:1]
	;;#ASMEND
	s_add_i32 s0, s0, s1
	v_mov_b32_e32 v34, 0xc3e00000
	v_mov_b32_e32 v35, 0x43e00000
	;;#ASMSTART
	v_med3_f32 v12, v12, v34, v35
v_med3_f32 v13, v13, v34, v35
v_cvt_pk_fp8_f32 v36, v12, v13
	;;#ASMEND
	s_and_b32 s2, s0, -4
	s_ashr_i32 s0, s13, 31
	;;#ASMSTART
	v_pk_mul_f32 v[12:13], v[32:33], v[0:1]
	;;#ASMEND
	s_mul_hi_u32 s1, s13, s6
	s_mul_i32 s0, s0, s6
	;;#ASMSTART
	v_med3_f32 v12, v12, v34, v35
v_med3_f32 v13, v13, v34, v35
v_cvt_pk_fp8_f32 v32, v12, v13
	;;#ASMEND
	s_mov_b32 s5, 0x5040100
	s_add_i32 s1, s1, s0
	s_mul_i32 s0, s13, s6
	v_perm_b32 v13, v32, v36, s5
	s_movk_i32 s6, 0xff
	v_and_b32_e32 v12, 0xffffff00, v32
	v_and_b32_sdwa v32, v13, s6 dst_sel:DWORD dst_unused:UNUSED_PAD src0_sel:WORD_1 src1_sel:DWORD
	s_mov_b32 s4, 0xffff
	v_or_b32_sdwa v12, v32, v12 dst_sel:WORD_1 dst_unused:UNUSED_PAD src0_sel:DWORD src1_sel:DWORD
	v_and_or_b32 v12, v13, s4, v12
	;;#ASMSTART
	v_pk_mul_f32 v[30:31], v[30:31], v[0:1]
	;;#ASMEND
	v_mov_b32_e32 v13, v31
	;;#ASMSTART
	v_med3_f32 v30, v30, v34, v35
v_med3_f32 v13, v13, v34, v35
v_cvt_pk_fp8_f32 v31, v30, v13
	;;#ASMEND
	;;#ASMSTART
	v_pk_mul_f32 v[26:27], v[26:27], v[0:1]
	;;#ASMEND
	v_mov_b32_e32 v13, v27
	s_add_u32 s0, s16, s0
	;;#ASMSTART
	v_med3_f32 v26, v26, v34, v35
v_med3_f32 v13, v13, v34, v35
v_cvt_pk_fp8_f32 v27, v26, v13
	;;#ASMEND
	s_addc_u32 s1, s17, s1
	v_lshlrev_b32_e32 v13, 16, v27
	s_and_b32 s1, s1, 0xffff
	s_mov_b32 s3, 0x20000
	v_and_or_b32 v13, v31, s4, v13
	buffer_store_dwordx2 v[12:13], v50, s[0:3], 0 offen
	;;#ASMSTART
	s_nop 0
	;;#ASMEND
	;;#ASMSTART
	v_pk_mul_f32 v[12:13], v[28:29], v[0:1]
	;;#ASMEND
	;;#ASMSTART
	v_med3_f32 v12, v12, v34, v35
v_med3_f32 v13, v13, v34, v35
v_cvt_pk_fp8_f32 v26, v12, v13
	;;#ASMEND
	;;#ASMSTART
	v_pk_mul_f32 v[12:13], v[24:25], v[0:1]
	;;#ASMEND
	;;#ASMSTART
	v_med3_f32 v12, v12, v34, v35
v_med3_f32 v13, v13, v34, v35
v_cvt_pk_fp8_f32 v24, v12, v13
	;;#ASMEND
	v_perm_b32 v13, v24, v26, s5
	v_and_b32_e32 v12, 0xffffff00, v24
	v_and_b32_sdwa v24, v13, s6 dst_sel:DWORD dst_unused:UNUSED_PAD src0_sel:WORD_1 src1_sel:DWORD
	v_or_b32_sdwa v12, v24, v12 dst_sel:WORD_1 dst_unused:UNUSED_PAD src0_sel:DWORD src1_sel:DWORD
	v_and_or_b32 v12, v13, s4, v12
	;;#ASMSTART
	v_pk_mul_f32 v[22:23], v[22:23], v[0:1]
	;;#ASMEND
	v_mov_b32_e32 v13, v23
	;;#ASMSTART
	v_med3_f32 v22, v22, v34, v35
v_med3_f32 v13, v13, v34, v35
v_cvt_pk_fp8_f32 v23, v22, v13
	;;#ASMEND
	;;#ASMSTART
	v_pk_mul_f32 v[18:19], v[18:19], v[0:1]
	;;#ASMEND
	v_mov_b32_e32 v13, v19
	;;#ASMSTART
	v_med3_f32 v18, v18, v34, v35
v_med3_f32 v13, v13, v34, v35
v_cvt_pk_fp8_f32 v19, v18, v13
	;;#ASMEND
	v_lshlrev_b32_e32 v13, 16, v19
	v_and_or_b32 v13, v23, s4, v13
	s_movk_i32 s7, 0x200
	buffer_store_dwordx2 v[12:13], v50, s[0:3], s7 offen
	;;#ASMSTART
	s_nop 0
	;;#ASMEND
	;;#ASMSTART
	v_pk_mul_f32 v[12:13], v[20:21], v[0:1]
	;;#ASMEND
	;;#ASMSTART
	v_med3_f32 v12, v12, v34, v35
v_med3_f32 v13, v13, v34, v35
v_cvt_pk_fp8_f32 v18, v12, v13
	;;#ASMEND
	;;#ASMSTART
	v_pk_mul_f32 v[12:13], v[16:17], v[0:1]
	;;#ASMEND
	;;#ASMSTART
	v_med3_f32 v12, v12, v34, v35
v_med3_f32 v13, v13, v34, v35
v_cvt_pk_fp8_f32 v16, v12, v13
	;;#ASMEND
	v_perm_b32 v13, v16, v18, s5
	v_and_b32_e32 v12, 0xffffff00, v16
	v_and_b32_sdwa v16, v13, s6 dst_sel:DWORD dst_unused:UNUSED_PAD src0_sel:WORD_1 src1_sel:DWORD
	v_or_b32_sdwa v12, v16, v12 dst_sel:WORD_1 dst_unused:UNUSED_PAD src0_sel:DWORD src1_sel:DWORD
	v_and_or_b32 v12, v13, s4, v12
	;;#ASMSTART
	v_pk_mul_f32 v[14:15], v[14:15], v[0:1]
	;;#ASMEND
	v_mov_b32_e32 v13, v15
	;;#ASMSTART
	v_med3_f32 v14, v14, v34, v35
v_med3_f32 v13, v13, v34, v35
v_cvt_pk_fp8_f32 v15, v14, v13
	;;#ASMEND
	;;#ASMSTART
	v_pk_mul_f32 v[8:9], v[8:9], v[0:1]
	;;#ASMEND
	;;#ASMSTART
	v_med3_f32 v8, v8, v34, v35
v_med3_f32 v9, v9, v34, v35
v_cvt_pk_fp8_f32 v13, v8, v9
	;;#ASMEND
	v_lshlrev_b32_e32 v8, 16, v13
	v_and_or_b32 v13, v15, s4, v8
	s_movk_i32 s7, 0x400
	buffer_store_dwordx2 v[12:13], v50, s[0:3], s7 offen
	;;#ASMSTART
	s_nop 0
	;;#ASMEND
	;;#ASMSTART
	v_pk_mul_f32 v[8:9], v[10:11], v[0:1]
	;;#ASMEND
	;;#ASMSTART
	v_med3_f32 v8, v8, v34, v35
v_med3_f32 v9, v9, v34, v35
v_cvt_pk_fp8_f32 v10, v8, v9
	;;#ASMEND
	;;#ASMSTART
	v_pk_mul_f32 v[6:7], v[6:7], v[0:1]
	;;#ASMEND
	;;#ASMSTART
	v_med3_f32 v6, v6, v34, v35
v_med3_f32 v7, v7, v34, v35
v_cvt_pk_fp8_f32 v8, v6, v7
	;;#ASMEND
	v_perm_b32 v7, v8, v10, s5
	v_and_b32_e32 v6, 0xffffff00, v8
	v_and_b32_sdwa v8, v7, s6 dst_sel:DWORD dst_unused:UNUSED_PAD src0_sel:WORD_1 src1_sel:DWORD
	v_or_b32_sdwa v6, v8, v6 dst_sel:WORD_1 dst_unused:UNUSED_PAD src0_sel:DWORD src1_sel:DWORD
	;;#ASMSTART
	v_pk_mul_f32 v[4:5], v[4:5], v[0:1]
	;;#ASMEND
	v_and_or_b32 v6, v7, s4, v6
	;;#ASMSTART
	v_med3_f32 v4, v4, v34, v35
v_med3_f32 v5, v5, v34, v35
v_cvt_pk_fp8_f32 v7, v4, v5
	;;#ASMEND
	;;#ASMSTART
	v_pk_mul_f32 v[0:1], v[2:3], v[0:1]
	;;#ASMEND
	;;#ASMSTART
	v_med3_f32 v0, v0, v34, v35
v_med3_f32 v1, v1, v34, v35
v_cvt_pk_fp8_f32 v2, v0, v1
	;;#ASMEND
	v_lshlrev_b32_e32 v0, 16, v2
	v_and_or_b32 v7, v7, s4, v0
	s_movk_i32 s4, 0x600
	buffer_store_dwordx2 v[6:7], v50, s[0:3], s4 offen
	;;#ASMSTART
	s_nop 0
	;;#ASMEND
.LBB22_49:
	s_endpgm
.LBB22_50:
                                        ; implicit-def: $vgpr12_vgpr13
	s_branch .LBB22_37
	.section	.rodata,"a",@progbits
	.p2align	6, 0x0
	.amdhsa_kernel _ZN5aiter24add_rmsnorm_quant_kernelItDB8_Li256ELi32ELb1ELb1ELb1ELi1EEEvPT0_PT_PfS5_S5_S5_diiiiiiib
		.amdhsa_group_segment_fixed_size 32
		.amdhsa_private_segment_fixed_size 0
		.amdhsa_kernarg_size 88
		.amdhsa_user_sgpr_count 6
		.amdhsa_user_sgpr_private_segment_buffer 1
		.amdhsa_user_sgpr_dispatch_ptr 0
		.amdhsa_user_sgpr_queue_ptr 0
		.amdhsa_user_sgpr_kernarg_segment_ptr 1
		.amdhsa_user_sgpr_dispatch_id 0
		.amdhsa_user_sgpr_flat_scratch_init 0
		.amdhsa_user_sgpr_kernarg_preload_length 0
		.amdhsa_user_sgpr_kernarg_preload_offset 0
		.amdhsa_user_sgpr_private_segment_size 0
		.amdhsa_uses_dynamic_stack 0
		.amdhsa_system_sgpr_private_segment_wavefront_offset 0
		.amdhsa_system_sgpr_workgroup_id_x 1
		.amdhsa_system_sgpr_workgroup_id_y 0
		.amdhsa_system_sgpr_workgroup_id_z 0
		.amdhsa_system_sgpr_workgroup_info 0
		.amdhsa_system_vgpr_workitem_id 0
		.amdhsa_next_free_vgpr 70
		.amdhsa_next_free_sgpr 40
		.amdhsa_accum_offset 72
		.amdhsa_reserve_vcc 1
		.amdhsa_reserve_flat_scratch 0
		.amdhsa_float_round_mode_32 0
		.amdhsa_float_round_mode_16_64 0
		.amdhsa_float_denorm_mode_32 3
		.amdhsa_float_denorm_mode_16_64 3
		.amdhsa_dx10_clamp 1
		.amdhsa_ieee_mode 1
		.amdhsa_fp16_overflow 0
		.amdhsa_tg_split 0
		.amdhsa_exception_fp_ieee_invalid_op 0
		.amdhsa_exception_fp_denorm_src 0
		.amdhsa_exception_fp_ieee_div_zero 0
		.amdhsa_exception_fp_ieee_overflow 0
		.amdhsa_exception_fp_ieee_underflow 0
		.amdhsa_exception_fp_ieee_inexact 0
		.amdhsa_exception_int_div_zero 0
	.end_amdhsa_kernel
	.section	.text._ZN5aiter24add_rmsnorm_quant_kernelItDB8_Li256ELi32ELb1ELb1ELb1ELi1EEEvPT0_PT_PfS5_S5_S5_diiiiiiib,"axG",@progbits,_ZN5aiter24add_rmsnorm_quant_kernelItDB8_Li256ELi32ELb1ELb1ELb1ELi1EEEvPT0_PT_PfS5_S5_S5_diiiiiiib,comdat
.Lfunc_end22:
	.size	_ZN5aiter24add_rmsnorm_quant_kernelItDB8_Li256ELi32ELb1ELb1ELb1ELi1EEEvPT0_PT_PfS5_S5_S5_diiiiiiib, .Lfunc_end22-_ZN5aiter24add_rmsnorm_quant_kernelItDB8_Li256ELi32ELb1ELb1ELb1ELi1EEEvPT0_PT_PfS5_S5_S5_diiiiiiib
                                        ; -- End function
	.section	.AMDGPU.csdata,"",@progbits
; Kernel info:
; codeLenInByte = 5644
; NumSgprs: 44
; NumVgprs: 70
; NumAgprs: 0
; TotalNumVgprs: 70
; ScratchSize: 0
; MemoryBound: 0
; FloatMode: 240
; IeeeMode: 1
; LDSByteSize: 32 bytes/workgroup (compile time only)
; SGPRBlocks: 5
; VGPRBlocks: 8
; NumSGPRsForWavesPerEU: 44
; NumVGPRsForWavesPerEU: 70
; AccumOffset: 72
; Occupancy: 7
; WaveLimiterHint : 0
; COMPUTE_PGM_RSRC2:SCRATCH_EN: 0
; COMPUTE_PGM_RSRC2:USER_SGPR: 6
; COMPUTE_PGM_RSRC2:TRAP_HANDLER: 0
; COMPUTE_PGM_RSRC2:TGID_X_EN: 1
; COMPUTE_PGM_RSRC2:TGID_Y_EN: 0
; COMPUTE_PGM_RSRC2:TGID_Z_EN: 0
; COMPUTE_PGM_RSRC2:TIDIG_COMP_CNT: 0
; COMPUTE_PGM_RSRC3_GFX90A:ACCUM_OFFSET: 17
; COMPUTE_PGM_RSRC3_GFX90A:TG_SPLIT: 0
	.section	.text._ZN5aiter24add_rmsnorm_quant_kernelIDF16_DB8_Li256ELi32ELb1ELb1ELb0ELi1EEEvPT0_PT_PfS5_S5_S5_diiiiiiib,"axG",@progbits,_ZN5aiter24add_rmsnorm_quant_kernelIDF16_DB8_Li256ELi32ELb1ELb1ELb0ELi1EEEvPT0_PT_PfS5_S5_S5_diiiiiiib,comdat
	.protected	_ZN5aiter24add_rmsnorm_quant_kernelIDF16_DB8_Li256ELi32ELb1ELb1ELb0ELi1EEEvPT0_PT_PfS5_S5_S5_diiiiiiib ; -- Begin function _ZN5aiter24add_rmsnorm_quant_kernelIDF16_DB8_Li256ELi32ELb1ELb1ELb0ELi1EEEvPT0_PT_PfS5_S5_S5_diiiiiiib
	.globl	_ZN5aiter24add_rmsnorm_quant_kernelIDF16_DB8_Li256ELi32ELb1ELb1ELb0ELi1EEEvPT0_PT_PfS5_S5_S5_diiiiiiib
	.p2align	8
	.type	_ZN5aiter24add_rmsnorm_quant_kernelIDF16_DB8_Li256ELi32ELb1ELb1ELb0ELi1EEEvPT0_PT_PfS5_S5_S5_diiiiiiib,@function
_ZN5aiter24add_rmsnorm_quant_kernelIDF16_DB8_Li256ELi32ELb1ELb1ELb0ELi1EEEvPT0_PT_PfS5_S5_S5_diiiiiiib: ; @_ZN5aiter24add_rmsnorm_quant_kernelIDF16_DB8_Li256ELi32ELb1ELb1ELb0ELi1EEEvPT0_PT_PfS5_S5_S5_diiiiiiib
; %bb.0:
	s_load_dwordx8 s[8:15], s[4:5], 0x38
	s_mov_b32 s7, 0
	s_waitcnt lgkmcnt(0)
	s_ashr_i32 s0, s8, 31
	v_mov_b32_e32 v2, s8
	v_mov_b32_e32 v3, s0
	v_cmp_ge_i64_e32 vcc, s[6:7], v[2:3]
	s_cbranch_vccnz .LBB23_49
; %bb.1:
	s_load_dwordx8 s[16:23], s[4:5], 0x0
	s_ashr_i32 s0, s10, 31
	s_mul_hi_u32 s1, s10, s6
	s_mul_i32 s0, s0, s6
	s_add_i32 s1, s1, s0
	s_mul_i32 s0, s10, s6
	s_lshl_b64 s[0:1], s[0:1], 1
	s_waitcnt lgkmcnt(0)
	s_add_u32 s0, s22, s0
	s_addc_u32 s1, s23, s1
	s_add_i32 s2, s9, 1
	s_lshr_b32 s3, s2, 31
	s_add_i32 s2, s2, s3
	s_lshl_b32 s2, s2, 1
	s_load_dwordx8 s[24:31], s[4:5], 0x20
	s_and_b32 s2, s2, -4
	s_and_b32 s1, s1, 0xffff
	s_mov_b32 s3, 0x20000
	v_lshlrev_b32_e32 v1, 6, v0
	buffer_load_dwordx4 v[22:25], v1, s[0:3], 16 offen
	buffer_load_dwordx4 v[26:29], v1, s[0:3], 32 offen
	;; [unrolled: 1-line block ×4, first 2 shown]
	s_ashr_i32 s0, s11, 31
	s_mul_hi_u32 s5, s11, s6
	s_mul_i32 s0, s0, s6
	s_mul_i32 s4, s11, s6
	s_add_i32 s5, s5, s0
	s_waitcnt lgkmcnt(0)
	s_and_b32 s37, s27, 0xffff
	s_lshl_b64 s[0:1], s[4:5], 1
	s_add_u32 s0, s24, s0
	s_addc_u32 s1, s25, s1
	s_and_b32 s1, s1, 0xffff
	buffer_load_dwordx4 v[30:33], v1, s[0:3], 16 offen
	buffer_load_dwordx4 v[10:13], v1, s[0:3], 32 offen
	;; [unrolled: 1-line block ×4, first 2 shown]
	s_mov_b32 s39, s3
	s_mov_b32 s36, s26
	s_mov_b32 s38, s2
	s_ashr_i32 s0, s12, 31
	s_mul_hi_u32 s1, s12, s6
	s_mul_i32 s0, s0, s6
	s_add_i32 s1, s1, s0
	s_mul_i32 s0, s12, s6
	s_lshl_b64 s[0:1], s[0:1], 1
	s_add_u32 s0, s18, s0
	s_addc_u32 s1, s19, s1
	s_and_b32 s1, s1, 0xffff
	s_waitcnt vmcnt(7)
	v_cvt_f32_f16_e32 v14, v22
	v_cvt_f32_f16_sdwa v15, v22 dst_sel:DWORD dst_unused:UNUSED_PAD src0_sel:WORD_1
	v_cvt_f32_f16_e32 v16, v23
	v_cvt_f32_f16_sdwa v17, v23 dst_sel:DWORD dst_unused:UNUSED_PAD src0_sel:WORD_1
	s_waitcnt vmcnt(4)
	v_cvt_f32_f16_e32 v50, v6
	v_cvt_f32_f16_sdwa v51, v6 dst_sel:DWORD dst_unused:UNUSED_PAD src0_sel:WORD_1
	v_cvt_f32_f16_e32 v52, v7
	v_cvt_f32_f16_sdwa v53, v7 dst_sel:DWORD dst_unused:UNUSED_PAD src0_sel:WORD_1
	;; [unrolled: 2-line block ×4, first 2 shown]
	s_waitcnt vmcnt(3)
	v_cvt_f32_f16_e32 v6, v30
	v_cvt_f32_f16_sdwa v7, v30 dst_sel:DWORD dst_unused:UNUSED_PAD src0_sel:WORD_1
	v_cvt_f32_f16_e32 v8, v31
	v_cvt_f32_f16_sdwa v9, v31 dst_sel:DWORD dst_unused:UNUSED_PAD src0_sel:WORD_1
	s_waitcnt vmcnt(2)
	v_cvt_f32_f16_e32 v44, v10
	v_cvt_f32_f16_sdwa v45, v10 dst_sel:DWORD dst_unused:UNUSED_PAD src0_sel:WORD_1
	v_cvt_f32_f16_e32 v58, v11
	v_cvt_f32_f16_sdwa v59, v11 dst_sel:DWORD dst_unused:UNUSED_PAD src0_sel:WORD_1
	;; [unrolled: 2-line block ×4, first 2 shown]
	s_waitcnt vmcnt(1)
	v_cvt_f32_f16_e32 v64, v2
	v_cvt_f32_f16_sdwa v65, v2 dst_sel:DWORD dst_unused:UNUSED_PAD src0_sel:WORD_1
	v_cvt_f32_f16_e32 v66, v3
	v_cvt_f32_f16_sdwa v67, v3 dst_sel:DWORD dst_unused:UNUSED_PAD src0_sel:WORD_1
	;; [unrolled: 2-line block ×4, first 2 shown]
	v_pk_add_f32 v[34:35], v[14:15], v[6:7]
	v_pk_add_f32 v[30:31], v[16:17], v[8:9]
	buffer_load_dwordx4 v[14:17], v1, s[36:39], 0 offen
	buffer_load_dwordx4 v[10:13], v1, s[36:39], 16 offen
	;; [unrolled: 1-line block ×4, first 2 shown]
	v_cvt_f32_f16_e32 v22, v24
	v_cvt_f32_f16_sdwa v23, v24 dst_sel:DWORD dst_unused:UNUSED_PAD src0_sel:WORD_1
	v_cvt_f32_f16_e32 v24, v25
	v_cvt_f32_f16_sdwa v25, v25 dst_sel:DWORD dst_unused:UNUSED_PAD src0_sel:WORD_1
	v_cvt_f32_f16_e32 v36, v26
	v_cvt_f32_f16_sdwa v37, v26 dst_sel:DWORD dst_unused:UNUSED_PAD src0_sel:WORD_1
	v_cvt_f32_f16_e32 v38, v27
	v_cvt_f32_f16_sdwa v39, v27 dst_sel:DWORD dst_unused:UNUSED_PAD src0_sel:WORD_1
	v_cvt_f32_f16_e32 v40, v28
	v_cvt_f32_f16_sdwa v41, v28 dst_sel:DWORD dst_unused:UNUSED_PAD src0_sel:WORD_1
	v_cvt_f32_f16_e32 v42, v29
	v_cvt_f32_f16_sdwa v43, v29 dst_sel:DWORD dst_unused:UNUSED_PAD src0_sel:WORD_1
	v_cvt_f32_f16_e32 v28, v33
	v_cvt_f32_f16_sdwa v29, v33 dst_sel:DWORD dst_unused:UNUSED_PAD src0_sel:WORD_1
	v_cvt_f32_f16_e32 v26, v32
	v_cvt_f32_f16_sdwa v27, v32 dst_sel:DWORD dst_unused:UNUSED_PAD src0_sel:WORD_1
	v_pk_add_f32 v[32:33], v[24:25], v[28:29]
	v_pk_add_f32 v[28:29], v[36:37], v[44:45]
	;; [unrolled: 1-line block ×6, first 2 shown]
	v_cvt_f32_f16_e32 v50, v18
	v_cvt_f32_f16_sdwa v51, v18 dst_sel:DWORD dst_unused:UNUSED_PAD src0_sel:WORD_1
	s_waitcnt vmcnt(4)
	v_cvt_f32_f16_e32 v52, v46
	v_cvt_f32_f16_sdwa v53, v46 dst_sel:DWORD dst_unused:UNUSED_PAD src0_sel:WORD_1
	v_pk_add_f32 v[36:37], v[54:55], v[68:69]
	v_cvt_f32_f16_e32 v54, v19
	v_cvt_f32_f16_sdwa v55, v19 dst_sel:DWORD dst_unused:UNUSED_PAD src0_sel:WORD_1
	v_cvt_f32_f16_e32 v46, v47
	v_cvt_f32_f16_sdwa v47, v47 dst_sel:DWORD dst_unused:UNUSED_PAD src0_sel:WORD_1
	v_pk_add_f32 v[18:19], v[50:51], v[52:53]
	v_cvt_f32_f16_e32 v50, v20
	v_cvt_f32_f16_sdwa v51, v20 dst_sel:DWORD dst_unused:UNUSED_PAD src0_sel:WORD_1
	v_cvt_f32_f16_e32 v52, v21
	v_cvt_f32_f16_sdwa v53, v21 dst_sel:DWORD dst_unused:UNUSED_PAD src0_sel:WORD_1
	v_cvt_f32_f16_e32 v20, v48
	v_cvt_f32_f16_sdwa v21, v48 dst_sel:DWORD dst_unused:UNUSED_PAD src0_sel:WORD_1
	v_cvt_f32_f16_e32 v48, v49
	v_cvt_f32_f16_sdwa v49, v49 dst_sel:DWORD dst_unused:UNUSED_PAD src0_sel:WORD_1
	v_pk_add_f32 v[46:47], v[54:55], v[46:47]
	v_pk_add_f32 v[20:21], v[50:51], v[20:21]
	;; [unrolled: 1-line block ×6, first 2 shown]
	v_cvt_f16_f32_e32 v56, v19
	v_cvt_f16_f32_e32 v54, v47
	;; [unrolled: 1-line block ×8, first 2 shown]
	v_pack_b32_f16 v53, v52, v51
	v_pack_b32_f16 v52, v55, v50
	;; [unrolled: 1-line block ×4, first 2 shown]
	buffer_store_dwordx4 v[50:53], v1, s[0:3], 0 offen
	v_cvt_f16_f32_e32 v54, v33
	v_cvt_f16_f32_e32 v50, v34
	v_cvt_f16_f32_e32 v51, v30
	v_cvt_f16_f32_e32 v52, v26
	v_cvt_f16_f32_e32 v53, v32
	v_cvt_f16_f32_e32 v55, v27
	v_cvt_f16_f32_e32 v56, v31
	v_cvt_f16_f32_e32 v57, v35
	v_pack_b32_f16 v53, v53, v54
	v_pack_b32_f16 v52, v52, v55
	v_pack_b32_f16 v51, v51, v56
	v_pack_b32_f16 v50, v50, v57
	;;#ASMSTART
	s_nop 0
	;;#ASMEND
	buffer_store_dwordx4 v[50:53], v1, s[0:3], 16 offen
	v_cvt_f16_f32_e32 v54, v45
	v_cvt_f16_f32_e32 v50, v28
	v_cvt_f16_f32_e32 v51, v24
	v_cvt_f16_f32_e32 v52, v22
	v_cvt_f16_f32_e32 v53, v44
	v_cvt_f16_f32_e32 v55, v23
	v_cvt_f16_f32_e32 v56, v25
	v_cvt_f16_f32_e32 v57, v29
	v_pack_b32_f16 v53, v53, v54
	v_pack_b32_f16 v52, v52, v55
	v_pack_b32_f16 v51, v51, v56
	v_pack_b32_f16 v50, v50, v57
	;;#ASMSTART
	s_nop 0
	;;#ASMEND
	;; [unrolled: 16-line block ×3, first 2 shown]
	buffer_store_dwordx4 v[50:53], v1, s[0:3], 48 offen
	v_pk_mul_f32 v[54:55], v[20:21], v[20:21]
	v_pk_mul_f32 v[50:51], v[18:19], v[18:19]
	;; [unrolled: 1-line block ×3, first 2 shown]
	v_add_f32_e32 v1, v50, v51
	v_add_f32_e32 v1, v52, v1
	;; [unrolled: 1-line block ×4, first 2 shown]
	v_pk_mul_f32 v[56:57], v[48:49], v[48:49]
	v_add_f32_e32 v1, v55, v1
	v_add_f32_e32 v1, v56, v1
	v_pk_mul_f32 v[58:59], v[34:35], v[34:35]
	v_add_f32_e32 v1, v57, v1
	v_add_f32_e32 v1, v58, v1
	;; [unrolled: 3-line block ×13, first 2 shown]
	v_add_f32_e32 v1, v51, v1
	v_and_b32_e32 v51, 63, v0
	v_cmp_eq_u32_e64 s[0:1], 63, v51
	v_mov_b32_dpp v50, v1 quad_perm:[1,0,3,2] row_mask:0xf bank_mask:0xf
	v_add_f32_e32 v1, v1, v50
	;;#ASMSTART
	s_nop 0
	;;#ASMEND
	s_nop 1
	v_mov_b32_dpp v50, v1 quad_perm:[2,3,0,1] row_mask:0xf bank_mask:0xf
	v_add_f32_e32 v1, v1, v50
	s_nop 1
	v_mov_b32_dpp v50, v1 row_half_mirror row_mask:0xf bank_mask:0xf
	v_add_f32_e32 v1, v1, v50
	s_nop 1
	v_mov_b32_dpp v50, v1 row_mirror row_mask:0xf bank_mask:0xf
	v_add_f32_e32 v1, v1, v50
	s_nop 1
	v_mov_b32_dpp v50, v1 row_bcast:15 row_mask:0xf bank_mask:0xf
	v_add_f32_e32 v1, v1, v50
	s_nop 1
	v_mov_b32_dpp v50, v1 row_bcast:31 row_mask:0xf bank_mask:0xf
	s_and_saveexec_b64 s[2:3], s[0:1]
	s_cbranch_execz .LBB23_3
; %bb.2:
	v_lshrrev_b32_e32 v51, 4, v0
	v_and_b32_e32 v51, 60, v51
	v_add_f32_e32 v1, v1, v50
	ds_write_b32 v51, v1 offset:16
.LBB23_3:
	s_or_b64 exec, exec, s[2:3]
	v_and_b32_e32 v1, 3, v0
	v_lshlrev_b32_e32 v1, 2, v1
	s_waitcnt lgkmcnt(0)
	s_barrier
	ds_read_b32 v50, v1 offset:16
	v_cvt_f32_i32_e32 v51, s9
	s_cmp_lg_u32 s14, 0
	s_waitcnt lgkmcnt(0)
	v_mov_b32_dpp v52, v50 quad_perm:[1,0,3,2] row_mask:0xf bank_mask:0xf
	v_add_f32_e32 v50, v50, v52
	s_nop 1
	v_mov_b32_dpp v52, v50 quad_perm:[2,3,0,1] row_mask:0xf bank_mask:0xf
	v_add_f32_e32 v50, v50, v52
	v_div_scale_f32 v52, s[2:3], v51, v51, v50
	v_rcp_f32_e32 v53, v52
	v_div_scale_f32 v54, vcc, v50, v51, v50
	s_mov_b32 s2, 0x800000
	v_fma_f32 v55, -v52, v53, 1.0
	v_fmac_f32_e32 v53, v55, v53
	v_mul_f32_e32 v55, v54, v53
	v_fma_f32 v56, -v52, v55, v54
	v_fmac_f32_e32 v55, v56, v53
	v_fma_f32 v52, -v52, v55, v54
	v_div_fmas_f32 v52, v52, v53, v55
	v_div_fixup_f32 v50, v52, v51, v50
	v_cvt_f64_f32_e32 v[50:51], v50
	v_add_f64 v[50:51], v[50:51], s[28:29]
	v_cvt_f32_f64_e32 v50, v[50:51]
	v_mul_f32_e32 v51, 0x4b800000, v50
	v_cmp_gt_f32_e32 vcc, s2, v50
	v_cndmask_b32_e32 v50, v50, v51, vcc
	v_rsq_f32_e32 v51, v50
	v_lshlrev_b32_e32 v50, 5, v0
	v_mul_f32_e32 v52, 0x45800000, v51
	v_cndmask_b32_e32 v52, v51, v52, vcc
	v_mov_b32_e32 v53, v52
	;;#ASMSTART
	v_pk_mul_f32 v[18:19], v[18:19], v[52:53]
	;;#ASMEND
	;;#ASMSTART
	v_pk_mul_f32 v[46:47], v[46:47], v[52:53]
	;;#ASMEND
	;; [unrolled: 3-line block ×11, first 2 shown]
	s_waitcnt vmcnt(7)
	v_cvt_f32_f16_sdwa v23, v14 dst_sel:DWORD dst_unused:UNUSED_PAD src0_sel:WORD_1
	v_cvt_f32_f16_e32 v22, v14
	v_cvt_f32_f16_sdwa v25, v15 dst_sel:DWORD dst_unused:UNUSED_PAD src0_sel:WORD_1
	v_cvt_f32_f16_e32 v24, v15
	;; [unrolled: 2-line block ×3, first 2 shown]
	;;#ASMSTART
	v_pk_mul_f32 v[44:45], v[44:45], v[52:53]
	;;#ASMEND
	;;#ASMSTART
	v_pk_mul_f32 v[42:43], v[42:43], v[52:53]
	;;#ASMEND
	;; [unrolled: 3-line block ×5, first 2 shown]
	v_cvt_f32_f16_sdwa v29, v17 dst_sel:DWORD dst_unused:UNUSED_PAD src0_sel:WORD_1
	v_cvt_f32_f16_e32 v28, v17
	;;#ASMSTART
	v_pk_mul_f32 v[32:33], v[18:19], v[22:23]
	;;#ASMEND
	;;#ASMSTART
	v_pk_mul_f32 v[30:31], v[46:47], v[24:25]
	;;#ASMEND
	;; [unrolled: 3-line block ×3, first 2 shown]
	s_waitcnt vmcnt(6)
	v_cvt_f32_f16_sdwa v15, v10 dst_sel:DWORD dst_unused:UNUSED_PAD src0_sel:WORD_1
	v_cvt_f32_f16_e32 v14, v10
	v_cvt_f32_f16_sdwa v17, v11 dst_sel:DWORD dst_unused:UNUSED_PAD src0_sel:WORD_1
	v_cvt_f32_f16_e32 v16, v11
	;; [unrolled: 2-line block ×3, first 2 shown]
	;;#ASMSTART
	v_pk_mul_f32 v[22:23], v[48:49], v[28:29]
	;;#ASMEND
	v_cvt_f32_f16_sdwa v19, v13 dst_sel:DWORD dst_unused:UNUSED_PAD src0_sel:WORD_1
	v_cvt_f32_f16_e32 v18, v13
	;;#ASMSTART
	v_pk_mul_f32 v[28:29], v[34:35], v[14:15]
	;;#ASMEND
	;;#ASMSTART
	v_pk_mul_f32 v[24:25], v[54:55], v[16:17]
	;;#ASMEND
	;; [unrolled: 3-line block ×3, first 2 shown]
	s_waitcnt vmcnt(5)
	v_cvt_f32_f16_sdwa v11, v6 dst_sel:DWORD dst_unused:UNUSED_PAD src0_sel:WORD_1
	v_cvt_f32_f16_e32 v10, v6
	v_cvt_f32_f16_sdwa v13, v7 dst_sel:DWORD dst_unused:UNUSED_PAD src0_sel:WORD_1
	v_cvt_f32_f16_e32 v12, v7
	;; [unrolled: 2-line block ×3, first 2 shown]
	v_cvt_f32_f16_e32 v34, v9
	;;#ASMSTART
	v_pk_mul_f32 v[16:17], v[58:59], v[18:19]
	;;#ASMEND
	v_cvt_f32_f16_sdwa v35, v9 dst_sel:DWORD dst_unused:UNUSED_PAD src0_sel:WORD_1
	;;#ASMSTART
	v_pk_mul_f32 v[18:19], v[60:61], v[10:11]
	;;#ASMEND
	;;#ASMSTART
	v_pk_mul_f32 v[14:15], v[62:63], v[12:13]
	;;#ASMEND
	;; [unrolled: 3-line block ×4, first 2 shown]
	s_waitcnt vmcnt(4)
	v_cvt_f32_f16_sdwa v9, v2 dst_sel:DWORD dst_unused:UNUSED_PAD src0_sel:WORD_1
	v_cvt_f32_f16_e32 v8, v2
	v_cvt_f32_f16_e32 v34, v3
	v_cvt_f32_f16_sdwa v35, v3 dst_sel:DWORD dst_unused:UNUSED_PAD src0_sel:WORD_1
	v_cvt_f32_f16_sdwa v3, v4 dst_sel:DWORD dst_unused:UNUSED_PAD src0_sel:WORD_1
	v_cvt_f32_f16_e32 v2, v4
	v_cvt_f32_f16_sdwa v45, v5 dst_sel:DWORD dst_unused:UNUSED_PAD src0_sel:WORD_1
	v_cvt_f32_f16_e32 v44, v5
	;;#ASMSTART
	v_pk_mul_f32 v[12:13], v[42:43], v[8:9]
	;;#ASMEND
	;;#ASMSTART
	v_pk_mul_f32 v[8:9], v[38:39], v[34:35]
	;;#ASMEND
	;; [unrolled: 3-line block ×3, first 2 shown]
	v_and_b32_e32 v34, 0x7fffffff, v32
	v_mov_b32_e32 v36, 0x2edbe6ff
	;;#ASMSTART
	v_pk_mul_f32 v[2:3], v[40:41], v[44:45]
	;;#ASMEND
	v_and_b32_e32 v35, 0x7fffffff, v33
	;;#ASMSTART
	v_max3_f32 v34, v36, v34, v35

	;;#ASMEND
	v_and_b32_e32 v36, 0x7fffffff, v31
	v_and_b32_e32 v35, 0x7fffffff, v30
	;;#ASMSTART
	v_max3_f32 v34, v34, v35, v36

	;;#ASMEND
	v_and_b32_e32 v36, 0x7fffffff, v27
	;; [unrolled: 6-line block ×15, first 2 shown]
	v_and_b32_e32 v35, 0x7fffffff, v2
	;;#ASMSTART
	v_max3_f32 v36, v34, v35, v36

	;;#ASMEND
	s_cbranch_scc0 .LBB23_10
; %bb.4:
	s_ashr_i32 s12, s14, 31
	s_lshr_b32 s2, s12, 27
	s_add_i32 s2, s14, s2
	s_ashr_i32 s10, s2, 5
	s_cmp_lt_i32 s10, 16
	s_cbranch_scc1 .LBB23_11
; %bb.5:
	s_cmp_lt_i32 s10, 32
	s_cbranch_scc1 .LBB23_12
; %bb.6:
	;; [unrolled: 3-line block ×3, first 2 shown]
	s_cmp_eq_u32 s10, 64
	v_mov_b32_e32 v34, v36
	s_cbranch_scc0 .LBB23_9
; %bb.8:
	s_nop 0
	v_mov_b32_dpp v34, v36 quad_perm:[1,0,3,2] row_mask:0xf bank_mask:0xf
	v_cmp_gt_f32_e32 vcc, v36, v34
	v_cndmask_b32_e32 v34, v34, v36, vcc
	v_bfrev_b32_e32 v37, 0.5
	s_nop 0
	v_mov_b32_dpp v35, v34 quad_perm:[2,3,0,1] row_mask:0xf bank_mask:0xf
	v_cmp_gt_f32_e32 vcc, v34, v35
	v_cndmask_b32_e32 v34, v35, v34, vcc
	s_nop 1
	v_mov_b32_dpp v35, v34 row_ror:4 row_mask:0xf bank_mask:0xf
	v_cmp_gt_f32_e32 vcc, v34, v35
	v_cndmask_b32_e32 v34, v35, v34, vcc
	s_nop 1
	v_mov_b32_dpp v35, v34 row_ror:8 row_mask:0xf bank_mask:0xf
	v_cmp_gt_f32_e32 vcc, v34, v35
	v_cndmask_b32_e32 v34, v35, v34, vcc
	s_nop 1
	v_mov_b32_dpp v35, v34 row_bcast:15 row_mask:0xf bank_mask:0xf
	v_cmp_gt_f32_e32 vcc, v34, v35
	v_cndmask_b32_e32 v34, v35, v34, vcc
	s_nop 1
	v_mov_b32_dpp v35, v34 row_bcast:31 row_mask:0xf bank_mask:0xf
	v_cmp_gt_f32_e32 vcc, v34, v35
	v_cndmask_b32_e32 v34, v35, v34, vcc
	v_mbcnt_lo_u32_b32 v35, -1, 0
	v_mbcnt_hi_u32_b32 v35, -1, v35
	v_lshl_or_b32 v35, v35, 2, v37
	ds_bpermute_b32 v34, v35, v34
.LBB23_9:
	s_mov_b64 s[2:3], 0
	s_branch .LBB23_14
.LBB23_10:
	s_mov_b64 s[2:3], 0
                                        ; implicit-def: $vgpr37
                                        ; implicit-def: $vgpr34_vgpr35
	s_cbranch_execnz .LBB23_43
	s_branch .LBB23_46
.LBB23_11:
                                        ; implicit-def: $vgpr34
	s_branch .LBB23_21
.LBB23_12:
                                        ; implicit-def: $vgpr34
	s_branch .LBB23_18
.LBB23_13:
	s_mov_b64 s[2:3], -1
                                        ; implicit-def: $vgpr34
.LBB23_14:
	s_andn2_b64 vcc, exec, s[2:3]
	s_cbranch_vccnz .LBB23_17
; %bb.15:
	s_cmp_eq_u32 s10, 32
	s_waitcnt lgkmcnt(0)
	v_mov_b32_e32 v34, v36
	s_cbranch_scc0 .LBB23_17
; %bb.16:
	s_nop 0
	v_mov_b32_dpp v34, v36 quad_perm:[1,0,3,2] row_mask:0xf bank_mask:0xf
	v_cmp_gt_f32_e32 vcc, v36, v34
	v_cndmask_b32_e32 v34, v34, v36, vcc
	v_mov_b32_e32 v37, 0x7c
	s_nop 0
	v_mov_b32_dpp v35, v34 quad_perm:[2,3,0,1] row_mask:0xf bank_mask:0xf
	v_cmp_gt_f32_e32 vcc, v34, v35
	v_cndmask_b32_e32 v34, v35, v34, vcc
	s_nop 1
	v_mov_b32_dpp v35, v34 row_half_mirror row_mask:0xf bank_mask:0xf
	v_cmp_gt_f32_e32 vcc, v34, v35
	v_cndmask_b32_e32 v34, v35, v34, vcc
	s_nop 1
	v_mov_b32_dpp v35, v34 row_mirror row_mask:0xf bank_mask:0xf
	v_cmp_gt_f32_e32 vcc, v34, v35
	v_cndmask_b32_e32 v34, v35, v34, vcc
	s_nop 1
	v_mov_b32_dpp v35, v34 row_bcast:15 row_mask:0xa bank_mask:0xf
	v_cmp_gt_f32_e32 vcc, v34, v35
	v_cndmask_b32_e32 v34, v35, v34, vcc
	v_mbcnt_lo_u32_b32 v35, -1, 0
	v_mbcnt_hi_u32_b32 v35, -1, v35
	v_lshl_or_b32 v35, v35, 2, v37
	ds_bpermute_b32 v34, v35, v34
.LBB23_17:
	s_cbranch_execnz .LBB23_20
.LBB23_18:
	s_cmp_eq_u32 s10, 16
	s_waitcnt lgkmcnt(0)
	v_mov_b32_e32 v34, v36
	s_cbranch_scc0 .LBB23_20
; %bb.19:
	s_nop 0
	v_mov_b32_dpp v34, v36 quad_perm:[1,0,3,2] row_mask:0xf bank_mask:0xf
	v_cmp_gt_f32_e32 vcc, v36, v34
	v_cndmask_b32_e32 v34, v34, v36, vcc
	s_nop 1
	v_mov_b32_dpp v35, v34 quad_perm:[2,3,0,1] row_mask:0xf bank_mask:0xf
	v_cmp_gt_f32_e32 vcc, v34, v35
	v_cndmask_b32_e32 v34, v35, v34, vcc
	s_nop 1
	v_mov_b32_dpp v35, v34 row_half_mirror row_mask:0xf bank_mask:0xf
	v_cmp_gt_f32_e32 vcc, v34, v35
	v_cndmask_b32_e32 v34, v35, v34, vcc
	s_nop 1
	v_mov_b32_dpp v35, v34 row_mirror row_mask:0xf bank_mask:0xf
	v_cmp_gt_f32_e32 vcc, v34, v35
	v_cndmask_b32_e32 v34, v35, v34, vcc
.LBB23_20:
	s_cbranch_execnz .LBB23_33
.LBB23_21:
	s_cmp_lt_i32 s10, 4
	s_cbranch_scc1 .LBB23_25
; %bb.22:
	s_cmp_lt_i32 s10, 8
	s_cbranch_scc1 .LBB23_26
; %bb.23:
	s_cmp_eq_u32 s10, 8
	s_waitcnt lgkmcnt(0)
	v_mov_b32_e32 v34, v36
	s_cbranch_scc0 .LBB23_27
; %bb.24:
	s_nop 0
	v_mov_b32_dpp v34, v36 quad_perm:[1,0,3,2] row_mask:0xf bank_mask:0xf
	v_cmp_gt_f32_e32 vcc, v36, v34
	v_cndmask_b32_e32 v34, v34, v36, vcc
	s_nop 1
	v_mov_b32_dpp v35, v34 quad_perm:[2,3,0,1] row_mask:0xf bank_mask:0xf
	v_cmp_gt_f32_e32 vcc, v34, v35
	v_cndmask_b32_e32 v34, v35, v34, vcc
	s_nop 1
	v_mov_b32_dpp v35, v34 row_half_mirror row_mask:0xf bank_mask:0xf
	v_cmp_gt_f32_e32 vcc, v34, v35
	v_cndmask_b32_e32 v34, v35, v34, vcc
	s_cbranch_execz .LBB23_28
	s_branch .LBB23_30
.LBB23_25:
                                        ; implicit-def: $vgpr34
	s_branch .LBB23_31
.LBB23_26:
                                        ; implicit-def: $vgpr34
	s_branch .LBB23_28
.LBB23_27:
	s_cbranch_execnz .LBB23_30
.LBB23_28:
	s_cmp_eq_u32 s10, 4
	s_waitcnt lgkmcnt(0)
	v_mov_b32_e32 v34, v36
	s_cbranch_scc0 .LBB23_30
; %bb.29:
	s_nop 0
	v_mov_b32_dpp v34, v36 quad_perm:[1,0,3,2] row_mask:0xf bank_mask:0xf
	v_cmp_gt_f32_e32 vcc, v36, v34
	v_cndmask_b32_e32 v34, v34, v36, vcc
	s_nop 1
	v_mov_b32_dpp v35, v34 quad_perm:[2,3,0,1] row_mask:0xf bank_mask:0xf
	v_cmp_gt_f32_e32 vcc, v34, v35
	v_cndmask_b32_e32 v34, v35, v34, vcc
.LBB23_30:
	s_cbranch_execnz .LBB23_33
.LBB23_31:
	s_cmp_lg_u32 s10, 2
	s_waitcnt lgkmcnt(0)
	v_mov_b32_e32 v34, v36
	s_cbranch_scc1 .LBB23_33
; %bb.32:
	s_nop 0
	v_mov_b32_dpp v34, v36 quad_perm:[1,0,3,2] row_mask:0xf bank_mask:0xf
	v_cmp_gt_f32_e32 vcc, v36, v34
	v_cndmask_b32_e32 v34, v34, v36, vcc
.LBB23_33:
	v_cvt_f32_u32_e32 v35, s10
	s_waitcnt lgkmcnt(0)
	v_mul_f32_e32 v37, 0x3b124925, v34
	s_sub_i32 s2, 0, s10
	v_cmp_gt_u32_e32 vcc, s9, v50
	v_rcp_iflag_f32_e32 v35, v35
	s_mov_b64 s[4:5], 0
	v_mul_f32_e32 v34, 0x4f7ffffe, v35
	v_cvt_u32_f32_e32 v34, v34
	v_mul_lo_u32 v35, s2, v34
	v_mul_hi_u32 v35, v34, v35
	v_add_u32_e32 v34, v34, v35
	v_mul_hi_u32 v34, v0, v34
	v_mul_lo_u32 v35, v34, s10
	v_sub_u32_e32 v35, v0, v35
	v_add_u32_e32 v38, 1, v34
	v_cmp_le_u32_e64 s[2:3], s10, v35
	v_cndmask_b32_e64 v34, v34, v38, s[2:3]
	v_subrev_u32_e32 v38, s10, v35
	v_cndmask_b32_e64 v35, v35, v38, s[2:3]
	v_add_u32_e32 v38, 1, v34
	v_cmp_le_u32_e64 s[2:3], s10, v35
	v_cndmask_b32_e64 v38, v34, v38, s[2:3]
	v_mul_lo_u32 v34, v38, s10
	v_sub_u32_e32 v34, v0, v34
	v_cmp_eq_u32_e64 s[2:3], 0, v34
	s_and_b64 s[10:11], s[2:3], vcc
	s_mov_b64 s[2:3], 0
                                        ; implicit-def: $vgpr34_vgpr35
	s_and_saveexec_b64 s[18:19], s[10:11]
	s_xor_b64 s[10:11], exec, s[18:19]
	s_cbranch_execz .LBB23_42
; %bb.34:
	s_bitcmp0_b32 s15, 0
	s_cbranch_scc0 .LBB23_39
; %bb.35:
	s_ashr_i32 s2, s9, 31
	s_mul_hi_u32 s3, s9, s6
	s_mul_i32 s2, s2, s6
	s_add_i32 s19, s3, s2
	s_mul_i32 s18, s9, s6
	s_mov_b32 s15, s12
	s_or_b64 s[2:3], s[18:19], s[14:15]
	s_mov_b32 s2, 0
	s_cmp_lg_u64 s[2:3], 0
	s_cbranch_scc0 .LBB23_50
; %bb.36:
	s_add_u32 s2, s14, s15
	s_mov_b32 s24, s15
	s_mov_b32 s25, s15
	s_addc_u32 s3, s15, s15
	s_xor_b64 s[26:27], s[2:3], s[24:25]
	v_cvt_f32_u32_e32 v34, s26
	v_cvt_f32_u32_e32 v35, s27
	s_sub_u32 s2, 0, s26
	s_subb_u32 s3, 0, s27
	v_madmk_f32 v34, v35, 0x4f800000, v34
	v_rcp_f32_e32 v34, v34
	v_mul_f32_e32 v34, 0x5f7ffffc, v34
	v_mul_f32_e32 v35, 0x2f800000, v34
	v_trunc_f32_e32 v35, v35
	v_madmk_f32 v34, v35, 0xcf800000, v34
	v_cvt_u32_f32_e32 v35, v35
	v_cvt_u32_f32_e32 v34, v34
	v_readfirstlane_b32 s12, v35
	v_readfirstlane_b32 s15, v34
	s_mul_i32 s28, s2, s12
	s_mul_hi_u32 s30, s2, s15
	s_mul_i32 s29, s3, s15
	s_add_i32 s28, s30, s28
	s_add_i32 s28, s28, s29
	s_mul_i32 s31, s2, s15
	s_mul_hi_u32 s29, s15, s28
	s_mul_i32 s30, s15, s28
	s_mul_hi_u32 s15, s15, s31
	s_add_u32 s15, s15, s30
	s_addc_u32 s29, 0, s29
	s_mul_hi_u32 s33, s12, s31
	s_mul_i32 s31, s12, s31
	s_add_u32 s15, s15, s31
	s_mul_hi_u32 s30, s12, s28
	s_addc_u32 s15, s29, s33
	s_addc_u32 s29, s30, 0
	s_mul_i32 s28, s12, s28
	s_add_u32 s15, s15, s28
	s_addc_u32 s28, 0, s29
	v_add_co_u32_e32 v34, vcc, s15, v34
	s_cmp_lg_u64 vcc, 0
	s_addc_u32 s12, s12, s28
	v_readfirstlane_b32 s28, v34
	s_mul_i32 s15, s2, s12
	s_mul_hi_u32 s29, s2, s28
	s_add_i32 s15, s29, s15
	s_mul_i32 s3, s3, s28
	s_add_i32 s15, s15, s3
	s_mul_i32 s2, s2, s28
	s_mul_hi_u32 s29, s12, s2
	s_mul_i32 s30, s12, s2
	s_mul_i32 s33, s28, s15
	s_mul_hi_u32 s2, s28, s2
	s_mul_hi_u32 s31, s28, s15
	s_add_u32 s2, s2, s33
	s_addc_u32 s28, 0, s31
	s_add_u32 s2, s2, s30
	s_mul_hi_u32 s3, s12, s15
	s_addc_u32 s2, s28, s29
	s_addc_u32 s3, s3, 0
	s_mul_i32 s15, s12, s15
	s_add_u32 s2, s2, s15
	s_addc_u32 s3, 0, s3
	v_add_co_u32_e32 v34, vcc, s2, v34
	s_cmp_lg_u64 vcc, 0
	s_addc_u32 s12, s12, s3
	s_ashr_i32 s28, s19, 31
	s_add_u32 s2, s18, s28
	s_mov_b32 s29, s28
	s_addc_u32 s3, s19, s28
	s_xor_b64 s[30:31], s[2:3], s[28:29]
	v_readfirstlane_b32 s15, v34
	s_mul_i32 s3, s30, s12
	s_mul_hi_u32 s19, s30, s15
	s_mul_hi_u32 s2, s30, s12
	s_add_u32 s3, s19, s3
	s_addc_u32 s2, 0, s2
	s_mul_hi_u32 s33, s31, s15
	s_mul_i32 s15, s31, s15
	s_add_u32 s3, s3, s15
	s_mul_hi_u32 s19, s31, s12
	s_addc_u32 s2, s2, s33
	s_addc_u32 s3, s19, 0
	s_mul_i32 s12, s31, s12
	s_add_u32 s12, s2, s12
	s_addc_u32 s15, 0, s3
	s_mul_i32 s2, s26, s15
	s_mul_hi_u32 s3, s26, s12
	s_add_i32 s2, s3, s2
	s_mul_i32 s3, s27, s12
	s_add_i32 s19, s2, s3
	s_mul_i32 s3, s26, s12
	v_mov_b32_e32 v34, s3
	s_sub_i32 s2, s31, s19
	v_sub_co_u32_e32 v34, vcc, s30, v34
	s_cmp_lg_u64 vcc, 0
	s_subb_u32 s30, s2, s27
	v_subrev_co_u32_e64 v35, s[2:3], s26, v34
	s_cmp_lg_u64 s[2:3], 0
	s_subb_u32 s30, s30, 0
	s_cmp_ge_u32 s30, s27
	s_cselect_b32 s33, -1, 0
	v_cmp_le_u32_e64 s[2:3], s26, v35
	s_cmp_eq_u32 s30, s27
	v_cndmask_b32_e64 v35, 0, -1, s[2:3]
	v_mov_b32_e32 v39, s33
	s_cselect_b64 s[2:3], -1, 0
	v_cndmask_b32_e64 v35, v39, v35, s[2:3]
	s_add_u32 s2, s12, 1
	s_addc_u32 s30, s15, 0
	s_add_u32 s3, s12, 2
	s_addc_u32 s33, s15, 0
	v_mov_b32_e32 v39, s2
	v_mov_b32_e32 v40, s3
	v_cmp_ne_u32_e64 s[2:3], 0, v35
	v_cndmask_b32_e64 v35, v39, v40, s[2:3]
	v_mov_b32_e32 v39, s30
	v_mov_b32_e32 v40, s33
	s_cmp_lg_u64 vcc, 0
	v_cndmask_b32_e64 v39, v39, v40, s[2:3]
	s_subb_u32 s2, s31, s19
	s_cmp_ge_u32 s2, s27
	s_cselect_b32 s3, -1, 0
	v_cmp_le_u32_e32 vcc, s26, v34
	s_cmp_eq_u32 s2, s27
	v_cndmask_b32_e64 v34, 0, -1, vcc
	v_mov_b32_e32 v40, s3
	s_cselect_b64 vcc, -1, 0
	v_cndmask_b32_e32 v34, v40, v34, vcc
	v_mov_b32_e32 v40, s15
	v_cmp_ne_u32_e32 vcc, 0, v34
	v_cndmask_b32_e32 v34, v40, v39, vcc
	v_mov_b32_e32 v39, s12
	v_cndmask_b32_e32 v35, v39, v35, vcc
	s_xor_b64 s[2:3], s[28:29], s[24:25]
	v_xor_b32_e32 v35, s2, v35
	v_xor_b32_e32 v39, s3, v34
	v_mov_b32_e32 v40, s3
	v_subrev_co_u32_e32 v34, vcc, s2, v35
	v_subb_co_u32_e32 v35, vcc, v39, v40, vcc
	s_cbranch_execnz .LBB23_38
.LBB23_37:
	v_cvt_f32_u32_e32 v34, s14
	s_sub_i32 s2, 0, s14
	s_mov_b32 s3, 0
	v_rcp_iflag_f32_e32 v34, v34
	v_mul_f32_e32 v34, 0x4f7ffffe, v34
	v_cvt_u32_f32_e32 v34, v34
	v_readfirstlane_b32 s12, v34
	s_mul_i32 s2, s2, s12
	s_mul_hi_u32 s2, s12, s2
	s_add_i32 s12, s12, s2
	s_mul_hi_u32 s2, s18, s12
	s_mul_i32 s15, s2, s14
	s_sub_i32 s15, s18, s15
	s_add_i32 s12, s2, 1
	s_sub_i32 s18, s15, s14
	s_cmp_ge_u32 s15, s14
	s_cselect_b32 s2, s12, s2
	s_cselect_b32 s15, s18, s15
	s_add_i32 s12, s2, 1
	s_cmp_ge_u32 s15, s14
	s_cselect_b32 s2, s12, s2
	v_pk_mov_b32 v[34:35], s[2:3], s[2:3] op_sel:[0,1]
.LBB23_38:
	v_add_co_u32_e32 v34, vcc, v34, v38
	v_addc_co_u32_e32 v35, vcc, 0, v35, vcc
	s_branch .LBB23_41
.LBB23_39:
                                        ; implicit-def: $vgpr34_vgpr35
	s_cbranch_execz .LBB23_41
; %bb.40:
	v_mul_lo_u32 v34, v38, s8
	v_ashrrev_i32_e32 v35, 31, v34
	v_mov_b32_e32 v38, s7
	v_add_co_u32_e32 v34, vcc, s6, v34
	v_addc_co_u32_e32 v35, vcc, v35, v38, vcc
.LBB23_41:
	s_mov_b64 s[2:3], exec
.LBB23_42:
	s_or_b64 exec, exec, s[10:11]
	s_and_b64 vcc, exec, s[4:5]
	s_cbranch_vccz .LBB23_46
.LBB23_43:
	v_mov_b32_dpp v34, v36 quad_perm:[1,0,3,2] row_mask:0xf bank_mask:0xf
	v_cmp_gt_f32_e32 vcc, v36, v34
	v_cndmask_b32_e32 v34, v34, v36, vcc
	s_nop 1
	v_mov_b32_dpp v35, v34 quad_perm:[2,3,0,1] row_mask:0xf bank_mask:0xf
	v_cmp_gt_f32_e32 vcc, v34, v35
	v_cndmask_b32_e32 v34, v35, v34, vcc
	s_nop 1
	v_mov_b32_dpp v35, v34 row_half_mirror row_mask:0xf bank_mask:0xf
	v_cmp_gt_f32_e32 vcc, v34, v35
	v_cndmask_b32_e32 v34, v35, v34, vcc
	s_nop 1
	v_mov_b32_dpp v35, v34 row_mirror row_mask:0xf bank_mask:0xf
	v_cmp_gt_f32_e32 vcc, v34, v35
	v_cndmask_b32_e32 v34, v35, v34, vcc
	s_nop 1
	v_mov_b32_dpp v35, v34 row_bcast:15 row_mask:0xf bank_mask:0xf
	v_cmp_gt_f32_e32 vcc, v34, v35
	v_cndmask_b32_e32 v34, v35, v34, vcc
	s_nop 1
	v_mov_b32_dpp v35, v34 row_bcast:31 row_mask:0xf bank_mask:0xf
	s_and_saveexec_b64 s[2:3], s[0:1]
	s_cbranch_execz .LBB23_45
; %bb.44:
	v_lshrrev_b32_e32 v36, 4, v0
	v_cmp_gt_f32_e32 vcc, v34, v35
	v_and_b32_e32 v36, 60, v36
	v_cndmask_b32_e32 v34, v35, v34, vcc
	ds_write_b32 v36, v34
.LBB23_45:
	s_or_b64 exec, exec, s[2:3]
	s_waitcnt lgkmcnt(0)
	s_barrier
	ds_read_b32 v1, v1
	v_cmp_eq_u32_e64 s[2:3], 0, v0
	s_waitcnt lgkmcnt(0)
	v_mov_b32_dpp v34, v1 quad_perm:[1,0,3,2] row_mask:0xf bank_mask:0xf
	v_cmp_gt_f32_e32 vcc, v1, v34
	v_cndmask_b32_e32 v1, v34, v1, vcc
	s_nop 1
	v_mov_b32_dpp v34, v1 quad_perm:[2,3,0,1] row_mask:0xf bank_mask:0xf
	v_cmp_gt_f32_e32 vcc, v1, v34
	v_cndmask_b32_e32 v1, v34, v1, vcc
	v_mul_f32_e32 v37, 0x3b124925, v1
	v_pk_mov_b32 v[34:35], s[6:7], s[6:7] op_sel:[0,1]
.LBB23_46:
	s_and_saveexec_b64 s[0:1], s[2:3]
	s_cbranch_execz .LBB23_48
; %bb.47:
	v_lshlrev_b64 v[0:1], 2, v[34:35]
	v_mov_b32_e32 v34, s21
	v_add_co_u32_e32 v0, vcc, s20, v0
	v_addc_co_u32_e32 v1, vcc, v34, v1, vcc
	global_store_dword v[0:1], v37, off
.LBB23_48:
	s_or_b64 exec, exec, s[0:1]
	s_add_i32 s0, s9, 3
	s_ashr_i32 s1, s0, 31
	;;#ASMSTART
	v_rcp_f32 v0, v37
	;;#ASMEND
	v_mov_b32_e32 v1, v0
	;;#ASMSTART
	v_pk_mul_f32 v[32:33], v[32:33], v[0:1]
	;;#ASMEND
	s_lshr_b32 s1, s1, 30
	v_mov_b32_e32 v34, 0xc3e00000
	v_mov_b32_e32 v35, 0x43e00000
	;;#ASMSTART
	v_med3_f32 v32, v32, v34, v35
v_med3_f32 v33, v33, v34, v35
v_cvt_pk_fp8_f32 v36, v32, v33
	;;#ASMEND
	;;#ASMSTART
	v_pk_mul_f32 v[30:31], v[30:31], v[0:1]
	;;#ASMEND
	s_add_i32 s0, s0, s1
	;;#ASMSTART
	v_med3_f32 v30, v30, v34, v35
v_med3_f32 v31, v31, v34, v35
v_cvt_pk_fp8_f32 v32, v30, v31
	;;#ASMEND
	;;#ASMSTART
	v_pk_mul_f32 v[26:27], v[26:27], v[0:1]
	;;#ASMEND
	s_and_b32 s2, s0, -4
	s_ashr_i32 s0, s13, 31
	;;#ASMSTART
	v_med3_f32 v26, v26, v34, v35
v_med3_f32 v27, v27, v34, v35
v_cvt_pk_fp8_f32 v31, v26, v27
	;;#ASMEND
	;;#ASMSTART
	v_pk_mul_f32 v[22:23], v[22:23], v[0:1]
	;;#ASMEND
	s_mul_hi_u32 s1, s13, s6
	s_mul_i32 s0, s0, s6
	;;#ASMSTART
	v_med3_f32 v22, v22, v34, v35
v_med3_f32 v23, v23, v34, v35
v_cvt_pk_fp8_f32 v26, v22, v23
	;;#ASMEND
	s_add_i32 s1, s1, s0
	s_mul_i32 s0, s13, s6
	s_mov_b32 s6, 0x1000504
	;;#ASMSTART
	v_pk_mul_f32 v[22:23], v[28:29], v[0:1]
	;;#ASMEND
	v_perm_b32 v31, v31, v26, s6
	;;#ASMSTART
	v_med3_f32 v22, v22, v34, v35
v_med3_f32 v23, v23, v34, v35
v_cvt_pk_fp8_f32 v26, v22, v23
	;;#ASMEND
	;;#ASMSTART
	v_pk_mul_f32 v[22:23], v[24:25], v[0:1]
	;;#ASMEND
	s_add_u32 s0, s16, s0
	s_mov_b32 s4, 0x5040100
	;;#ASMSTART
	v_med3_f32 v22, v22, v34, v35
v_med3_f32 v23, v23, v34, v35
v_cvt_pk_fp8_f32 v24, v22, v23
	;;#ASMEND
	;;#ASMSTART
	v_pk_mul_f32 v[20:21], v[20:21], v[0:1]
	;;#ASMEND
	s_addc_u32 s1, s17, s1
	v_perm_b32 v30, v32, v36, s4
	s_mov_b32 s5, 0x1060504
	;;#ASMSTART
	v_med3_f32 v20, v20, v34, v35
v_med3_f32 v21, v21, v34, v35
v_cvt_pk_fp8_f32 v22, v20, v21
	;;#ASMEND
	;;#ASMSTART
	v_pk_mul_f32 v[16:17], v[16:17], v[0:1]
	;;#ASMEND
	s_and_b32 s1, s1, 0xffff
	s_mov_b32 s3, 0x20000
	v_perm_b32 v30, v30, v32, s5
	v_perm_b32 v32, v26, v24, s6
	;;#ASMSTART
	v_med3_f32 v16, v16, v34, v35
v_med3_f32 v17, v17, v34, v35
v_cvt_pk_fp8_f32 v20, v16, v17
	;;#ASMEND
	v_perm_b32 v33, v22, v20, s6
	buffer_store_dwordx4 v[30:33], v50, s[0:3], 0 offen
	;;#ASMSTART
	s_nop 0
	;;#ASMEND
	;;#ASMSTART
	v_pk_mul_f32 v[16:17], v[18:19], v[0:1]
	;;#ASMEND
	;;#ASMSTART
	v_med3_f32 v16, v16, v34, v35
v_med3_f32 v17, v17, v34, v35
v_cvt_pk_fp8_f32 v18, v16, v17
	;;#ASMEND
	;;#ASMSTART
	v_pk_mul_f32 v[14:15], v[14:15], v[0:1]
	;;#ASMEND
	;;#ASMSTART
	v_med3_f32 v14, v14, v34, v35
v_med3_f32 v15, v15, v34, v35
v_cvt_pk_fp8_f32 v16, v14, v15
	;; [unrolled: 8-line block ×4, first 2 shown]
	;;#ASMEND
	;;#ASMSTART
	v_pk_mul_f32 v[6:7], v[12:13], v[0:1]
	;;#ASMEND
	v_perm_b32 v15, v15, v10, s6
	;;#ASMSTART
	v_med3_f32 v6, v6, v34, v35
v_med3_f32 v7, v7, v34, v35
v_cvt_pk_fp8_f32 v10, v6, v7
	;;#ASMEND
	;;#ASMSTART
	v_pk_mul_f32 v[6:7], v[8:9], v[0:1]
	;;#ASMEND
	;;#ASMSTART
	v_med3_f32 v6, v6, v34, v35
v_med3_f32 v7, v7, v34, v35
v_cvt_pk_fp8_f32 v8, v6, v7
	;;#ASMEND
	;;#ASMSTART
	v_pk_mul_f32 v[4:5], v[4:5], v[0:1]
	;;#ASMEND
	v_perm_b32 v14, v16, v18, s4
	;;#ASMSTART
	v_med3_f32 v4, v4, v34, v35
v_med3_f32 v5, v5, v34, v35
v_cvt_pk_fp8_f32 v6, v4, v5
	;;#ASMEND
	;;#ASMSTART
	v_pk_mul_f32 v[0:1], v[2:3], v[0:1]
	;;#ASMEND
	v_perm_b32 v14, v14, v16, s5
	v_perm_b32 v16, v10, v8, s6
	;;#ASMSTART
	v_med3_f32 v0, v0, v34, v35
v_med3_f32 v1, v1, v34, v35
v_cvt_pk_fp8_f32 v2, v0, v1
	;;#ASMEND
	v_perm_b32 v17, v6, v2, s6
	buffer_store_dwordx4 v[14:17], v50, s[0:3], 16 offen
	;;#ASMSTART
	s_nop 0
	;;#ASMEND
.LBB23_49:
	s_endpgm
.LBB23_50:
                                        ; implicit-def: $vgpr34_vgpr35
	s_branch .LBB23_37
	.section	.rodata,"a",@progbits
	.p2align	6, 0x0
	.amdhsa_kernel _ZN5aiter24add_rmsnorm_quant_kernelIDF16_DB8_Li256ELi32ELb1ELb1ELb0ELi1EEEvPT0_PT_PfS5_S5_S5_diiiiiiib
		.amdhsa_group_segment_fixed_size 32
		.amdhsa_private_segment_fixed_size 0
		.amdhsa_kernarg_size 88
		.amdhsa_user_sgpr_count 6
		.amdhsa_user_sgpr_private_segment_buffer 1
		.amdhsa_user_sgpr_dispatch_ptr 0
		.amdhsa_user_sgpr_queue_ptr 0
		.amdhsa_user_sgpr_kernarg_segment_ptr 1
		.amdhsa_user_sgpr_dispatch_id 0
		.amdhsa_user_sgpr_flat_scratch_init 0
		.amdhsa_user_sgpr_kernarg_preload_length 0
		.amdhsa_user_sgpr_kernarg_preload_offset 0
		.amdhsa_user_sgpr_private_segment_size 0
		.amdhsa_uses_dynamic_stack 0
		.amdhsa_system_sgpr_private_segment_wavefront_offset 0
		.amdhsa_system_sgpr_workgroup_id_x 1
		.amdhsa_system_sgpr_workgroup_id_y 0
		.amdhsa_system_sgpr_workgroup_id_z 0
		.amdhsa_system_sgpr_workgroup_info 0
		.amdhsa_system_vgpr_workitem_id 0
		.amdhsa_next_free_vgpr 72
		.amdhsa_next_free_sgpr 40
		.amdhsa_accum_offset 72
		.amdhsa_reserve_vcc 1
		.amdhsa_reserve_flat_scratch 0
		.amdhsa_float_round_mode_32 0
		.amdhsa_float_round_mode_16_64 0
		.amdhsa_float_denorm_mode_32 3
		.amdhsa_float_denorm_mode_16_64 3
		.amdhsa_dx10_clamp 1
		.amdhsa_ieee_mode 1
		.amdhsa_fp16_overflow 0
		.amdhsa_tg_split 0
		.amdhsa_exception_fp_ieee_invalid_op 0
		.amdhsa_exception_fp_denorm_src 0
		.amdhsa_exception_fp_ieee_div_zero 0
		.amdhsa_exception_fp_ieee_overflow 0
		.amdhsa_exception_fp_ieee_underflow 0
		.amdhsa_exception_fp_ieee_inexact 0
		.amdhsa_exception_int_div_zero 0
	.end_amdhsa_kernel
	.section	.text._ZN5aiter24add_rmsnorm_quant_kernelIDF16_DB8_Li256ELi32ELb1ELb1ELb0ELi1EEEvPT0_PT_PfS5_S5_S5_diiiiiiib,"axG",@progbits,_ZN5aiter24add_rmsnorm_quant_kernelIDF16_DB8_Li256ELi32ELb1ELb1ELb0ELi1EEEvPT0_PT_PfS5_S5_S5_diiiiiiib,comdat
.Lfunc_end23:
	.size	_ZN5aiter24add_rmsnorm_quant_kernelIDF16_DB8_Li256ELi32ELb1ELb1ELb0ELi1EEEvPT0_PT_PfS5_S5_S5_diiiiiiib, .Lfunc_end23-_ZN5aiter24add_rmsnorm_quant_kernelIDF16_DB8_Li256ELi32ELb1ELb1ELb0ELi1EEEvPT0_PT_PfS5_S5_S5_diiiiiiib
                                        ; -- End function
	.section	.AMDGPU.csdata,"",@progbits
; Kernel info:
; codeLenInByte = 5352
; NumSgprs: 44
; NumVgprs: 72
; NumAgprs: 0
; TotalNumVgprs: 72
; ScratchSize: 0
; MemoryBound: 0
; FloatMode: 240
; IeeeMode: 1
; LDSByteSize: 32 bytes/workgroup (compile time only)
; SGPRBlocks: 5
; VGPRBlocks: 8
; NumSGPRsForWavesPerEU: 44
; NumVGPRsForWavesPerEU: 72
; AccumOffset: 72
; Occupancy: 7
; WaveLimiterHint : 0
; COMPUTE_PGM_RSRC2:SCRATCH_EN: 0
; COMPUTE_PGM_RSRC2:USER_SGPR: 6
; COMPUTE_PGM_RSRC2:TRAP_HANDLER: 0
; COMPUTE_PGM_RSRC2:TGID_X_EN: 1
; COMPUTE_PGM_RSRC2:TGID_Y_EN: 0
; COMPUTE_PGM_RSRC2:TGID_Z_EN: 0
; COMPUTE_PGM_RSRC2:TIDIG_COMP_CNT: 0
; COMPUTE_PGM_RSRC3_GFX90A:ACCUM_OFFSET: 17
; COMPUTE_PGM_RSRC3_GFX90A:TG_SPLIT: 0
	.section	.text._ZN5aiter24add_rmsnorm_quant_kernelItDB8_Li256ELi32ELb1ELb1ELb0ELi1EEEvPT0_PT_PfS5_S5_S5_diiiiiiib,"axG",@progbits,_ZN5aiter24add_rmsnorm_quant_kernelItDB8_Li256ELi32ELb1ELb1ELb0ELi1EEEvPT0_PT_PfS5_S5_S5_diiiiiiib,comdat
	.protected	_ZN5aiter24add_rmsnorm_quant_kernelItDB8_Li256ELi32ELb1ELb1ELb0ELi1EEEvPT0_PT_PfS5_S5_S5_diiiiiiib ; -- Begin function _ZN5aiter24add_rmsnorm_quant_kernelItDB8_Li256ELi32ELb1ELb1ELb0ELi1EEEvPT0_PT_PfS5_S5_S5_diiiiiiib
	.globl	_ZN5aiter24add_rmsnorm_quant_kernelItDB8_Li256ELi32ELb1ELb1ELb0ELi1EEEvPT0_PT_PfS5_S5_S5_diiiiiiib
	.p2align	8
	.type	_ZN5aiter24add_rmsnorm_quant_kernelItDB8_Li256ELi32ELb1ELb1ELb0ELi1EEEvPT0_PT_PfS5_S5_S5_diiiiiiib,@function
_ZN5aiter24add_rmsnorm_quant_kernelItDB8_Li256ELi32ELb1ELb1ELb0ELi1EEEvPT0_PT_PfS5_S5_S5_diiiiiiib: ; @_ZN5aiter24add_rmsnorm_quant_kernelItDB8_Li256ELi32ELb1ELb1ELb0ELi1EEEvPT0_PT_PfS5_S5_S5_diiiiiiib
; %bb.0:
	s_load_dwordx8 s[8:15], s[4:5], 0x38
	s_mov_b32 s7, 0
	s_waitcnt lgkmcnt(0)
	s_ashr_i32 s0, s8, 31
	v_mov_b32_e32 v2, s8
	v_mov_b32_e32 v3, s0
	v_cmp_ge_i64_e32 vcc, s[6:7], v[2:3]
	s_cbranch_vccnz .LBB24_49
; %bb.1:
	s_load_dwordx8 s[16:23], s[4:5], 0x0
	s_ashr_i32 s0, s10, 31
	s_mul_hi_u32 s1, s10, s6
	s_mul_i32 s0, s0, s6
	s_add_i32 s1, s1, s0
	s_mul_i32 s0, s10, s6
	s_lshl_b64 s[0:1], s[0:1], 1
	s_waitcnt lgkmcnt(0)
	s_add_u32 s0, s22, s0
	s_addc_u32 s1, s23, s1
	s_add_i32 s2, s9, 1
	s_lshr_b32 s3, s2, 31
	s_add_i32 s2, s2, s3
	s_lshl_b32 s2, s2, 1
	s_load_dwordx8 s[24:31], s[4:5], 0x20
	s_and_b32 s2, s2, -4
	s_and_b32 s1, s1, 0xffff
	s_mov_b32 s3, 0x20000
	v_lshlrev_b32_e32 v1, 6, v0
	buffer_load_dwordx4 v[26:29], v1, s[0:3], 16 offen
	buffer_load_dwordx4 v[30:33], v1, s[0:3], 32 offen
	;; [unrolled: 1-line block ×4, first 2 shown]
	s_ashr_i32 s0, s11, 31
	s_mul_hi_u32 s5, s11, s6
	s_mul_i32 s0, s0, s6
	s_mul_i32 s4, s11, s6
	s_add_i32 s5, s5, s0
	s_waitcnt lgkmcnt(0)
	s_and_b32 s37, s27, 0xffff
	s_lshl_b64 s[0:1], s[4:5], 1
	s_add_u32 s0, s24, s0
	s_addc_u32 s1, s25, s1
	s_and_b32 s1, s1, 0xffff
	buffer_load_dwordx4 v[22:25], v1, s[0:3], 16 offen
	buffer_load_dwordx4 v[10:13], v1, s[0:3], 32 offen
	;; [unrolled: 1-line block ×4, first 2 shown]
	s_mov_b32 s39, s3
	s_mov_b32 s36, s26
	;; [unrolled: 1-line block ×3, first 2 shown]
	s_ashr_i32 s0, s12, 31
	s_mul_hi_u32 s1, s12, s6
	s_mul_i32 s0, s0, s6
	s_add_i32 s1, s1, s0
	s_mul_i32 s0, s12, s6
	s_lshl_b64 s[0:1], s[0:1], 1
	s_add_u32 s0, s18, s0
	s_addc_u32 s1, s19, s1
	s_mov_b32 s4, 0x7060302
	s_and_b32 s1, s1, 0xffff
	s_waitcnt vmcnt(7)
	v_cvt_f32_u32_sdwa v35, v26 dst_sel:DWORD dst_unused:UNUSED_PAD src0_sel:WORD_1
	v_cvt_f32_u32_sdwa v34, v26 dst_sel:DWORD dst_unused:UNUSED_PAD src0_sel:WORD_0
	v_cvt_f32_u32_sdwa v37, v27 dst_sel:DWORD dst_unused:UNUSED_PAD src0_sel:WORD_1
	v_cvt_f32_u32_sdwa v36, v27 dst_sel:DWORD dst_unused:UNUSED_PAD src0_sel:WORD_0
	;; [unrolled: 2-line block ×4, first 2 shown]
	s_waitcnt vmcnt(6)
	v_cvt_f32_u32_sdwa v29, v30 dst_sel:DWORD dst_unused:UNUSED_PAD src0_sel:WORD_1
	v_cvt_f32_u32_sdwa v28, v30 dst_sel:DWORD dst_unused:UNUSED_PAD src0_sel:WORD_0
	v_cvt_f32_u32_sdwa v41, v31 dst_sel:DWORD dst_unused:UNUSED_PAD src0_sel:WORD_1
	s_waitcnt vmcnt(3)
	v_cvt_f32_u32_sdwa v53, v24 dst_sel:DWORD dst_unused:UNUSED_PAD src0_sel:WORD_1
	v_cvt_f32_u32_sdwa v52, v24 dst_sel:DWORD dst_unused:UNUSED_PAD src0_sel:WORD_0
	v_cvt_f32_u32_sdwa v40, v31 dst_sel:DWORD dst_unused:UNUSED_PAD src0_sel:WORD_0
	v_cvt_f32_u32_sdwa v43, v32 dst_sel:DWORD dst_unused:UNUSED_PAD src0_sel:WORD_1
	v_cvt_f32_u32_sdwa v42, v32 dst_sel:DWORD dst_unused:UNUSED_PAD src0_sel:WORD_0
	v_cvt_f32_u32_sdwa v45, v33 dst_sel:DWORD dst_unused:UNUSED_PAD src0_sel:WORD_1
	;; [unrolled: 2-line block ×7, first 2 shown]
	v_cvt_f32_u32_sdwa v54, v25 dst_sel:DWORD dst_unused:UNUSED_PAD src0_sel:WORD_0
	s_waitcnt vmcnt(2)
	v_cvt_f32_u32_sdwa v57, v10 dst_sel:DWORD dst_unused:UNUSED_PAD src0_sel:WORD_1
	v_cvt_f32_u32_sdwa v56, v10 dst_sel:DWORD dst_unused:UNUSED_PAD src0_sel:WORD_0
	v_cvt_f32_u32_sdwa v59, v11 dst_sel:DWORD dst_unused:UNUSED_PAD src0_sel:WORD_1
	v_cvt_f32_u32_sdwa v58, v11 dst_sel:DWORD dst_unused:UNUSED_PAD src0_sel:WORD_0
	;; [unrolled: 2-line block ×4, first 2 shown]
	v_pk_add_f32 v[26:27], v[26:27], v[52:53]
	s_waitcnt vmcnt(1)
	v_cvt_f32_u32_sdwa v53, v19 dst_sel:DWORD dst_unused:UNUSED_PAD src0_sel:WORD_1
	v_cvt_f32_u32_sdwa v52, v19 dst_sel:DWORD dst_unused:UNUSED_PAD src0_sel:WORD_0
	v_cvt_f32_u32_sdwa v49, v4 dst_sel:DWORD dst_unused:UNUSED_PAD src0_sel:WORD_1
	v_cvt_f32_u32_sdwa v48, v4 dst_sel:DWORD dst_unused:UNUSED_PAD src0_sel:WORD_0
	;; [unrolled: 2-line block ×3, first 2 shown]
	v_pk_add_f32 v[22:23], v[34:35], v[2:3]
	buffer_load_dwordx4 v[10:13], v1, s[36:39], 0 offen
	buffer_load_dwordx4 v[2:5], v1, s[36:39], 16 offen
	v_pk_add_f32 v[24:25], v[36:37], v[30:31]
	v_pk_add_f32 v[30:31], v[38:39], v[54:55]
	;; [unrolled: 1-line block ×7, first 2 shown]
	v_cvt_f32_u32_sdwa v43, v6 dst_sel:DWORD dst_unused:UNUSED_PAD src0_sel:WORD_1
	v_cvt_f32_u32_sdwa v42, v6 dst_sel:DWORD dst_unused:UNUSED_PAD src0_sel:WORD_0
	s_waitcnt vmcnt(2)
	v_cvt_f32_u32_sdwa v45, v14 dst_sel:DWORD dst_unused:UNUSED_PAD src0_sel:WORD_1
	v_cvt_f32_u32_sdwa v44, v14 dst_sel:DWORD dst_unused:UNUSED_PAD src0_sel:WORD_0
	v_cvt_f32_u32_sdwa v47, v7 dst_sel:DWORD dst_unused:UNUSED_PAD src0_sel:WORD_1
	v_cvt_f32_u32_sdwa v46, v7 dst_sel:DWORD dst_unused:UNUSED_PAD src0_sel:WORD_0
	;; [unrolled: 2-line block ×7, first 2 shown]
	buffer_load_dwordx4 v[14:17], v1, s[36:39], 32 offen
	buffer_load_dwordx4 v[6:9], v1, s[36:39], 48 offen
	v_cvt_f32_u32_sdwa v65, v18 dst_sel:DWORD dst_unused:UNUSED_PAD src0_sel:WORD_1
	v_cvt_f32_u32_sdwa v64, v18 dst_sel:DWORD dst_unused:UNUSED_PAD src0_sel:WORD_0
	v_cvt_f32_u32_sdwa v19, v20 dst_sel:DWORD dst_unused:UNUSED_PAD src0_sel:WORD_1
	v_cvt_f32_u32_sdwa v18, v20 dst_sel:DWORD dst_unused:UNUSED_PAD src0_sel:WORD_0
	;; [unrolled: 2-line block ×3, first 2 shown]
	v_pk_add_f32 v[32:33], v[32:33], v[64:65]
	v_pk_add_f32 v[18:19], v[48:49], v[18:19]
	;; [unrolled: 1-line block ×7, first 2 shown]
	v_perm_b32 v53, v47, v46, s4
	v_perm_b32 v52, v43, v42, s4
	v_perm_b32 v51, v45, v44, s4
	v_perm_b32 v50, v49, v48, s4
	buffer_store_dwordx4 v[50:53], v1, s[0:3], 0 offen
	;;#ASMSTART
	s_nop 0
	;;#ASMEND
	v_pk_mul_f32 v[54:55], v[42:43], v[42:43]
	v_perm_b32 v53, v31, v30, s4
	v_perm_b32 v52, v27, v26, s4
	v_perm_b32 v51, v25, v24, s4
	v_perm_b32 v50, v23, v22, s4
	buffer_store_dwordx4 v[50:53], v1, s[0:3], 16 offen
	;;#ASMSTART
	s_nop 0
	;;#ASMEND
	v_pk_mul_f32 v[56:57], v[46:47], v[46:47]
	v_perm_b32 v53, v37, v36, s4
	v_perm_b32 v52, v39, v38, s4
	v_perm_b32 v51, v41, v40, s4
	v_perm_b32 v50, v35, v34, s4
	buffer_store_dwordx4 v[50:53], v1, s[0:3], 32 offen
	;;#ASMSTART
	s_nop 0
	;;#ASMEND
	v_pk_mul_f32 v[58:59], v[22:23], v[22:23]
	v_perm_b32 v53, v21, v20, s4
	v_perm_b32 v52, v19, v18, s4
	;; [unrolled: 1-line block ×4, first 2 shown]
	buffer_store_dwordx4 v[50:53], v1, s[0:3], 48 offen
	;;#ASMSTART
	s_nop 0
	;;#ASMEND
	s_nop 0
	v_pk_mul_f32 v[50:51], v[48:49], v[48:49]
	v_pk_mul_f32 v[52:53], v[44:45], v[44:45]
	v_add_f32_e32 v1, v50, v51
	v_add_f32_e32 v1, v52, v1
	;; [unrolled: 1-line block ×8, first 2 shown]
	v_pk_mul_f32 v[50:51], v[24:25], v[24:25]
	v_add_f32_e32 v1, v59, v1
	v_add_f32_e32 v1, v50, v1
	v_pk_mul_f32 v[52:53], v[26:27], v[26:27]
	v_add_f32_e32 v1, v51, v1
	v_add_f32_e32 v1, v52, v1
	;; [unrolled: 3-line block ×11, first 2 shown]
	v_add_f32_e32 v1, v51, v1
	v_and_b32_e32 v51, 63, v0
	v_cmp_eq_u32_e64 s[0:1], 63, v51
	v_mov_b32_dpp v50, v1 quad_perm:[1,0,3,2] row_mask:0xf bank_mask:0xf
	v_add_f32_e32 v1, v1, v50
	s_nop 1
	v_mov_b32_dpp v50, v1 quad_perm:[2,3,0,1] row_mask:0xf bank_mask:0xf
	v_add_f32_e32 v1, v1, v50
	s_nop 1
	v_mov_b32_dpp v50, v1 row_half_mirror row_mask:0xf bank_mask:0xf
	v_add_f32_e32 v1, v1, v50
	s_nop 1
	v_mov_b32_dpp v50, v1 row_mirror row_mask:0xf bank_mask:0xf
	v_add_f32_e32 v1, v1, v50
	s_nop 1
	v_mov_b32_dpp v50, v1 row_bcast:15 row_mask:0xf bank_mask:0xf
	v_add_f32_e32 v1, v1, v50
	s_nop 1
	v_mov_b32_dpp v50, v1 row_bcast:31 row_mask:0xf bank_mask:0xf
	s_and_saveexec_b64 s[2:3], s[0:1]
	s_cbranch_execz .LBB24_3
; %bb.2:
	v_lshrrev_b32_e32 v51, 4, v0
	v_and_b32_e32 v51, 60, v51
	v_add_f32_e32 v1, v1, v50
	ds_write_b32 v51, v1 offset:16
.LBB24_3:
	s_or_b64 exec, exec, s[2:3]
	v_and_b32_e32 v1, 3, v0
	v_lshlrev_b32_e32 v1, 2, v1
	s_waitcnt lgkmcnt(0)
	s_barrier
	ds_read_b32 v50, v1 offset:16
	v_cvt_f32_i32_e32 v51, s9
	s_cmp_lg_u32 s14, 0
	s_waitcnt lgkmcnt(0)
	v_mov_b32_dpp v52, v50 quad_perm:[1,0,3,2] row_mask:0xf bank_mask:0xf
	v_add_f32_e32 v50, v50, v52
	s_nop 1
	v_mov_b32_dpp v52, v50 quad_perm:[2,3,0,1] row_mask:0xf bank_mask:0xf
	v_add_f32_e32 v50, v50, v52
	v_div_scale_f32 v52, s[2:3], v51, v51, v50
	v_rcp_f32_e32 v53, v52
	v_div_scale_f32 v54, vcc, v50, v51, v50
	s_mov_b32 s2, 0x800000
	v_fma_f32 v55, -v52, v53, 1.0
	v_fmac_f32_e32 v53, v55, v53
	v_mul_f32_e32 v55, v54, v53
	v_fma_f32 v56, -v52, v55, v54
	v_fmac_f32_e32 v55, v56, v53
	v_fma_f32 v52, -v52, v55, v54
	v_div_fmas_f32 v52, v52, v53, v55
	v_div_fixup_f32 v50, v52, v51, v50
	v_cvt_f64_f32_e32 v[50:51], v50
	v_add_f64 v[50:51], v[50:51], s[28:29]
	v_cvt_f32_f64_e32 v50, v[50:51]
	v_mul_f32_e32 v51, 0x4b800000, v50
	v_cmp_gt_f32_e32 vcc, s2, v50
	v_cndmask_b32_e32 v50, v50, v51, vcc
	v_rsq_f32_e32 v51, v50
	v_lshlrev_b32_e32 v50, 5, v0
	v_mul_f32_e32 v52, 0x45800000, v51
	v_cndmask_b32_e32 v52, v51, v52, vcc
	v_mov_b32_e32 v53, v52
	;;#ASMSTART
	v_pk_mul_f32 v[48:49], v[48:49], v[52:53]
	;;#ASMEND
	;;#ASMSTART
	v_pk_mul_f32 v[44:45], v[44:45], v[52:53]
	;;#ASMEND
	;;#ASMSTART
	v_pk_mul_f32 v[42:43], v[42:43], v[52:53]
	;;#ASMEND
	;;#ASMSTART
	v_pk_mul_f32 v[46:47], v[46:47], v[52:53]
	;;#ASMEND
	;;#ASMSTART
	v_pk_mul_f32 v[54:55], v[22:23], v[52:53]
	;;#ASMEND
	;;#ASMSTART
	v_pk_mul_f32 v[24:25], v[24:25], v[52:53]
	;;#ASMEND
	;;#ASMSTART
	v_pk_mul_f32 v[56:57], v[26:27], v[52:53]
	;;#ASMEND
	;;#ASMSTART
	v_pk_mul_f32 v[58:59], v[30:31], v[52:53]
	;;#ASMEND
	;;#ASMSTART
	v_pk_mul_f32 v[34:35], v[34:35], v[52:53]
	;;#ASMEND
	;;#ASMSTART
	v_pk_mul_f32 v[40:41], v[40:41], v[52:53]
	;;#ASMEND
	;;#ASMSTART
	v_pk_mul_f32 v[38:39], v[38:39], v[52:53]
	;;#ASMEND
	;;#ASMSTART
	v_pk_mul_f32 v[36:37], v[36:37], v[52:53]
	;;#ASMEND
	;;#ASMSTART
	v_pk_mul_f32 v[60:61], v[32:33], v[52:53]
	;;#ASMEND
	;;#ASMSTART
	v_pk_mul_f32 v[62:63], v[28:29], v[52:53]
	;;#ASMEND
	;;#ASMSTART
	v_pk_mul_f32 v[64:65], v[18:19], v[52:53]
	;;#ASMEND
	;;#ASMSTART
	v_pk_mul_f32 v[52:53], v[20:21], v[52:53]
	;;#ASMEND
	s_waitcnt vmcnt(7)
	v_cvt_f32_u32_sdwa v19, v10 dst_sel:DWORD dst_unused:UNUSED_PAD src0_sel:WORD_1
	v_cvt_f32_u32_sdwa v18, v10 dst_sel:DWORD dst_unused:UNUSED_PAD src0_sel:WORD_0
	v_cvt_f32_u32_sdwa v21, v11 dst_sel:DWORD dst_unused:UNUSED_PAD src0_sel:WORD_1
	v_cvt_f32_u32_sdwa v20, v11 dst_sel:DWORD dst_unused:UNUSED_PAD src0_sel:WORD_0
	;; [unrolled: 2-line block ×4, first 2 shown]
	;;#ASMSTART
	v_pk_mul_f32 v[32:33], v[48:49], v[18:19]
	;;#ASMEND
	;;#ASMSTART
	v_pk_mul_f32 v[30:31], v[44:45], v[20:21]
	;;#ASMEND
	;; [unrolled: 3-line block ×3, first 2 shown]
	s_waitcnt vmcnt(6)
	v_cvt_f32_u32_sdwa v11, v2 dst_sel:DWORD dst_unused:UNUSED_PAD src0_sel:WORD_1
	v_cvt_f32_u32_sdwa v10, v2 dst_sel:DWORD dst_unused:UNUSED_PAD src0_sel:WORD_0
	v_cvt_f32_u32_sdwa v13, v3 dst_sel:DWORD dst_unused:UNUSED_PAD src0_sel:WORD_1
	v_cvt_f32_u32_sdwa v12, v3 dst_sel:DWORD dst_unused:UNUSED_PAD src0_sel:WORD_0
	;; [unrolled: 2-line block ×3, first 2 shown]
	;;#ASMSTART
	v_pk_mul_f32 v[22:23], v[46:47], v[22:23]
	;;#ASMEND
	v_cvt_f32_u32_sdwa v19, v5 dst_sel:DWORD dst_unused:UNUSED_PAD src0_sel:WORD_1
	v_cvt_f32_u32_sdwa v18, v5 dst_sel:DWORD dst_unused:UNUSED_PAD src0_sel:WORD_0
	;;#ASMSTART
	v_pk_mul_f32 v[28:29], v[54:55], v[10:11]
	;;#ASMEND
	;;#ASMSTART
	v_pk_mul_f32 v[24:25], v[24:25], v[12:13]
	;;#ASMEND
	;; [unrolled: 3-line block ×3, first 2 shown]
	s_waitcnt vmcnt(5)
	v_cvt_f32_u32_sdwa v3, v14 dst_sel:DWORD dst_unused:UNUSED_PAD src0_sel:WORD_1
	v_cvt_f32_u32_sdwa v2, v14 dst_sel:DWORD dst_unused:UNUSED_PAD src0_sel:WORD_0
	v_cvt_f32_u32_sdwa v5, v15 dst_sel:DWORD dst_unused:UNUSED_PAD src0_sel:WORD_1
	v_cvt_f32_u32_sdwa v4, v15 dst_sel:DWORD dst_unused:UNUSED_PAD src0_sel:WORD_0
	;; [unrolled: 2-line block ×3, first 2 shown]
	;;#ASMSTART
	v_pk_mul_f32 v[18:19], v[58:59], v[18:19]
	;;#ASMEND
	v_cvt_f32_u32_sdwa v43, v17 dst_sel:DWORD dst_unused:UNUSED_PAD src0_sel:WORD_1
	v_cvt_f32_u32_sdwa v42, v17 dst_sel:DWORD dst_unused:UNUSED_PAD src0_sel:WORD_0
	;;#ASMSTART
	v_pk_mul_f32 v[16:17], v[34:35], v[2:3]
	;;#ASMEND
	;;#ASMSTART
	v_pk_mul_f32 v[14:15], v[40:41], v[4:5]
	;;#ASMEND
	;; [unrolled: 3-line block ×4, first 2 shown]
	s_waitcnt vmcnt(4)
	v_cvt_f32_u32_sdwa v3, v6 dst_sel:DWORD dst_unused:UNUSED_PAD src0_sel:WORD_1
	v_cvt_f32_u32_sdwa v2, v6 dst_sel:DWORD dst_unused:UNUSED_PAD src0_sel:WORD_0
	v_cvt_f32_u32_sdwa v5, v7 dst_sel:DWORD dst_unused:UNUSED_PAD src0_sel:WORD_1
	v_cvt_f32_u32_sdwa v4, v7 dst_sel:DWORD dst_unused:UNUSED_PAD src0_sel:WORD_0
	v_cvt_f32_u32_sdwa v34, v8 dst_sel:DWORD dst_unused:UNUSED_PAD src0_sel:WORD_0
	;; [unrolled: 1-line block ×3, first 2 shown]
	v_cvt_f32_u32_sdwa v35, v8 dst_sel:DWORD dst_unused:UNUSED_PAD src0_sel:WORD_1
	v_cvt_f32_u32_sdwa v37, v9 dst_sel:DWORD dst_unused:UNUSED_PAD src0_sel:WORD_1
	;;#ASMSTART
	v_pk_mul_f32 v[8:9], v[60:61], v[2:3]
	;;#ASMEND
	;;#ASMSTART
	v_pk_mul_f32 v[6:7], v[62:63], v[4:5]
	;;#ASMEND
	;; [unrolled: 3-line block ×4, first 2 shown]
	v_and_b32_e32 v34, 0x7fffffff, v32
	v_mov_b32_e32 v36, 0x2edbe6ff
	v_and_b32_e32 v35, 0x7fffffff, v33
	;;#ASMSTART
	v_max3_f32 v34, v36, v34, v35

	;;#ASMEND
	v_and_b32_e32 v36, 0x7fffffff, v31
	v_and_b32_e32 v35, 0x7fffffff, v30
	;;#ASMSTART
	v_max3_f32 v34, v34, v35, v36

	;;#ASMEND
	v_and_b32_e32 v36, 0x7fffffff, v27
	;; [unrolled: 6-line block ×15, first 2 shown]
	v_and_b32_e32 v35, 0x7fffffff, v2
	;;#ASMSTART
	v_max3_f32 v36, v34, v35, v36

	;;#ASMEND
	s_cbranch_scc0 .LBB24_10
; %bb.4:
	s_ashr_i32 s12, s14, 31
	s_lshr_b32 s2, s12, 27
	s_add_i32 s2, s14, s2
	s_ashr_i32 s10, s2, 5
	s_cmp_lt_i32 s10, 16
	s_cbranch_scc1 .LBB24_11
; %bb.5:
	s_cmp_lt_i32 s10, 32
	s_cbranch_scc1 .LBB24_12
; %bb.6:
	;; [unrolled: 3-line block ×3, first 2 shown]
	s_cmp_eq_u32 s10, 64
	v_mov_b32_e32 v34, v36
	s_cbranch_scc0 .LBB24_9
; %bb.8:
	s_nop 0
	v_mov_b32_dpp v34, v36 quad_perm:[1,0,3,2] row_mask:0xf bank_mask:0xf
	v_cmp_gt_f32_e32 vcc, v36, v34
	v_cndmask_b32_e32 v34, v34, v36, vcc
	v_bfrev_b32_e32 v37, 0.5
	s_nop 0
	v_mov_b32_dpp v35, v34 quad_perm:[2,3,0,1] row_mask:0xf bank_mask:0xf
	v_cmp_gt_f32_e32 vcc, v34, v35
	v_cndmask_b32_e32 v34, v35, v34, vcc
	s_nop 1
	v_mov_b32_dpp v35, v34 row_ror:4 row_mask:0xf bank_mask:0xf
	v_cmp_gt_f32_e32 vcc, v34, v35
	v_cndmask_b32_e32 v34, v35, v34, vcc
	s_nop 1
	v_mov_b32_dpp v35, v34 row_ror:8 row_mask:0xf bank_mask:0xf
	v_cmp_gt_f32_e32 vcc, v34, v35
	v_cndmask_b32_e32 v34, v35, v34, vcc
	s_nop 1
	v_mov_b32_dpp v35, v34 row_bcast:15 row_mask:0xf bank_mask:0xf
	v_cmp_gt_f32_e32 vcc, v34, v35
	v_cndmask_b32_e32 v34, v35, v34, vcc
	s_nop 1
	v_mov_b32_dpp v35, v34 row_bcast:31 row_mask:0xf bank_mask:0xf
	v_cmp_gt_f32_e32 vcc, v34, v35
	v_cndmask_b32_e32 v34, v35, v34, vcc
	v_mbcnt_lo_u32_b32 v35, -1, 0
	v_mbcnt_hi_u32_b32 v35, -1, v35
	v_lshl_or_b32 v35, v35, 2, v37
	ds_bpermute_b32 v34, v35, v34
.LBB24_9:
	s_mov_b64 s[2:3], 0
	s_branch .LBB24_14
.LBB24_10:
	s_mov_b64 s[2:3], 0
                                        ; implicit-def: $vgpr37
                                        ; implicit-def: $vgpr34_vgpr35
	s_cbranch_execnz .LBB24_43
	s_branch .LBB24_46
.LBB24_11:
                                        ; implicit-def: $vgpr34
	s_branch .LBB24_21
.LBB24_12:
                                        ; implicit-def: $vgpr34
	s_branch .LBB24_18
.LBB24_13:
	s_mov_b64 s[2:3], -1
                                        ; implicit-def: $vgpr34
.LBB24_14:
	s_andn2_b64 vcc, exec, s[2:3]
	s_cbranch_vccnz .LBB24_17
; %bb.15:
	s_cmp_eq_u32 s10, 32
	s_waitcnt lgkmcnt(0)
	v_mov_b32_e32 v34, v36
	s_cbranch_scc0 .LBB24_17
; %bb.16:
	s_nop 0
	v_mov_b32_dpp v34, v36 quad_perm:[1,0,3,2] row_mask:0xf bank_mask:0xf
	v_cmp_gt_f32_e32 vcc, v36, v34
	v_cndmask_b32_e32 v34, v34, v36, vcc
	v_mov_b32_e32 v37, 0x7c
	s_nop 0
	v_mov_b32_dpp v35, v34 quad_perm:[2,3,0,1] row_mask:0xf bank_mask:0xf
	v_cmp_gt_f32_e32 vcc, v34, v35
	v_cndmask_b32_e32 v34, v35, v34, vcc
	s_nop 1
	v_mov_b32_dpp v35, v34 row_half_mirror row_mask:0xf bank_mask:0xf
	v_cmp_gt_f32_e32 vcc, v34, v35
	v_cndmask_b32_e32 v34, v35, v34, vcc
	s_nop 1
	v_mov_b32_dpp v35, v34 row_mirror row_mask:0xf bank_mask:0xf
	v_cmp_gt_f32_e32 vcc, v34, v35
	v_cndmask_b32_e32 v34, v35, v34, vcc
	s_nop 1
	v_mov_b32_dpp v35, v34 row_bcast:15 row_mask:0xa bank_mask:0xf
	v_cmp_gt_f32_e32 vcc, v34, v35
	v_cndmask_b32_e32 v34, v35, v34, vcc
	v_mbcnt_lo_u32_b32 v35, -1, 0
	v_mbcnt_hi_u32_b32 v35, -1, v35
	v_lshl_or_b32 v35, v35, 2, v37
	ds_bpermute_b32 v34, v35, v34
.LBB24_17:
	s_cbranch_execnz .LBB24_20
.LBB24_18:
	s_cmp_eq_u32 s10, 16
	s_waitcnt lgkmcnt(0)
	v_mov_b32_e32 v34, v36
	s_cbranch_scc0 .LBB24_20
; %bb.19:
	s_nop 0
	v_mov_b32_dpp v34, v36 quad_perm:[1,0,3,2] row_mask:0xf bank_mask:0xf
	v_cmp_gt_f32_e32 vcc, v36, v34
	v_cndmask_b32_e32 v34, v34, v36, vcc
	s_nop 1
	v_mov_b32_dpp v35, v34 quad_perm:[2,3,0,1] row_mask:0xf bank_mask:0xf
	v_cmp_gt_f32_e32 vcc, v34, v35
	v_cndmask_b32_e32 v34, v35, v34, vcc
	s_nop 1
	v_mov_b32_dpp v35, v34 row_half_mirror row_mask:0xf bank_mask:0xf
	v_cmp_gt_f32_e32 vcc, v34, v35
	v_cndmask_b32_e32 v34, v35, v34, vcc
	s_nop 1
	v_mov_b32_dpp v35, v34 row_mirror row_mask:0xf bank_mask:0xf
	v_cmp_gt_f32_e32 vcc, v34, v35
	v_cndmask_b32_e32 v34, v35, v34, vcc
.LBB24_20:
	s_cbranch_execnz .LBB24_33
.LBB24_21:
	s_cmp_lt_i32 s10, 4
	s_cbranch_scc1 .LBB24_25
; %bb.22:
	s_cmp_lt_i32 s10, 8
	s_cbranch_scc1 .LBB24_26
; %bb.23:
	s_cmp_eq_u32 s10, 8
	s_waitcnt lgkmcnt(0)
	v_mov_b32_e32 v34, v36
	s_cbranch_scc0 .LBB24_27
; %bb.24:
	s_nop 0
	v_mov_b32_dpp v34, v36 quad_perm:[1,0,3,2] row_mask:0xf bank_mask:0xf
	v_cmp_gt_f32_e32 vcc, v36, v34
	v_cndmask_b32_e32 v34, v34, v36, vcc
	s_nop 1
	v_mov_b32_dpp v35, v34 quad_perm:[2,3,0,1] row_mask:0xf bank_mask:0xf
	v_cmp_gt_f32_e32 vcc, v34, v35
	v_cndmask_b32_e32 v34, v35, v34, vcc
	s_nop 1
	v_mov_b32_dpp v35, v34 row_half_mirror row_mask:0xf bank_mask:0xf
	v_cmp_gt_f32_e32 vcc, v34, v35
	v_cndmask_b32_e32 v34, v35, v34, vcc
	s_cbranch_execz .LBB24_28
	s_branch .LBB24_30
.LBB24_25:
                                        ; implicit-def: $vgpr34
	s_branch .LBB24_31
.LBB24_26:
                                        ; implicit-def: $vgpr34
	s_branch .LBB24_28
.LBB24_27:
	s_cbranch_execnz .LBB24_30
.LBB24_28:
	s_cmp_eq_u32 s10, 4
	s_waitcnt lgkmcnt(0)
	v_mov_b32_e32 v34, v36
	s_cbranch_scc0 .LBB24_30
; %bb.29:
	s_nop 0
	v_mov_b32_dpp v34, v36 quad_perm:[1,0,3,2] row_mask:0xf bank_mask:0xf
	v_cmp_gt_f32_e32 vcc, v36, v34
	v_cndmask_b32_e32 v34, v34, v36, vcc
	s_nop 1
	v_mov_b32_dpp v35, v34 quad_perm:[2,3,0,1] row_mask:0xf bank_mask:0xf
	v_cmp_gt_f32_e32 vcc, v34, v35
	v_cndmask_b32_e32 v34, v35, v34, vcc
.LBB24_30:
	s_cbranch_execnz .LBB24_33
.LBB24_31:
	s_cmp_lg_u32 s10, 2
	s_waitcnt lgkmcnt(0)
	v_mov_b32_e32 v34, v36
	s_cbranch_scc1 .LBB24_33
; %bb.32:
	s_nop 0
	v_mov_b32_dpp v34, v36 quad_perm:[1,0,3,2] row_mask:0xf bank_mask:0xf
	v_cmp_gt_f32_e32 vcc, v36, v34
	v_cndmask_b32_e32 v34, v34, v36, vcc
.LBB24_33:
	v_cvt_f32_u32_e32 v35, s10
	s_waitcnt lgkmcnt(0)
	v_mul_f32_e32 v37, 0x3b124925, v34
	s_sub_i32 s2, 0, s10
	v_cmp_gt_u32_e32 vcc, s9, v50
	v_rcp_iflag_f32_e32 v35, v35
	s_mov_b64 s[4:5], 0
	v_mul_f32_e32 v34, 0x4f7ffffe, v35
	v_cvt_u32_f32_e32 v34, v34
	v_mul_lo_u32 v35, s2, v34
	v_mul_hi_u32 v35, v34, v35
	v_add_u32_e32 v34, v34, v35
	v_mul_hi_u32 v34, v0, v34
	v_mul_lo_u32 v35, v34, s10
	v_sub_u32_e32 v35, v0, v35
	v_add_u32_e32 v38, 1, v34
	v_cmp_le_u32_e64 s[2:3], s10, v35
	v_cndmask_b32_e64 v34, v34, v38, s[2:3]
	v_subrev_u32_e32 v38, s10, v35
	v_cndmask_b32_e64 v35, v35, v38, s[2:3]
	v_add_u32_e32 v38, 1, v34
	v_cmp_le_u32_e64 s[2:3], s10, v35
	v_cndmask_b32_e64 v38, v34, v38, s[2:3]
	v_mul_lo_u32 v34, v38, s10
	v_sub_u32_e32 v34, v0, v34
	v_cmp_eq_u32_e64 s[2:3], 0, v34
	s_and_b64 s[10:11], s[2:3], vcc
	s_mov_b64 s[2:3], 0
                                        ; implicit-def: $vgpr34_vgpr35
	s_and_saveexec_b64 s[18:19], s[10:11]
	s_xor_b64 s[10:11], exec, s[18:19]
	s_cbranch_execz .LBB24_42
; %bb.34:
	s_bitcmp0_b32 s15, 0
	s_cbranch_scc0 .LBB24_39
; %bb.35:
	s_ashr_i32 s2, s9, 31
	s_mul_hi_u32 s3, s9, s6
	s_mul_i32 s2, s2, s6
	s_add_i32 s19, s3, s2
	s_mul_i32 s18, s9, s6
	s_mov_b32 s15, s12
	s_or_b64 s[2:3], s[18:19], s[14:15]
	s_mov_b32 s2, 0
	s_cmp_lg_u64 s[2:3], 0
	s_cbranch_scc0 .LBB24_50
; %bb.36:
	s_add_u32 s2, s14, s15
	s_mov_b32 s24, s15
	s_mov_b32 s25, s15
	s_addc_u32 s3, s15, s15
	s_xor_b64 s[26:27], s[2:3], s[24:25]
	v_cvt_f32_u32_e32 v34, s26
	v_cvt_f32_u32_e32 v35, s27
	s_sub_u32 s2, 0, s26
	s_subb_u32 s3, 0, s27
	v_madmk_f32 v34, v35, 0x4f800000, v34
	v_rcp_f32_e32 v34, v34
	v_mul_f32_e32 v34, 0x5f7ffffc, v34
	v_mul_f32_e32 v35, 0x2f800000, v34
	v_trunc_f32_e32 v35, v35
	v_madmk_f32 v34, v35, 0xcf800000, v34
	v_cvt_u32_f32_e32 v35, v35
	v_cvt_u32_f32_e32 v34, v34
	v_readfirstlane_b32 s12, v35
	v_readfirstlane_b32 s15, v34
	s_mul_i32 s28, s2, s12
	s_mul_hi_u32 s30, s2, s15
	s_mul_i32 s29, s3, s15
	s_add_i32 s28, s30, s28
	s_add_i32 s28, s28, s29
	s_mul_i32 s31, s2, s15
	s_mul_hi_u32 s29, s15, s28
	s_mul_i32 s30, s15, s28
	s_mul_hi_u32 s15, s15, s31
	s_add_u32 s15, s15, s30
	s_addc_u32 s29, 0, s29
	s_mul_hi_u32 s33, s12, s31
	s_mul_i32 s31, s12, s31
	s_add_u32 s15, s15, s31
	s_mul_hi_u32 s30, s12, s28
	s_addc_u32 s15, s29, s33
	s_addc_u32 s29, s30, 0
	s_mul_i32 s28, s12, s28
	s_add_u32 s15, s15, s28
	s_addc_u32 s28, 0, s29
	v_add_co_u32_e32 v34, vcc, s15, v34
	s_cmp_lg_u64 vcc, 0
	s_addc_u32 s12, s12, s28
	v_readfirstlane_b32 s28, v34
	s_mul_i32 s15, s2, s12
	s_mul_hi_u32 s29, s2, s28
	s_add_i32 s15, s29, s15
	s_mul_i32 s3, s3, s28
	s_add_i32 s15, s15, s3
	s_mul_i32 s2, s2, s28
	s_mul_hi_u32 s29, s12, s2
	s_mul_i32 s30, s12, s2
	s_mul_i32 s33, s28, s15
	s_mul_hi_u32 s2, s28, s2
	s_mul_hi_u32 s31, s28, s15
	s_add_u32 s2, s2, s33
	s_addc_u32 s28, 0, s31
	s_add_u32 s2, s2, s30
	s_mul_hi_u32 s3, s12, s15
	s_addc_u32 s2, s28, s29
	s_addc_u32 s3, s3, 0
	s_mul_i32 s15, s12, s15
	s_add_u32 s2, s2, s15
	s_addc_u32 s3, 0, s3
	v_add_co_u32_e32 v34, vcc, s2, v34
	s_cmp_lg_u64 vcc, 0
	s_addc_u32 s12, s12, s3
	s_ashr_i32 s28, s19, 31
	s_add_u32 s2, s18, s28
	s_mov_b32 s29, s28
	s_addc_u32 s3, s19, s28
	s_xor_b64 s[30:31], s[2:3], s[28:29]
	v_readfirstlane_b32 s15, v34
	s_mul_i32 s3, s30, s12
	s_mul_hi_u32 s19, s30, s15
	s_mul_hi_u32 s2, s30, s12
	s_add_u32 s3, s19, s3
	s_addc_u32 s2, 0, s2
	s_mul_hi_u32 s33, s31, s15
	s_mul_i32 s15, s31, s15
	s_add_u32 s3, s3, s15
	s_mul_hi_u32 s19, s31, s12
	s_addc_u32 s2, s2, s33
	s_addc_u32 s3, s19, 0
	s_mul_i32 s12, s31, s12
	s_add_u32 s12, s2, s12
	s_addc_u32 s15, 0, s3
	s_mul_i32 s2, s26, s15
	s_mul_hi_u32 s3, s26, s12
	s_add_i32 s2, s3, s2
	s_mul_i32 s3, s27, s12
	s_add_i32 s19, s2, s3
	s_mul_i32 s3, s26, s12
	v_mov_b32_e32 v34, s3
	s_sub_i32 s2, s31, s19
	v_sub_co_u32_e32 v34, vcc, s30, v34
	s_cmp_lg_u64 vcc, 0
	s_subb_u32 s30, s2, s27
	v_subrev_co_u32_e64 v35, s[2:3], s26, v34
	s_cmp_lg_u64 s[2:3], 0
	s_subb_u32 s30, s30, 0
	s_cmp_ge_u32 s30, s27
	s_cselect_b32 s33, -1, 0
	v_cmp_le_u32_e64 s[2:3], s26, v35
	s_cmp_eq_u32 s30, s27
	v_cndmask_b32_e64 v35, 0, -1, s[2:3]
	v_mov_b32_e32 v39, s33
	s_cselect_b64 s[2:3], -1, 0
	v_cndmask_b32_e64 v35, v39, v35, s[2:3]
	s_add_u32 s2, s12, 1
	s_addc_u32 s30, s15, 0
	s_add_u32 s3, s12, 2
	s_addc_u32 s33, s15, 0
	v_mov_b32_e32 v39, s2
	v_mov_b32_e32 v40, s3
	v_cmp_ne_u32_e64 s[2:3], 0, v35
	v_cndmask_b32_e64 v35, v39, v40, s[2:3]
	v_mov_b32_e32 v39, s30
	v_mov_b32_e32 v40, s33
	s_cmp_lg_u64 vcc, 0
	v_cndmask_b32_e64 v39, v39, v40, s[2:3]
	s_subb_u32 s2, s31, s19
	s_cmp_ge_u32 s2, s27
	s_cselect_b32 s3, -1, 0
	v_cmp_le_u32_e32 vcc, s26, v34
	s_cmp_eq_u32 s2, s27
	v_cndmask_b32_e64 v34, 0, -1, vcc
	v_mov_b32_e32 v40, s3
	s_cselect_b64 vcc, -1, 0
	v_cndmask_b32_e32 v34, v40, v34, vcc
	v_mov_b32_e32 v40, s15
	v_cmp_ne_u32_e32 vcc, 0, v34
	v_cndmask_b32_e32 v34, v40, v39, vcc
	v_mov_b32_e32 v39, s12
	v_cndmask_b32_e32 v35, v39, v35, vcc
	s_xor_b64 s[2:3], s[28:29], s[24:25]
	v_xor_b32_e32 v35, s2, v35
	v_xor_b32_e32 v39, s3, v34
	v_mov_b32_e32 v40, s3
	v_subrev_co_u32_e32 v34, vcc, s2, v35
	v_subb_co_u32_e32 v35, vcc, v39, v40, vcc
	s_cbranch_execnz .LBB24_38
.LBB24_37:
	v_cvt_f32_u32_e32 v34, s14
	s_sub_i32 s2, 0, s14
	s_mov_b32 s3, 0
	v_rcp_iflag_f32_e32 v34, v34
	v_mul_f32_e32 v34, 0x4f7ffffe, v34
	v_cvt_u32_f32_e32 v34, v34
	v_readfirstlane_b32 s12, v34
	s_mul_i32 s2, s2, s12
	s_mul_hi_u32 s2, s12, s2
	s_add_i32 s12, s12, s2
	s_mul_hi_u32 s2, s18, s12
	s_mul_i32 s15, s2, s14
	s_sub_i32 s15, s18, s15
	s_add_i32 s12, s2, 1
	s_sub_i32 s18, s15, s14
	s_cmp_ge_u32 s15, s14
	s_cselect_b32 s2, s12, s2
	s_cselect_b32 s15, s18, s15
	s_add_i32 s12, s2, 1
	s_cmp_ge_u32 s15, s14
	s_cselect_b32 s2, s12, s2
	v_pk_mov_b32 v[34:35], s[2:3], s[2:3] op_sel:[0,1]
.LBB24_38:
	v_add_co_u32_e32 v34, vcc, v34, v38
	v_addc_co_u32_e32 v35, vcc, 0, v35, vcc
	s_branch .LBB24_41
.LBB24_39:
                                        ; implicit-def: $vgpr34_vgpr35
	s_cbranch_execz .LBB24_41
; %bb.40:
	v_mul_lo_u32 v34, v38, s8
	v_ashrrev_i32_e32 v35, 31, v34
	v_mov_b32_e32 v38, s7
	v_add_co_u32_e32 v34, vcc, s6, v34
	v_addc_co_u32_e32 v35, vcc, v35, v38, vcc
.LBB24_41:
	s_mov_b64 s[2:3], exec
.LBB24_42:
	s_or_b64 exec, exec, s[10:11]
	s_and_b64 vcc, exec, s[4:5]
	s_cbranch_vccz .LBB24_46
.LBB24_43:
	v_mov_b32_dpp v34, v36 quad_perm:[1,0,3,2] row_mask:0xf bank_mask:0xf
	v_cmp_gt_f32_e32 vcc, v36, v34
	v_cndmask_b32_e32 v34, v34, v36, vcc
	s_nop 1
	v_mov_b32_dpp v35, v34 quad_perm:[2,3,0,1] row_mask:0xf bank_mask:0xf
	v_cmp_gt_f32_e32 vcc, v34, v35
	v_cndmask_b32_e32 v34, v35, v34, vcc
	s_nop 1
	v_mov_b32_dpp v35, v34 row_half_mirror row_mask:0xf bank_mask:0xf
	v_cmp_gt_f32_e32 vcc, v34, v35
	v_cndmask_b32_e32 v34, v35, v34, vcc
	s_nop 1
	v_mov_b32_dpp v35, v34 row_mirror row_mask:0xf bank_mask:0xf
	v_cmp_gt_f32_e32 vcc, v34, v35
	v_cndmask_b32_e32 v34, v35, v34, vcc
	s_nop 1
	v_mov_b32_dpp v35, v34 row_bcast:15 row_mask:0xf bank_mask:0xf
	v_cmp_gt_f32_e32 vcc, v34, v35
	v_cndmask_b32_e32 v34, v35, v34, vcc
	s_nop 1
	v_mov_b32_dpp v35, v34 row_bcast:31 row_mask:0xf bank_mask:0xf
	s_and_saveexec_b64 s[2:3], s[0:1]
	s_cbranch_execz .LBB24_45
; %bb.44:
	v_lshrrev_b32_e32 v36, 4, v0
	v_cmp_gt_f32_e32 vcc, v34, v35
	v_and_b32_e32 v36, 60, v36
	v_cndmask_b32_e32 v34, v35, v34, vcc
	ds_write_b32 v36, v34
.LBB24_45:
	s_or_b64 exec, exec, s[2:3]
	s_waitcnt lgkmcnt(0)
	s_barrier
	ds_read_b32 v1, v1
	v_cmp_eq_u32_e64 s[2:3], 0, v0
	s_waitcnt lgkmcnt(0)
	v_mov_b32_dpp v34, v1 quad_perm:[1,0,3,2] row_mask:0xf bank_mask:0xf
	v_cmp_gt_f32_e32 vcc, v1, v34
	v_cndmask_b32_e32 v1, v34, v1, vcc
	s_nop 1
	v_mov_b32_dpp v34, v1 quad_perm:[2,3,0,1] row_mask:0xf bank_mask:0xf
	v_cmp_gt_f32_e32 vcc, v1, v34
	v_cndmask_b32_e32 v1, v34, v1, vcc
	v_mul_f32_e32 v37, 0x3b124925, v1
	v_pk_mov_b32 v[34:35], s[6:7], s[6:7] op_sel:[0,1]
.LBB24_46:
	s_and_saveexec_b64 s[0:1], s[2:3]
	s_cbranch_execz .LBB24_48
; %bb.47:
	v_lshlrev_b64 v[0:1], 2, v[34:35]
	v_mov_b32_e32 v34, s21
	v_add_co_u32_e32 v0, vcc, s20, v0
	v_addc_co_u32_e32 v1, vcc, v34, v1, vcc
	global_store_dword v[0:1], v37, off
.LBB24_48:
	s_or_b64 exec, exec, s[0:1]
	s_add_i32 s0, s9, 3
	s_ashr_i32 s1, s0, 31
	;;#ASMSTART
	v_rcp_f32 v0, v37
	;;#ASMEND
	v_mov_b32_e32 v1, v0
	;;#ASMSTART
	v_pk_mul_f32 v[32:33], v[32:33], v[0:1]
	;;#ASMEND
	s_lshr_b32 s1, s1, 30
	v_mov_b32_e32 v34, 0xc3e00000
	v_mov_b32_e32 v35, 0x43e00000
	;;#ASMSTART
	v_med3_f32 v32, v32, v34, v35
v_med3_f32 v33, v33, v34, v35
v_cvt_pk_fp8_f32 v36, v32, v33
	;;#ASMEND
	;;#ASMSTART
	v_pk_mul_f32 v[30:31], v[30:31], v[0:1]
	;;#ASMEND
	s_add_i32 s0, s0, s1
	;;#ASMSTART
	v_med3_f32 v30, v30, v34, v35
v_med3_f32 v31, v31, v34, v35
v_cvt_pk_fp8_f32 v32, v30, v31
	;;#ASMEND
	;;#ASMSTART
	v_pk_mul_f32 v[26:27], v[26:27], v[0:1]
	;;#ASMEND
	s_and_b32 s2, s0, -4
	s_ashr_i32 s0, s13, 31
	;;#ASMSTART
	v_med3_f32 v26, v26, v34, v35
v_med3_f32 v27, v27, v34, v35
v_cvt_pk_fp8_f32 v31, v26, v27
	;;#ASMEND
	;;#ASMSTART
	v_pk_mul_f32 v[22:23], v[22:23], v[0:1]
	;;#ASMEND
	s_mul_hi_u32 s1, s13, s6
	s_mul_i32 s0, s0, s6
	;;#ASMSTART
	v_med3_f32 v22, v22, v34, v35
v_med3_f32 v23, v23, v34, v35
v_cvt_pk_fp8_f32 v26, v22, v23
	;;#ASMEND
	s_add_i32 s1, s1, s0
	s_mul_i32 s0, s13, s6
	s_mov_b32 s6, 0x1000504
	;;#ASMSTART
	v_pk_mul_f32 v[22:23], v[28:29], v[0:1]
	;;#ASMEND
	v_perm_b32 v31, v31, v26, s6
	;;#ASMSTART
	v_med3_f32 v22, v22, v34, v35
v_med3_f32 v23, v23, v34, v35
v_cvt_pk_fp8_f32 v26, v22, v23
	;;#ASMEND
	;;#ASMSTART
	v_pk_mul_f32 v[22:23], v[24:25], v[0:1]
	;;#ASMEND
	s_add_u32 s0, s16, s0
	s_mov_b32 s4, 0x5040100
	;;#ASMSTART
	v_med3_f32 v22, v22, v34, v35
v_med3_f32 v23, v23, v34, v35
v_cvt_pk_fp8_f32 v24, v22, v23
	;;#ASMEND
	;;#ASMSTART
	v_pk_mul_f32 v[20:21], v[20:21], v[0:1]
	;;#ASMEND
	s_addc_u32 s1, s17, s1
	v_perm_b32 v30, v32, v36, s4
	s_mov_b32 s5, 0x1060504
	;;#ASMSTART
	v_med3_f32 v20, v20, v34, v35
v_med3_f32 v21, v21, v34, v35
v_cvt_pk_fp8_f32 v22, v20, v21
	;;#ASMEND
	;;#ASMSTART
	v_pk_mul_f32 v[18:19], v[18:19], v[0:1]
	;;#ASMEND
	s_and_b32 s1, s1, 0xffff
	s_mov_b32 s3, 0x20000
	v_perm_b32 v30, v30, v32, s5
	v_perm_b32 v32, v26, v24, s6
	;;#ASMSTART
	v_med3_f32 v18, v18, v34, v35
v_med3_f32 v19, v19, v34, v35
v_cvt_pk_fp8_f32 v20, v18, v19
	;;#ASMEND
	v_perm_b32 v33, v22, v20, s6
	buffer_store_dwordx4 v[30:33], v50, s[0:3], 0 offen
	;;#ASMSTART
	s_nop 0
	;;#ASMEND
	;;#ASMSTART
	v_pk_mul_f32 v[16:17], v[16:17], v[0:1]
	;;#ASMEND
	;;#ASMSTART
	v_med3_f32 v16, v16, v34, v35
v_med3_f32 v17, v17, v34, v35
v_cvt_pk_fp8_f32 v18, v16, v17
	;;#ASMEND
	;;#ASMSTART
	v_pk_mul_f32 v[14:15], v[14:15], v[0:1]
	;;#ASMEND
	;;#ASMSTART
	v_med3_f32 v14, v14, v34, v35
v_med3_f32 v15, v15, v34, v35
v_cvt_pk_fp8_f32 v16, v14, v15
	;; [unrolled: 8-line block ×6, first 2 shown]
	;;#ASMEND
	;;#ASMSTART
	v_pk_mul_f32 v[4:5], v[4:5], v[0:1]
	;;#ASMEND
	v_perm_b32 v14, v16, v18, s4
	;;#ASMSTART
	v_med3_f32 v4, v4, v34, v35
v_med3_f32 v5, v5, v34, v35
v_cvt_pk_fp8_f32 v6, v4, v5
	;;#ASMEND
	;;#ASMSTART
	v_pk_mul_f32 v[0:1], v[2:3], v[0:1]
	;;#ASMEND
	v_perm_b32 v14, v14, v16, s5
	v_perm_b32 v15, v15, v12, s6
	v_perm_b32 v16, v10, v8, s6
	;;#ASMSTART
	v_med3_f32 v0, v0, v34, v35
v_med3_f32 v1, v1, v34, v35
v_cvt_pk_fp8_f32 v2, v0, v1
	;;#ASMEND
	v_perm_b32 v17, v6, v2, s6
	buffer_store_dwordx4 v[14:17], v50, s[0:3], 16 offen
	;;#ASMSTART
	s_nop 0
	;;#ASMEND
.LBB24_49:
	s_endpgm
.LBB24_50:
                                        ; implicit-def: $vgpr34_vgpr35
	s_branch .LBB24_37
	.section	.rodata,"a",@progbits
	.p2align	6, 0x0
	.amdhsa_kernel _ZN5aiter24add_rmsnorm_quant_kernelItDB8_Li256ELi32ELb1ELb1ELb0ELi1EEEvPT0_PT_PfS5_S5_S5_diiiiiiib
		.amdhsa_group_segment_fixed_size 32
		.amdhsa_private_segment_fixed_size 0
		.amdhsa_kernarg_size 88
		.amdhsa_user_sgpr_count 6
		.amdhsa_user_sgpr_private_segment_buffer 1
		.amdhsa_user_sgpr_dispatch_ptr 0
		.amdhsa_user_sgpr_queue_ptr 0
		.amdhsa_user_sgpr_kernarg_segment_ptr 1
		.amdhsa_user_sgpr_dispatch_id 0
		.amdhsa_user_sgpr_flat_scratch_init 0
		.amdhsa_user_sgpr_kernarg_preload_length 0
		.amdhsa_user_sgpr_kernarg_preload_offset 0
		.amdhsa_user_sgpr_private_segment_size 0
		.amdhsa_uses_dynamic_stack 0
		.amdhsa_system_sgpr_private_segment_wavefront_offset 0
		.amdhsa_system_sgpr_workgroup_id_x 1
		.amdhsa_system_sgpr_workgroup_id_y 0
		.amdhsa_system_sgpr_workgroup_id_z 0
		.amdhsa_system_sgpr_workgroup_info 0
		.amdhsa_system_vgpr_workitem_id 0
		.amdhsa_next_free_vgpr 66
		.amdhsa_next_free_sgpr 40
		.amdhsa_accum_offset 68
		.amdhsa_reserve_vcc 1
		.amdhsa_reserve_flat_scratch 0
		.amdhsa_float_round_mode_32 0
		.amdhsa_float_round_mode_16_64 0
		.amdhsa_float_denorm_mode_32 3
		.amdhsa_float_denorm_mode_16_64 3
		.amdhsa_dx10_clamp 1
		.amdhsa_ieee_mode 1
		.amdhsa_fp16_overflow 0
		.amdhsa_tg_split 0
		.amdhsa_exception_fp_ieee_invalid_op 0
		.amdhsa_exception_fp_denorm_src 0
		.amdhsa_exception_fp_ieee_div_zero 0
		.amdhsa_exception_fp_ieee_overflow 0
		.amdhsa_exception_fp_ieee_underflow 0
		.amdhsa_exception_fp_ieee_inexact 0
		.amdhsa_exception_int_div_zero 0
	.end_amdhsa_kernel
	.section	.text._ZN5aiter24add_rmsnorm_quant_kernelItDB8_Li256ELi32ELb1ELb1ELb0ELi1EEEvPT0_PT_PfS5_S5_S5_diiiiiiib,"axG",@progbits,_ZN5aiter24add_rmsnorm_quant_kernelItDB8_Li256ELi32ELb1ELb1ELb0ELi1EEEvPT0_PT_PfS5_S5_S5_diiiiiiib,comdat
.Lfunc_end24:
	.size	_ZN5aiter24add_rmsnorm_quant_kernelItDB8_Li256ELi32ELb1ELb1ELb0ELi1EEEvPT0_PT_PfS5_S5_S5_diiiiiiib, .Lfunc_end24-_ZN5aiter24add_rmsnorm_quant_kernelItDB8_Li256ELi32ELb1ELb1ELb0ELi1EEEvPT0_PT_PfS5_S5_S5_diiiiiiib
                                        ; -- End function
	.section	.AMDGPU.csdata,"",@progbits
; Kernel info:
; codeLenInByte = 5428
; NumSgprs: 44
; NumVgprs: 66
; NumAgprs: 0
; TotalNumVgprs: 66
; ScratchSize: 0
; MemoryBound: 0
; FloatMode: 240
; IeeeMode: 1
; LDSByteSize: 32 bytes/workgroup (compile time only)
; SGPRBlocks: 5
; VGPRBlocks: 8
; NumSGPRsForWavesPerEU: 44
; NumVGPRsForWavesPerEU: 66
; AccumOffset: 68
; Occupancy: 7
; WaveLimiterHint : 0
; COMPUTE_PGM_RSRC2:SCRATCH_EN: 0
; COMPUTE_PGM_RSRC2:USER_SGPR: 6
; COMPUTE_PGM_RSRC2:TRAP_HANDLER: 0
; COMPUTE_PGM_RSRC2:TGID_X_EN: 1
; COMPUTE_PGM_RSRC2:TGID_Y_EN: 0
; COMPUTE_PGM_RSRC2:TGID_Z_EN: 0
; COMPUTE_PGM_RSRC2:TIDIG_COMP_CNT: 0
; COMPUTE_PGM_RSRC3_GFX90A:ACCUM_OFFSET: 16
; COMPUTE_PGM_RSRC3_GFX90A:TG_SPLIT: 0
	.section	.text._ZN5aiter24add_rmsnorm_quant_kernelIDF16_DB8_Li512ELi16ELb1ELb1ELb1ELi1EEEvPT0_PT_PfS5_S5_S5_diiiiiiib,"axG",@progbits,_ZN5aiter24add_rmsnorm_quant_kernelIDF16_DB8_Li512ELi16ELb1ELb1ELb1ELi1EEEvPT0_PT_PfS5_S5_S5_diiiiiiib,comdat
	.protected	_ZN5aiter24add_rmsnorm_quant_kernelIDF16_DB8_Li512ELi16ELb1ELb1ELb1ELi1EEEvPT0_PT_PfS5_S5_S5_diiiiiiib ; -- Begin function _ZN5aiter24add_rmsnorm_quant_kernelIDF16_DB8_Li512ELi16ELb1ELb1ELb1ELi1EEEvPT0_PT_PfS5_S5_S5_diiiiiiib
	.globl	_ZN5aiter24add_rmsnorm_quant_kernelIDF16_DB8_Li512ELi16ELb1ELb1ELb1ELi1EEEvPT0_PT_PfS5_S5_S5_diiiiiiib
	.p2align	8
	.type	_ZN5aiter24add_rmsnorm_quant_kernelIDF16_DB8_Li512ELi16ELb1ELb1ELb1ELi1EEEvPT0_PT_PfS5_S5_S5_diiiiiiib,@function
_ZN5aiter24add_rmsnorm_quant_kernelIDF16_DB8_Li512ELi16ELb1ELb1ELb1ELi1EEEvPT0_PT_PfS5_S5_S5_diiiiiiib: ; @_ZN5aiter24add_rmsnorm_quant_kernelIDF16_DB8_Li512ELi16ELb1ELb1ELb1ELi1EEEvPT0_PT_PfS5_S5_S5_diiiiiiib
; %bb.0:
	s_load_dwordx8 s[8:15], s[4:5], 0x38
	s_mov_b32 s7, 0
	s_waitcnt lgkmcnt(0)
	s_ashr_i32 s0, s8, 31
	v_mov_b32_e32 v2, s8
	v_mov_b32_e32 v3, s0
	v_cmp_ge_i64_e32 vcc, s[6:7], v[2:3]
	s_cbranch_vccnz .LBB25_49
; %bb.1:
	s_load_dwordx8 s[16:23], s[4:5], 0x0
	s_ashr_i32 s0, s10, 31
	s_mul_hi_u32 s1, s10, s6
	s_mul_i32 s0, s0, s6
	s_add_i32 s1, s1, s0
	s_mul_i32 s0, s10, s6
	s_lshl_b64 s[0:1], s[0:1], 1
	s_waitcnt lgkmcnt(0)
	s_add_u32 s0, s22, s0
	s_addc_u32 s1, s23, s1
	s_add_i32 s2, s9, 1
	s_lshr_b32 s3, s2, 31
	v_lshlrev_b32_e32 v27, 4, v0
	s_add_i32 s2, s2, s3
	v_lshlrev_b32_e32 v1, 3, v0
	v_and_b32_e32 v2, 0x3c00, v27
	s_movk_i32 s10, 0x1f8
	s_lshl_b32 s2, s2, 1
	v_and_or_b32 v1, v1, s10, v2
	s_load_dwordx8 s[24:31], s[4:5], 0x20
	s_and_b32 s2, s2, -4
	s_and_b32 s1, s1, 0xffff
	s_mov_b32 s3, 0x20000
	v_lshlrev_b32_e32 v26, 1, v1
	s_movk_i32 s10, 0x400
	buffer_load_dwordx4 v[10:13], v26, s[0:3], s10 offen glc slc
	buffer_load_dwordx4 v[14:17], v26, s[0:3], 0 offen glc slc
	s_ashr_i32 s0, s11, 31
	s_mul_hi_u32 s1, s11, s6
	s_mul_i32 s0, s0, s6
	s_add_i32 s1, s1, s0
	s_mul_i32 s0, s11, s6
	s_waitcnt lgkmcnt(0)
	s_and_b32 s37, s27, 0xffff
	s_lshl_b64 s[0:1], s[0:1], 1
	s_add_u32 s0, s24, s0
	s_addc_u32 s1, s25, s1
	s_and_b32 s1, s1, 0xffff
	buffer_load_dwordx4 v[18:21], v26, s[0:3], s10 offen glc slc
	buffer_load_dwordx4 v[22:25], v26, s[0:3], 0 offen glc slc
	s_mov_b32 s39, s3
	s_mov_b32 s36, s26
	s_mov_b32 s38, s2
	buffer_load_dwordx4 v[6:9], v26, s[36:39], 0 offen
	buffer_load_dwordx4 v[2:5], v26, s[36:39], s10 offen
	s_ashr_i32 s4, s12, 31
	s_mul_hi_u32 s1, s12, s6
	s_mul_i32 s4, s4, s6
	s_mul_i32 s0, s12, s6
	s_add_i32 s1, s1, s4
	s_lshl_b64 s[0:1], s[0:1], 1
	s_add_u32 s0, s18, s0
	s_addc_u32 s1, s19, s1
	s_and_b32 s1, s1, 0xffff
	s_waitcnt vmcnt(5)
	v_cvt_f32_f16_e32 v28, v10
	v_cvt_f32_f16_sdwa v29, v10 dst_sel:DWORD dst_unused:UNUSED_PAD src0_sel:WORD_1
	v_cvt_f32_f16_e32 v10, v11
	v_cvt_f32_f16_sdwa v11, v11 dst_sel:DWORD dst_unused:UNUSED_PAD src0_sel:WORD_1
	v_cvt_f32_f16_e32 v30, v12
	v_cvt_f32_f16_sdwa v31, v12 dst_sel:DWORD dst_unused:UNUSED_PAD src0_sel:WORD_1
	v_cvt_f32_f16_e32 v32, v13
	v_cvt_f32_f16_sdwa v33, v13 dst_sel:DWORD dst_unused:UNUSED_PAD src0_sel:WORD_1
	s_waitcnt vmcnt(4)
	v_cvt_f32_f16_e32 v34, v14
	v_cvt_f32_f16_sdwa v35, v14 dst_sel:DWORD dst_unused:UNUSED_PAD src0_sel:WORD_1
	v_cvt_f32_f16_e32 v36, v15
	v_cvt_f32_f16_sdwa v37, v15 dst_sel:DWORD dst_unused:UNUSED_PAD src0_sel:WORD_1
	v_cvt_f32_f16_e32 v38, v16
	v_cvt_f32_f16_sdwa v39, v16 dst_sel:DWORD dst_unused:UNUSED_PAD src0_sel:WORD_1
	v_cvt_f32_f16_e32 v40, v17
	v_cvt_f32_f16_sdwa v41, v17 dst_sel:DWORD dst_unused:UNUSED_PAD src0_sel:WORD_1
	;; [unrolled: 9-line block ×4, first 2 shown]
	v_pk_add_f32 v[16:17], v[28:29], v[12:13]
	v_pk_add_f32 v[14:15], v[10:11], v[14:15]
	;; [unrolled: 1-line block ×8, first 2 shown]
	v_cvt_f16_f32_e32 v28, v25
	v_cvt_f16_f32_e32 v29, v21
	;; [unrolled: 1-line block ×8, first 2 shown]
	v_pack_b32_f16 v31, v32, v31
	v_pack_b32_f16 v30, v33, v30
	;; [unrolled: 1-line block ×4, first 2 shown]
	buffer_store_dwordx4 v[28:31], v26, s[0:3], 0 offen glc slc
	v_cvt_f16_f32_e32 v32, v11
	v_cvt_f16_f32_e32 v28, v16
	;; [unrolled: 1-line block ×8, first 2 shown]
	v_pack_b32_f16 v31, v31, v32
	v_pack_b32_f16 v30, v30, v33
	;; [unrolled: 1-line block ×4, first 2 shown]
	;;#ASMSTART
	s_nop 0
	;;#ASMEND
	buffer_store_dwordx4 v[28:31], v26, s[0:3], s10 offen glc slc
	v_pk_mul_f32 v[28:29], v[24:25], v[24:25]
	v_pk_mul_f32 v[30:31], v[20:21], v[20:21]
	v_add_f32_e32 v26, v28, v29
	v_add_f32_e32 v26, v30, v26
	v_pk_mul_f32 v[32:33], v[18:19], v[18:19]
	v_add_f32_e32 v26, v31, v26
	v_add_f32_e32 v26, v32, v26
	;; [unrolled: 3-line block ×7, first 2 shown]
	v_add_f32_e32 v26, v43, v26
	v_and_b32_e32 v29, 63, v0
	v_cmp_eq_u32_e64 s[0:1], 63, v29
	v_mov_b32_dpp v28, v26 quad_perm:[1,0,3,2] row_mask:0xf bank_mask:0xf
	v_add_f32_e32 v26, v26, v28
	;;#ASMSTART
	s_nop 0
	;;#ASMEND
	s_nop 1
	v_mov_b32_dpp v28, v26 quad_perm:[2,3,0,1] row_mask:0xf bank_mask:0xf
	v_add_f32_e32 v26, v26, v28
	s_nop 1
	v_mov_b32_dpp v28, v26 row_half_mirror row_mask:0xf bank_mask:0xf
	v_add_f32_e32 v26, v26, v28
	s_nop 1
	v_mov_b32_dpp v28, v26 row_mirror row_mask:0xf bank_mask:0xf
	v_add_f32_e32 v26, v26, v28
	s_nop 1
	v_mov_b32_dpp v28, v26 row_bcast:15 row_mask:0xf bank_mask:0xf
	v_add_f32_e32 v26, v26, v28
	s_nop 1
	v_mov_b32_dpp v28, v26 row_bcast:31 row_mask:0xf bank_mask:0xf
	s_and_saveexec_b64 s[2:3], s[0:1]
	s_cbranch_execz .LBB25_3
; %bb.2:
	v_lshrrev_b32_e32 v29, 4, v0
	v_and_b32_e32 v29, 60, v29
	v_add_f32_e32 v26, v26, v28
	ds_write_b32 v29, v26 offset:32
.LBB25_3:
	s_or_b64 exec, exec, s[2:3]
	v_and_b32_e32 v26, 7, v0
	v_lshlrev_b32_e32 v26, 2, v26
	s_waitcnt lgkmcnt(0)
	s_barrier
	ds_read_b32 v28, v26 offset:32
	v_cvt_f32_i32_e32 v29, s9
	s_waitcnt vmcnt(3)
	v_cvt_f32_f16_sdwa v37, v9 dst_sel:DWORD dst_unused:UNUSED_PAD src0_sel:WORD_1
	v_cvt_f32_f16_e32 v36, v9
	s_cmp_lg_u32 s14, 0
	s_waitcnt lgkmcnt(0)
	v_mov_b32_dpp v30, v28 quad_perm:[1,0,3,2] row_mask:0xf bank_mask:0xf
	v_add_f32_e32 v28, v28, v30
	s_nop 1
	v_mov_b32_dpp v30, v28 quad_perm:[2,3,0,1] row_mask:0xf bank_mask:0xf
	v_add_f32_e32 v28, v28, v30
	s_nop 1
	v_mov_b32_dpp v30, v28 row_half_mirror row_mask:0xf bank_mask:0xf
	v_add_f32_e32 v28, v28, v30
	v_div_scale_f32 v30, s[2:3], v29, v29, v28
	v_rcp_f32_e32 v31, v30
	v_div_scale_f32 v32, vcc, v28, v29, v28
	s_mov_b32 s2, 0x800000
	v_fma_f32 v33, -v30, v31, 1.0
	v_fmac_f32_e32 v31, v33, v31
	v_mul_f32_e32 v33, v32, v31
	v_fma_f32 v34, -v30, v33, v32
	v_fmac_f32_e32 v33, v34, v31
	v_fma_f32 v30, -v30, v33, v32
	v_div_fmas_f32 v30, v30, v31, v33
	v_div_fixup_f32 v28, v30, v29, v28
	v_cvt_f64_f32_e32 v[28:29], v28
	v_add_f64 v[28:29], v[28:29], s[28:29]
	v_cvt_f32_f64_e32 v28, v[28:29]
	v_mul_f32_e32 v29, 0x4b800000, v28
	v_cmp_gt_f32_e32 vcc, s2, v28
	v_cndmask_b32_e32 v28, v28, v29, vcc
	v_rsq_f32_e32 v28, v28
	v_mul_f32_e32 v29, 0x45800000, v28
	v_cndmask_b32_e32 v28, v28, v29, vcc
	v_mov_b32_e32 v29, v28
	;;#ASMSTART
	v_pk_mul_f32 v[24:25], v[24:25], v[28:29]
	;;#ASMEND
	;;#ASMSTART
	v_pk_mul_f32 v[20:21], v[20:21], v[28:29]
	;;#ASMEND
	;; [unrolled: 3-line block ×8, first 2 shown]
	v_cvt_f32_f16_sdwa v11, v6 dst_sel:DWORD dst_unused:UNUSED_PAD src0_sel:WORD_1
	v_cvt_f32_f16_e32 v10, v6
	v_cvt_f32_f16_sdwa v13, v7 dst_sel:DWORD dst_unused:UNUSED_PAD src0_sel:WORD_1
	v_cvt_f32_f16_e32 v12, v7
	;; [unrolled: 2-line block ×3, first 2 shown]
	;;#ASMSTART
	v_pk_mul_f32 v[16:17], v[24:25], v[10:11]
	;;#ASMEND
	;;#ASMSTART
	v_pk_mul_f32 v[14:15], v[20:21], v[12:13]
	;;#ASMEND
	;; [unrolled: 3-line block ×3, first 2 shown]
	s_waitcnt vmcnt(2)
	v_cvt_f32_f16_sdwa v7, v2 dst_sel:DWORD dst_unused:UNUSED_PAD src0_sel:WORD_1
	v_cvt_f32_f16_e32 v6, v2
	v_cvt_f32_f16_sdwa v19, v3 dst_sel:DWORD dst_unused:UNUSED_PAD src0_sel:WORD_1
	v_cvt_f32_f16_e32 v18, v3
	;; [unrolled: 2-line block ×3, first 2 shown]
	v_cvt_f32_f16_e32 v20, v5
	;;#ASMSTART
	v_pk_mul_f32 v[8:9], v[22:23], v[36:37]
	;;#ASMEND
	v_cvt_f32_f16_sdwa v21, v5 dst_sel:DWORD dst_unused:UNUSED_PAD src0_sel:WORD_1
	;;#ASMSTART
	v_pk_mul_f32 v[10:11], v[30:31], v[6:7]
	;;#ASMEND
	;;#ASMSTART
	v_pk_mul_f32 v[6:7], v[32:33], v[18:19]
	;;#ASMEND
	;; [unrolled: 3-line block ×4, first 2 shown]
	v_and_b32_e32 v18, 0x7fffffff, v16
	v_mov_b32_e32 v20, 0x2edbe6ff
	v_and_b32_e32 v19, 0x7fffffff, v17
	;;#ASMSTART
	v_max3_f32 v18, v20, v18, v19

	;;#ASMEND
	v_and_b32_e32 v20, 0x7fffffff, v15
	v_and_b32_e32 v19, 0x7fffffff, v14
	;;#ASMSTART
	v_max3_f32 v18, v18, v19, v20

	;;#ASMEND
	v_and_b32_e32 v20, 0x7fffffff, v13
	;; [unrolled: 6-line block ×7, first 2 shown]
	v_and_b32_e32 v19, 0x7fffffff, v2
	;;#ASMSTART
	v_max3_f32 v20, v18, v19, v20

	;;#ASMEND
	s_cbranch_scc0 .LBB25_10
; %bb.4:
	s_ashr_i32 s12, s14, 31
	s_lshr_b32 s2, s12, 28
	s_add_i32 s2, s14, s2
	s_ashr_i32 s10, s2, 4
	s_cmp_lt_i32 s10, 16
	s_cbranch_scc1 .LBB25_11
; %bb.5:
	s_cmp_lt_i32 s10, 32
	s_cbranch_scc1 .LBB25_12
; %bb.6:
	s_cmp_lt_i32 s10, 64
	s_cbranch_scc1 .LBB25_13
; %bb.7:
	s_cmp_eq_u32 s10, 64
	v_mov_b32_e32 v18, v20
	s_cbranch_scc0 .LBB25_9
; %bb.8:
	s_nop 0
	v_mov_b32_dpp v18, v20 quad_perm:[1,0,3,2] row_mask:0xf bank_mask:0xf
	v_cmp_gt_f32_e32 vcc, v20, v18
	v_cndmask_b32_e32 v18, v18, v20, vcc
	v_bfrev_b32_e32 v21, 0.5
	s_nop 0
	v_mov_b32_dpp v19, v18 quad_perm:[2,3,0,1] row_mask:0xf bank_mask:0xf
	v_cmp_gt_f32_e32 vcc, v18, v19
	v_cndmask_b32_e32 v18, v19, v18, vcc
	s_nop 1
	v_mov_b32_dpp v19, v18 row_ror:4 row_mask:0xf bank_mask:0xf
	v_cmp_gt_f32_e32 vcc, v18, v19
	v_cndmask_b32_e32 v18, v19, v18, vcc
	s_nop 1
	v_mov_b32_dpp v19, v18 row_ror:8 row_mask:0xf bank_mask:0xf
	v_cmp_gt_f32_e32 vcc, v18, v19
	v_cndmask_b32_e32 v18, v19, v18, vcc
	s_nop 1
	v_mov_b32_dpp v19, v18 row_bcast:15 row_mask:0xf bank_mask:0xf
	v_cmp_gt_f32_e32 vcc, v18, v19
	v_cndmask_b32_e32 v18, v19, v18, vcc
	s_nop 1
	v_mov_b32_dpp v19, v18 row_bcast:31 row_mask:0xf bank_mask:0xf
	v_cmp_gt_f32_e32 vcc, v18, v19
	v_cndmask_b32_e32 v18, v19, v18, vcc
	v_mbcnt_lo_u32_b32 v19, -1, 0
	v_mbcnt_hi_u32_b32 v19, -1, v19
	v_lshl_or_b32 v19, v19, 2, v21
	ds_bpermute_b32 v18, v19, v18
.LBB25_9:
	s_mov_b64 s[2:3], 0
	s_branch .LBB25_14
.LBB25_10:
	s_mov_b64 s[2:3], 0
                                        ; implicit-def: $vgpr21
                                        ; implicit-def: $vgpr18_vgpr19
	s_cbranch_execnz .LBB25_43
	s_branch .LBB25_46
.LBB25_11:
                                        ; implicit-def: $vgpr18
	s_branch .LBB25_21
.LBB25_12:
                                        ; implicit-def: $vgpr18
	s_branch .LBB25_18
.LBB25_13:
	s_mov_b64 s[2:3], -1
                                        ; implicit-def: $vgpr18
.LBB25_14:
	s_andn2_b64 vcc, exec, s[2:3]
	s_cbranch_vccnz .LBB25_17
; %bb.15:
	s_cmp_eq_u32 s10, 32
	s_waitcnt lgkmcnt(0)
	v_mov_b32_e32 v18, v20
	s_cbranch_scc0 .LBB25_17
; %bb.16:
	s_nop 0
	v_mov_b32_dpp v18, v20 quad_perm:[1,0,3,2] row_mask:0xf bank_mask:0xf
	v_cmp_gt_f32_e32 vcc, v20, v18
	v_cndmask_b32_e32 v18, v18, v20, vcc
	v_mov_b32_e32 v21, 0x7c
	s_nop 0
	v_mov_b32_dpp v19, v18 quad_perm:[2,3,0,1] row_mask:0xf bank_mask:0xf
	v_cmp_gt_f32_e32 vcc, v18, v19
	v_cndmask_b32_e32 v18, v19, v18, vcc
	s_nop 1
	v_mov_b32_dpp v19, v18 row_half_mirror row_mask:0xf bank_mask:0xf
	v_cmp_gt_f32_e32 vcc, v18, v19
	v_cndmask_b32_e32 v18, v19, v18, vcc
	s_nop 1
	v_mov_b32_dpp v19, v18 row_mirror row_mask:0xf bank_mask:0xf
	v_cmp_gt_f32_e32 vcc, v18, v19
	v_cndmask_b32_e32 v18, v19, v18, vcc
	s_nop 1
	v_mov_b32_dpp v19, v18 row_bcast:15 row_mask:0xa bank_mask:0xf
	v_cmp_gt_f32_e32 vcc, v18, v19
	v_cndmask_b32_e32 v18, v19, v18, vcc
	v_mbcnt_lo_u32_b32 v19, -1, 0
	v_mbcnt_hi_u32_b32 v19, -1, v19
	v_lshl_or_b32 v19, v19, 2, v21
	ds_bpermute_b32 v18, v19, v18
.LBB25_17:
	s_cbranch_execnz .LBB25_20
.LBB25_18:
	s_cmp_eq_u32 s10, 16
	s_waitcnt lgkmcnt(0)
	v_mov_b32_e32 v18, v20
	s_cbranch_scc0 .LBB25_20
; %bb.19:
	s_nop 0
	v_mov_b32_dpp v18, v20 quad_perm:[1,0,3,2] row_mask:0xf bank_mask:0xf
	v_cmp_gt_f32_e32 vcc, v20, v18
	v_cndmask_b32_e32 v18, v18, v20, vcc
	s_nop 1
	v_mov_b32_dpp v19, v18 quad_perm:[2,3,0,1] row_mask:0xf bank_mask:0xf
	v_cmp_gt_f32_e32 vcc, v18, v19
	v_cndmask_b32_e32 v18, v19, v18, vcc
	s_nop 1
	v_mov_b32_dpp v19, v18 row_half_mirror row_mask:0xf bank_mask:0xf
	v_cmp_gt_f32_e32 vcc, v18, v19
	v_cndmask_b32_e32 v18, v19, v18, vcc
	s_nop 1
	v_mov_b32_dpp v19, v18 row_mirror row_mask:0xf bank_mask:0xf
	v_cmp_gt_f32_e32 vcc, v18, v19
	v_cndmask_b32_e32 v18, v19, v18, vcc
.LBB25_20:
	s_cbranch_execnz .LBB25_33
.LBB25_21:
	s_cmp_lt_i32 s10, 4
	s_cbranch_scc1 .LBB25_25
; %bb.22:
	s_cmp_lt_i32 s10, 8
	s_cbranch_scc1 .LBB25_26
; %bb.23:
	s_cmp_eq_u32 s10, 8
	s_waitcnt lgkmcnt(0)
	v_mov_b32_e32 v18, v20
	s_cbranch_scc0 .LBB25_27
; %bb.24:
	s_nop 0
	v_mov_b32_dpp v18, v20 quad_perm:[1,0,3,2] row_mask:0xf bank_mask:0xf
	v_cmp_gt_f32_e32 vcc, v20, v18
	v_cndmask_b32_e32 v18, v18, v20, vcc
	s_nop 1
	v_mov_b32_dpp v19, v18 quad_perm:[2,3,0,1] row_mask:0xf bank_mask:0xf
	v_cmp_gt_f32_e32 vcc, v18, v19
	v_cndmask_b32_e32 v18, v19, v18, vcc
	s_nop 1
	v_mov_b32_dpp v19, v18 row_half_mirror row_mask:0xf bank_mask:0xf
	v_cmp_gt_f32_e32 vcc, v18, v19
	v_cndmask_b32_e32 v18, v19, v18, vcc
	s_cbranch_execz .LBB25_28
	s_branch .LBB25_30
.LBB25_25:
                                        ; implicit-def: $vgpr18
	s_branch .LBB25_31
.LBB25_26:
                                        ; implicit-def: $vgpr18
	s_branch .LBB25_28
.LBB25_27:
	s_cbranch_execnz .LBB25_30
.LBB25_28:
	s_cmp_eq_u32 s10, 4
	s_waitcnt lgkmcnt(0)
	v_mov_b32_e32 v18, v20
	s_cbranch_scc0 .LBB25_30
; %bb.29:
	s_nop 0
	v_mov_b32_dpp v18, v20 quad_perm:[1,0,3,2] row_mask:0xf bank_mask:0xf
	v_cmp_gt_f32_e32 vcc, v20, v18
	v_cndmask_b32_e32 v18, v18, v20, vcc
	s_nop 1
	v_mov_b32_dpp v19, v18 quad_perm:[2,3,0,1] row_mask:0xf bank_mask:0xf
	v_cmp_gt_f32_e32 vcc, v18, v19
	v_cndmask_b32_e32 v18, v19, v18, vcc
.LBB25_30:
	s_cbranch_execnz .LBB25_33
.LBB25_31:
	s_cmp_lg_u32 s10, 2
	s_waitcnt lgkmcnt(0)
	v_mov_b32_e32 v18, v20
	s_cbranch_scc1 .LBB25_33
; %bb.32:
	s_nop 0
	v_mov_b32_dpp v18, v20 quad_perm:[1,0,3,2] row_mask:0xf bank_mask:0xf
	v_cmp_gt_f32_e32 vcc, v20, v18
	v_cndmask_b32_e32 v18, v18, v20, vcc
.LBB25_33:
	v_cvt_f32_u32_e32 v19, s10
	s_waitcnt lgkmcnt(0)
	v_mul_f32_e32 v21, 0x3b124925, v18
	s_sub_i32 s2, 0, s10
	v_cmp_gt_u32_e32 vcc, s9, v27
	v_rcp_iflag_f32_e32 v19, v19
	s_mov_b64 s[4:5], 0
	v_mul_f32_e32 v18, 0x4f7ffffe, v19
	v_cvt_u32_f32_e32 v18, v18
	v_mul_lo_u32 v19, s2, v18
	v_mul_hi_u32 v19, v18, v19
	v_add_u32_e32 v18, v18, v19
	v_mul_hi_u32 v18, v0, v18
	v_mul_lo_u32 v19, v18, s10
	v_sub_u32_e32 v19, v0, v19
	v_add_u32_e32 v22, 1, v18
	v_cmp_le_u32_e64 s[2:3], s10, v19
	v_cndmask_b32_e64 v18, v18, v22, s[2:3]
	v_subrev_u32_e32 v22, s10, v19
	v_cndmask_b32_e64 v19, v19, v22, s[2:3]
	v_add_u32_e32 v22, 1, v18
	v_cmp_le_u32_e64 s[2:3], s10, v19
	v_cndmask_b32_e64 v22, v18, v22, s[2:3]
	v_mul_lo_u32 v18, v22, s10
	v_sub_u32_e32 v18, v0, v18
	v_cmp_eq_u32_e64 s[2:3], 0, v18
	s_and_b64 s[10:11], s[2:3], vcc
	s_mov_b64 s[2:3], 0
                                        ; implicit-def: $vgpr18_vgpr19
	s_and_saveexec_b64 s[18:19], s[10:11]
	s_xor_b64 s[10:11], exec, s[18:19]
	s_cbranch_execz .LBB25_42
; %bb.34:
	s_bitcmp0_b32 s15, 0
	s_cbranch_scc0 .LBB25_39
; %bb.35:
	s_ashr_i32 s2, s9, 31
	s_mul_hi_u32 s3, s9, s6
	s_mul_i32 s2, s2, s6
	s_add_i32 s19, s3, s2
	s_mul_i32 s18, s9, s6
	s_mov_b32 s15, s12
	s_or_b64 s[2:3], s[18:19], s[14:15]
	s_mov_b32 s2, 0
	s_cmp_lg_u64 s[2:3], 0
	s_cbranch_scc0 .LBB25_50
; %bb.36:
	s_add_u32 s2, s14, s15
	s_mov_b32 s24, s15
	s_mov_b32 s25, s15
	s_addc_u32 s3, s15, s15
	s_xor_b64 s[26:27], s[2:3], s[24:25]
	v_cvt_f32_u32_e32 v18, s26
	v_cvt_f32_u32_e32 v19, s27
	s_sub_u32 s2, 0, s26
	s_subb_u32 s3, 0, s27
	v_madmk_f32 v18, v19, 0x4f800000, v18
	v_rcp_f32_e32 v18, v18
	v_mul_f32_e32 v18, 0x5f7ffffc, v18
	v_mul_f32_e32 v19, 0x2f800000, v18
	v_trunc_f32_e32 v19, v19
	v_madmk_f32 v18, v19, 0xcf800000, v18
	v_cvt_u32_f32_e32 v19, v19
	v_cvt_u32_f32_e32 v18, v18
	v_readfirstlane_b32 s12, v19
	v_readfirstlane_b32 s15, v18
	s_mul_i32 s28, s2, s12
	s_mul_hi_u32 s30, s2, s15
	s_mul_i32 s29, s3, s15
	s_add_i32 s28, s30, s28
	s_add_i32 s28, s28, s29
	s_mul_i32 s31, s2, s15
	s_mul_hi_u32 s29, s15, s28
	s_mul_i32 s30, s15, s28
	s_mul_hi_u32 s15, s15, s31
	s_add_u32 s15, s15, s30
	s_addc_u32 s29, 0, s29
	s_mul_hi_u32 s33, s12, s31
	s_mul_i32 s31, s12, s31
	s_add_u32 s15, s15, s31
	s_mul_hi_u32 s30, s12, s28
	s_addc_u32 s15, s29, s33
	s_addc_u32 s29, s30, 0
	s_mul_i32 s28, s12, s28
	s_add_u32 s15, s15, s28
	s_addc_u32 s28, 0, s29
	v_add_co_u32_e32 v18, vcc, s15, v18
	s_cmp_lg_u64 vcc, 0
	s_addc_u32 s12, s12, s28
	v_readfirstlane_b32 s28, v18
	s_mul_i32 s15, s2, s12
	s_mul_hi_u32 s29, s2, s28
	s_add_i32 s15, s29, s15
	s_mul_i32 s3, s3, s28
	s_add_i32 s15, s15, s3
	s_mul_i32 s2, s2, s28
	s_mul_hi_u32 s29, s12, s2
	s_mul_i32 s30, s12, s2
	s_mul_i32 s33, s28, s15
	s_mul_hi_u32 s2, s28, s2
	s_mul_hi_u32 s31, s28, s15
	s_add_u32 s2, s2, s33
	s_addc_u32 s28, 0, s31
	s_add_u32 s2, s2, s30
	s_mul_hi_u32 s3, s12, s15
	s_addc_u32 s2, s28, s29
	s_addc_u32 s3, s3, 0
	s_mul_i32 s15, s12, s15
	s_add_u32 s2, s2, s15
	s_addc_u32 s3, 0, s3
	v_add_co_u32_e32 v18, vcc, s2, v18
	s_cmp_lg_u64 vcc, 0
	s_addc_u32 s12, s12, s3
	s_ashr_i32 s28, s19, 31
	s_add_u32 s2, s18, s28
	s_mov_b32 s29, s28
	s_addc_u32 s3, s19, s28
	s_xor_b64 s[30:31], s[2:3], s[28:29]
	v_readfirstlane_b32 s15, v18
	s_mul_i32 s3, s30, s12
	s_mul_hi_u32 s19, s30, s15
	s_mul_hi_u32 s2, s30, s12
	s_add_u32 s3, s19, s3
	s_addc_u32 s2, 0, s2
	s_mul_hi_u32 s33, s31, s15
	s_mul_i32 s15, s31, s15
	s_add_u32 s3, s3, s15
	s_mul_hi_u32 s19, s31, s12
	s_addc_u32 s2, s2, s33
	s_addc_u32 s3, s19, 0
	s_mul_i32 s12, s31, s12
	s_add_u32 s12, s2, s12
	s_addc_u32 s15, 0, s3
	s_mul_i32 s2, s26, s15
	s_mul_hi_u32 s3, s26, s12
	s_add_i32 s2, s3, s2
	s_mul_i32 s3, s27, s12
	s_add_i32 s19, s2, s3
	s_mul_i32 s3, s26, s12
	v_mov_b32_e32 v18, s3
	s_sub_i32 s2, s31, s19
	v_sub_co_u32_e32 v18, vcc, s30, v18
	s_cmp_lg_u64 vcc, 0
	s_subb_u32 s30, s2, s27
	v_subrev_co_u32_e64 v19, s[2:3], s26, v18
	s_cmp_lg_u64 s[2:3], 0
	s_subb_u32 s30, s30, 0
	s_cmp_ge_u32 s30, s27
	s_cselect_b32 s33, -1, 0
	v_cmp_le_u32_e64 s[2:3], s26, v19
	s_cmp_eq_u32 s30, s27
	v_cndmask_b32_e64 v19, 0, -1, s[2:3]
	v_mov_b32_e32 v23, s33
	s_cselect_b64 s[2:3], -1, 0
	v_cndmask_b32_e64 v19, v23, v19, s[2:3]
	s_add_u32 s2, s12, 1
	s_addc_u32 s30, s15, 0
	s_add_u32 s3, s12, 2
	s_addc_u32 s33, s15, 0
	v_mov_b32_e32 v23, s2
	v_mov_b32_e32 v24, s3
	v_cmp_ne_u32_e64 s[2:3], 0, v19
	v_cndmask_b32_e64 v19, v23, v24, s[2:3]
	v_mov_b32_e32 v23, s30
	v_mov_b32_e32 v24, s33
	s_cmp_lg_u64 vcc, 0
	v_cndmask_b32_e64 v23, v23, v24, s[2:3]
	s_subb_u32 s2, s31, s19
	s_cmp_ge_u32 s2, s27
	s_cselect_b32 s3, -1, 0
	v_cmp_le_u32_e32 vcc, s26, v18
	s_cmp_eq_u32 s2, s27
	v_cndmask_b32_e64 v18, 0, -1, vcc
	v_mov_b32_e32 v24, s3
	s_cselect_b64 vcc, -1, 0
	v_cndmask_b32_e32 v18, v24, v18, vcc
	v_mov_b32_e32 v24, s15
	v_cmp_ne_u32_e32 vcc, 0, v18
	v_cndmask_b32_e32 v18, v24, v23, vcc
	v_mov_b32_e32 v23, s12
	v_cndmask_b32_e32 v19, v23, v19, vcc
	s_xor_b64 s[2:3], s[28:29], s[24:25]
	v_xor_b32_e32 v19, s2, v19
	v_xor_b32_e32 v23, s3, v18
	v_mov_b32_e32 v24, s3
	v_subrev_co_u32_e32 v18, vcc, s2, v19
	v_subb_co_u32_e32 v19, vcc, v23, v24, vcc
	s_cbranch_execnz .LBB25_38
.LBB25_37:
	v_cvt_f32_u32_e32 v18, s14
	s_sub_i32 s2, 0, s14
	s_mov_b32 s3, 0
	v_rcp_iflag_f32_e32 v18, v18
	v_mul_f32_e32 v18, 0x4f7ffffe, v18
	v_cvt_u32_f32_e32 v18, v18
	v_readfirstlane_b32 s12, v18
	s_mul_i32 s2, s2, s12
	s_mul_hi_u32 s2, s12, s2
	s_add_i32 s12, s12, s2
	s_mul_hi_u32 s2, s18, s12
	s_mul_i32 s15, s2, s14
	s_sub_i32 s15, s18, s15
	s_add_i32 s12, s2, 1
	s_sub_i32 s18, s15, s14
	s_cmp_ge_u32 s15, s14
	s_cselect_b32 s2, s12, s2
	s_cselect_b32 s15, s18, s15
	s_add_i32 s12, s2, 1
	s_cmp_ge_u32 s15, s14
	s_cselect_b32 s2, s12, s2
	v_pk_mov_b32 v[18:19], s[2:3], s[2:3] op_sel:[0,1]
.LBB25_38:
	v_add_co_u32_e32 v18, vcc, v18, v22
	v_addc_co_u32_e32 v19, vcc, 0, v19, vcc
	s_branch .LBB25_41
.LBB25_39:
                                        ; implicit-def: $vgpr18_vgpr19
	s_cbranch_execz .LBB25_41
; %bb.40:
	v_mul_lo_u32 v18, v22, s8
	v_ashrrev_i32_e32 v19, 31, v18
	v_mov_b32_e32 v22, s7
	v_add_co_u32_e32 v18, vcc, s6, v18
	v_addc_co_u32_e32 v19, vcc, v19, v22, vcc
.LBB25_41:
	s_mov_b64 s[2:3], exec
.LBB25_42:
	s_or_b64 exec, exec, s[10:11]
	s_and_b64 vcc, exec, s[4:5]
	s_cbranch_vccz .LBB25_46
.LBB25_43:
	v_mov_b32_dpp v18, v20 quad_perm:[1,0,3,2] row_mask:0xf bank_mask:0xf
	v_cmp_gt_f32_e32 vcc, v20, v18
	v_cndmask_b32_e32 v18, v18, v20, vcc
	s_nop 1
	v_mov_b32_dpp v19, v18 quad_perm:[2,3,0,1] row_mask:0xf bank_mask:0xf
	v_cmp_gt_f32_e32 vcc, v18, v19
	v_cndmask_b32_e32 v18, v19, v18, vcc
	s_nop 1
	v_mov_b32_dpp v19, v18 row_half_mirror row_mask:0xf bank_mask:0xf
	v_cmp_gt_f32_e32 vcc, v18, v19
	v_cndmask_b32_e32 v18, v19, v18, vcc
	s_nop 1
	v_mov_b32_dpp v19, v18 row_mirror row_mask:0xf bank_mask:0xf
	v_cmp_gt_f32_e32 vcc, v18, v19
	v_cndmask_b32_e32 v18, v19, v18, vcc
	s_nop 1
	v_mov_b32_dpp v19, v18 row_bcast:15 row_mask:0xf bank_mask:0xf
	v_cmp_gt_f32_e32 vcc, v18, v19
	v_cndmask_b32_e32 v18, v19, v18, vcc
	s_nop 1
	v_mov_b32_dpp v19, v18 row_bcast:31 row_mask:0xf bank_mask:0xf
	s_and_saveexec_b64 s[2:3], s[0:1]
	s_cbranch_execz .LBB25_45
; %bb.44:
	v_lshrrev_b32_e32 v20, 4, v0
	v_cmp_gt_f32_e32 vcc, v18, v19
	v_and_b32_e32 v20, 60, v20
	v_cndmask_b32_e32 v18, v19, v18, vcc
	ds_write_b32 v20, v18
.LBB25_45:
	s_or_b64 exec, exec, s[2:3]
	s_waitcnt lgkmcnt(0)
	s_barrier
	ds_read_b32 v18, v26
	v_cmp_eq_u32_e64 s[2:3], 0, v0
	s_waitcnt lgkmcnt(0)
	v_mov_b32_dpp v19, v18 quad_perm:[1,0,3,2] row_mask:0xf bank_mask:0xf
	v_cmp_gt_f32_e32 vcc, v18, v19
	v_cndmask_b32_e32 v18, v19, v18, vcc
	s_nop 1
	v_mov_b32_dpp v19, v18 quad_perm:[2,3,0,1] row_mask:0xf bank_mask:0xf
	v_cmp_gt_f32_e32 vcc, v18, v19
	v_cndmask_b32_e32 v18, v19, v18, vcc
	s_nop 1
	v_mov_b32_dpp v19, v18 row_half_mirror row_mask:0xf bank_mask:0xf
	v_cmp_gt_f32_e32 vcc, v18, v19
	v_cndmask_b32_e32 v18, v19, v18, vcc
	v_mul_f32_e32 v21, 0x3b124925, v18
	v_pk_mov_b32 v[18:19], s[6:7], s[6:7] op_sel:[0,1]
.LBB25_46:
	s_and_saveexec_b64 s[0:1], s[2:3]
	s_cbranch_execz .LBB25_48
; %bb.47:
	v_lshlrev_b64 v[18:19], 2, v[18:19]
	v_mov_b32_e32 v0, s21
	v_add_co_u32_e32 v18, vcc, s20, v18
	v_addc_co_u32_e32 v19, vcc, v0, v19, vcc
	global_store_dword v[18:19], v21, off
.LBB25_48:
	s_or_b64 exec, exec, s[0:1]
	s_add_i32 s0, s9, 3
	s_ashr_i32 s1, s0, 31
	s_lshr_b32 s1, s1, 30
	s_add_i32 s0, s0, s1
	;;#ASMSTART
	v_rcp_f32 v18, v21
	;;#ASMEND
	v_mov_b32_e32 v19, v18
	;;#ASMSTART
	v_pk_mul_f32 v[16:17], v[16:17], v[18:19]
	;;#ASMEND
	s_and_b32 s2, s0, -4
	s_ashr_i32 s0, s13, 31
	v_mov_b32_e32 v0, 0xc3e00000
	v_mov_b32_e32 v20, 0x43e00000
	;;#ASMSTART
	v_med3_f32 v16, v16, v0, v20
v_med3_f32 v17, v17, v0, v20
v_cvt_pk_fp8_f32 v21, v16, v17
	;;#ASMEND
	;;#ASMSTART
	v_pk_mul_f32 v[14:15], v[14:15], v[18:19]
	;;#ASMEND
	s_mul_hi_u32 s1, s13, s6
	s_mul_i32 s0, s0, s6
	;;#ASMSTART
	v_med3_f32 v14, v14, v0, v20
v_med3_f32 v15, v15, v0, v20
v_cvt_pk_fp8_f32 v16, v14, v15
	;;#ASMEND
	s_mov_b32 s5, 0x5040100
	s_add_i32 s1, s1, s0
	s_mul_i32 s0, s13, s6
	v_perm_b32 v15, v16, v21, s5
	s_movk_i32 s6, 0xff
	v_and_b32_e32 v14, 0xffffff00, v16
	v_and_b32_sdwa v16, v15, s6 dst_sel:DWORD dst_unused:UNUSED_PAD src0_sel:WORD_1 src1_sel:DWORD
	s_mov_b32 s4, 0xffff
	v_or_b32_sdwa v14, v16, v14 dst_sel:WORD_1 dst_unused:UNUSED_PAD src0_sel:DWORD src1_sel:DWORD
	;;#ASMSTART
	v_pk_mul_f32 v[12:13], v[12:13], v[18:19]
	;;#ASMEND
	v_and_or_b32 v14, v15, s4, v14
	;;#ASMSTART
	v_med3_f32 v12, v12, v0, v20
v_med3_f32 v13, v13, v0, v20
v_cvt_pk_fp8_f32 v15, v12, v13
	;;#ASMEND
	;;#ASMSTART
	v_pk_mul_f32 v[8:9], v[8:9], v[18:19]
	;;#ASMEND
	s_add_u32 s0, s16, s0
	;;#ASMSTART
	v_med3_f32 v8, v8, v0, v20
v_med3_f32 v9, v9, v0, v20
v_cvt_pk_fp8_f32 v12, v8, v9
	;;#ASMEND
	s_addc_u32 s1, s17, s1
	v_lshlrev_b32_e32 v8, 16, v12
	s_and_b32 s1, s1, 0xffff
	s_mov_b32 s3, 0x20000
	v_and_or_b32 v15, v15, s4, v8
	buffer_store_dwordx2 v[14:15], v1, s[0:3], 0 offen
	;;#ASMSTART
	s_nop 0
	;;#ASMEND
	;;#ASMSTART
	v_pk_mul_f32 v[8:9], v[10:11], v[18:19]
	;;#ASMEND
	;;#ASMSTART
	v_med3_f32 v8, v8, v0, v20
v_med3_f32 v9, v9, v0, v20
v_cvt_pk_fp8_f32 v10, v8, v9
	;;#ASMEND
	;;#ASMSTART
	v_pk_mul_f32 v[6:7], v[6:7], v[18:19]
	;;#ASMEND
	;;#ASMSTART
	v_med3_f32 v6, v6, v0, v20
v_med3_f32 v7, v7, v0, v20
v_cvt_pk_fp8_f32 v8, v6, v7
	;;#ASMEND
	v_perm_b32 v7, v8, v10, s5
	v_and_b32_e32 v6, 0xffffff00, v8
	v_and_b32_sdwa v8, v7, s6 dst_sel:DWORD dst_unused:UNUSED_PAD src0_sel:WORD_1 src1_sel:DWORD
	v_or_b32_sdwa v6, v8, v6 dst_sel:WORD_1 dst_unused:UNUSED_PAD src0_sel:DWORD src1_sel:DWORD
	;;#ASMSTART
	v_pk_mul_f32 v[4:5], v[4:5], v[18:19]
	;;#ASMEND
	v_and_or_b32 v6, v7, s4, v6
	;;#ASMSTART
	v_med3_f32 v4, v4, v0, v20
v_med3_f32 v5, v5, v0, v20
v_cvt_pk_fp8_f32 v7, v4, v5
	;;#ASMEND
	;;#ASMSTART
	v_pk_mul_f32 v[2:3], v[2:3], v[18:19]
	;;#ASMEND
	;;#ASMSTART
	v_med3_f32 v2, v2, v0, v20
v_med3_f32 v3, v3, v0, v20
v_cvt_pk_fp8_f32 v0, v2, v3
	;;#ASMEND
	v_lshlrev_b32_e32 v0, 16, v0
	v_and_or_b32 v7, v7, s4, v0
	s_movk_i32 s4, 0x200
	buffer_store_dwordx2 v[6:7], v1, s[0:3], s4 offen
	;;#ASMSTART
	s_nop 0
	;;#ASMEND
.LBB25_49:
	s_endpgm
.LBB25_50:
                                        ; implicit-def: $vgpr18_vgpr19
	s_branch .LBB25_37
	.section	.rodata,"a",@progbits
	.p2align	6, 0x0
	.amdhsa_kernel _ZN5aiter24add_rmsnorm_quant_kernelIDF16_DB8_Li512ELi16ELb1ELb1ELb1ELi1EEEvPT0_PT_PfS5_S5_S5_diiiiiiib
		.amdhsa_group_segment_fixed_size 64
		.amdhsa_private_segment_fixed_size 0
		.amdhsa_kernarg_size 88
		.amdhsa_user_sgpr_count 6
		.amdhsa_user_sgpr_private_segment_buffer 1
		.amdhsa_user_sgpr_dispatch_ptr 0
		.amdhsa_user_sgpr_queue_ptr 0
		.amdhsa_user_sgpr_kernarg_segment_ptr 1
		.amdhsa_user_sgpr_dispatch_id 0
		.amdhsa_user_sgpr_flat_scratch_init 0
		.amdhsa_user_sgpr_kernarg_preload_length 0
		.amdhsa_user_sgpr_kernarg_preload_offset 0
		.amdhsa_user_sgpr_private_segment_size 0
		.amdhsa_uses_dynamic_stack 0
		.amdhsa_system_sgpr_private_segment_wavefront_offset 0
		.amdhsa_system_sgpr_workgroup_id_x 1
		.amdhsa_system_sgpr_workgroup_id_y 0
		.amdhsa_system_sgpr_workgroup_id_z 0
		.amdhsa_system_sgpr_workgroup_info 0
		.amdhsa_system_vgpr_workitem_id 0
		.amdhsa_next_free_vgpr 48
		.amdhsa_next_free_sgpr 40
		.amdhsa_accum_offset 48
		.amdhsa_reserve_vcc 1
		.amdhsa_reserve_flat_scratch 0
		.amdhsa_float_round_mode_32 0
		.amdhsa_float_round_mode_16_64 0
		.amdhsa_float_denorm_mode_32 3
		.amdhsa_float_denorm_mode_16_64 3
		.amdhsa_dx10_clamp 1
		.amdhsa_ieee_mode 1
		.amdhsa_fp16_overflow 0
		.amdhsa_tg_split 0
		.amdhsa_exception_fp_ieee_invalid_op 0
		.amdhsa_exception_fp_denorm_src 0
		.amdhsa_exception_fp_ieee_div_zero 0
		.amdhsa_exception_fp_ieee_overflow 0
		.amdhsa_exception_fp_ieee_underflow 0
		.amdhsa_exception_fp_ieee_inexact 0
		.amdhsa_exception_int_div_zero 0
	.end_amdhsa_kernel
	.section	.text._ZN5aiter24add_rmsnorm_quant_kernelIDF16_DB8_Li512ELi16ELb1ELb1ELb1ELi1EEEvPT0_PT_PfS5_S5_S5_diiiiiiib,"axG",@progbits,_ZN5aiter24add_rmsnorm_quant_kernelIDF16_DB8_Li512ELi16ELb1ELb1ELb1ELi1EEEvPT0_PT_PfS5_S5_S5_diiiiiiib,comdat
.Lfunc_end25:
	.size	_ZN5aiter24add_rmsnorm_quant_kernelIDF16_DB8_Li512ELi16ELb1ELb1ELb1ELi1EEEvPT0_PT_PfS5_S5_S5_diiiiiiib, .Lfunc_end25-_ZN5aiter24add_rmsnorm_quant_kernelIDF16_DB8_Li512ELi16ELb1ELb1ELb1ELi1EEEvPT0_PT_PfS5_S5_S5_diiiiiiib
                                        ; -- End function
	.section	.AMDGPU.csdata,"",@progbits
; Kernel info:
; codeLenInByte = 4160
; NumSgprs: 44
; NumVgprs: 48
; NumAgprs: 0
; TotalNumVgprs: 48
; ScratchSize: 0
; MemoryBound: 0
; FloatMode: 240
; IeeeMode: 1
; LDSByteSize: 64 bytes/workgroup (compile time only)
; SGPRBlocks: 5
; VGPRBlocks: 5
; NumSGPRsForWavesPerEU: 44
; NumVGPRsForWavesPerEU: 48
; AccumOffset: 48
; Occupancy: 8
; WaveLimiterHint : 0
; COMPUTE_PGM_RSRC2:SCRATCH_EN: 0
; COMPUTE_PGM_RSRC2:USER_SGPR: 6
; COMPUTE_PGM_RSRC2:TRAP_HANDLER: 0
; COMPUTE_PGM_RSRC2:TGID_X_EN: 1
; COMPUTE_PGM_RSRC2:TGID_Y_EN: 0
; COMPUTE_PGM_RSRC2:TGID_Z_EN: 0
; COMPUTE_PGM_RSRC2:TIDIG_COMP_CNT: 0
; COMPUTE_PGM_RSRC3_GFX90A:ACCUM_OFFSET: 11
; COMPUTE_PGM_RSRC3_GFX90A:TG_SPLIT: 0
	.section	.text._ZN5aiter24add_rmsnorm_quant_kernelItDB8_Li512ELi16ELb1ELb1ELb1ELi1EEEvPT0_PT_PfS5_S5_S5_diiiiiiib,"axG",@progbits,_ZN5aiter24add_rmsnorm_quant_kernelItDB8_Li512ELi16ELb1ELb1ELb1ELi1EEEvPT0_PT_PfS5_S5_S5_diiiiiiib,comdat
	.protected	_ZN5aiter24add_rmsnorm_quant_kernelItDB8_Li512ELi16ELb1ELb1ELb1ELi1EEEvPT0_PT_PfS5_S5_S5_diiiiiiib ; -- Begin function _ZN5aiter24add_rmsnorm_quant_kernelItDB8_Li512ELi16ELb1ELb1ELb1ELi1EEEvPT0_PT_PfS5_S5_S5_diiiiiiib
	.globl	_ZN5aiter24add_rmsnorm_quant_kernelItDB8_Li512ELi16ELb1ELb1ELb1ELi1EEEvPT0_PT_PfS5_S5_S5_diiiiiiib
	.p2align	8
	.type	_ZN5aiter24add_rmsnorm_quant_kernelItDB8_Li512ELi16ELb1ELb1ELb1ELi1EEEvPT0_PT_PfS5_S5_S5_diiiiiiib,@function
_ZN5aiter24add_rmsnorm_quant_kernelItDB8_Li512ELi16ELb1ELb1ELb1ELi1EEEvPT0_PT_PfS5_S5_S5_diiiiiiib: ; @_ZN5aiter24add_rmsnorm_quant_kernelItDB8_Li512ELi16ELb1ELb1ELb1ELi1EEEvPT0_PT_PfS5_S5_S5_diiiiiiib
; %bb.0:
	s_load_dwordx8 s[8:15], s[4:5], 0x38
	s_mov_b32 s7, 0
	s_waitcnt lgkmcnt(0)
	s_ashr_i32 s0, s8, 31
	v_mov_b32_e32 v2, s8
	v_mov_b32_e32 v3, s0
	v_cmp_ge_i64_e32 vcc, s[6:7], v[2:3]
	s_cbranch_vccnz .LBB26_49
; %bb.1:
	s_load_dwordx8 s[16:23], s[4:5], 0x0
	s_ashr_i32 s0, s10, 31
	s_mul_hi_u32 s1, s10, s6
	s_mul_i32 s0, s0, s6
	s_add_i32 s1, s1, s0
	s_mul_i32 s0, s10, s6
	s_lshl_b64 s[0:1], s[0:1], 1
	s_waitcnt lgkmcnt(0)
	s_add_u32 s0, s22, s0
	s_addc_u32 s1, s23, s1
	s_add_i32 s2, s9, 1
	s_lshr_b32 s3, s2, 31
	v_lshlrev_b32_e32 v27, 4, v0
	s_add_i32 s2, s2, s3
	v_lshlrev_b32_e32 v1, 3, v0
	v_and_b32_e32 v2, 0x3c00, v27
	s_movk_i32 s10, 0x1f8
	s_lshl_b32 s2, s2, 1
	v_and_or_b32 v1, v1, s10, v2
	s_load_dwordx8 s[24:31], s[4:5], 0x20
	s_and_b32 s2, s2, -4
	s_and_b32 s1, s1, 0xffff
	s_mov_b32 s3, 0x20000
	v_lshlrev_b32_e32 v26, 1, v1
	s_movk_i32 s10, 0x400
	buffer_load_dwordx4 v[18:21], v26, s[0:3], s10 offen glc slc
	buffer_load_dwordx4 v[10:13], v26, s[0:3], 0 offen glc slc
	s_ashr_i32 s0, s11, 31
	s_mul_hi_u32 s1, s11, s6
	s_mul_i32 s0, s0, s6
	s_add_i32 s1, s1, s0
	s_mul_i32 s0, s11, s6
	s_waitcnt lgkmcnt(0)
	s_and_b32 s37, s27, 0xffff
	s_lshl_b64 s[0:1], s[0:1], 1
	s_add_u32 s0, s24, s0
	s_addc_u32 s1, s25, s1
	s_and_b32 s1, s1, 0xffff
	buffer_load_dwordx4 v[22:25], v26, s[0:3], s10 offen glc slc
	buffer_load_dwordx4 v[14:17], v26, s[0:3], 0 offen glc slc
	s_mov_b32 s39, s3
	s_mov_b32 s36, s26
	;; [unrolled: 1-line block ×3, first 2 shown]
	buffer_load_dwordx4 v[6:9], v26, s[36:39], 0 offen
	buffer_load_dwordx4 v[2:5], v26, s[36:39], s10 offen
	s_ashr_i32 s5, s12, 31
	s_mul_hi_u32 s1, s12, s6
	s_mul_i32 s5, s5, s6
	s_mul_i32 s0, s12, s6
	s_add_i32 s1, s1, s5
	s_lshl_b64 s[0:1], s[0:1], 1
	s_add_u32 s0, s18, s0
	s_mov_b32 s4, 0x7060302
	s_addc_u32 s1, s19, s1
	s_and_b32 s1, s1, 0xffff
	s_waitcnt vmcnt(5)
	v_cvt_f32_u32_sdwa v29, v18 dst_sel:DWORD dst_unused:UNUSED_PAD src0_sel:WORD_1
	v_cvt_f32_u32_sdwa v28, v18 dst_sel:DWORD dst_unused:UNUSED_PAD src0_sel:WORD_0
	v_cvt_f32_u32_sdwa v31, v19 dst_sel:DWORD dst_unused:UNUSED_PAD src0_sel:WORD_1
	v_cvt_f32_u32_sdwa v30, v19 dst_sel:DWORD dst_unused:UNUSED_PAD src0_sel:WORD_0
	v_cvt_f32_u32_sdwa v19, v20 dst_sel:DWORD dst_unused:UNUSED_PAD src0_sel:WORD_1
	v_cvt_f32_u32_sdwa v18, v20 dst_sel:DWORD dst_unused:UNUSED_PAD src0_sel:WORD_0
	v_cvt_f32_u32_sdwa v33, v21 dst_sel:DWORD dst_unused:UNUSED_PAD src0_sel:WORD_1
	v_cvt_f32_u32_sdwa v32, v21 dst_sel:DWORD dst_unused:UNUSED_PAD src0_sel:WORD_0
	s_waitcnt vmcnt(4)
	v_cvt_f32_u32_sdwa v21, v10 dst_sel:DWORD dst_unused:UNUSED_PAD src0_sel:WORD_1
	v_cvt_f32_u32_sdwa v20, v10 dst_sel:DWORD dst_unused:UNUSED_PAD src0_sel:WORD_0
	v_cvt_f32_u32_sdwa v35, v11 dst_sel:DWORD dst_unused:UNUSED_PAD src0_sel:WORD_1
	v_cvt_f32_u32_sdwa v34, v11 dst_sel:DWORD dst_unused:UNUSED_PAD src0_sel:WORD_0
	v_cvt_f32_u32_sdwa v37, v12 dst_sel:DWORD dst_unused:UNUSED_PAD src0_sel:WORD_1
	v_cvt_f32_u32_sdwa v36, v12 dst_sel:DWORD dst_unused:UNUSED_PAD src0_sel:WORD_0
	v_cvt_f32_u32_sdwa v39, v13 dst_sel:DWORD dst_unused:UNUSED_PAD src0_sel:WORD_1
	v_cvt_f32_u32_sdwa v38, v13 dst_sel:DWORD dst_unused:UNUSED_PAD src0_sel:WORD_0
	;; [unrolled: 9-line block ×4, first 2 shown]
	v_pk_add_f32 v[14:15], v[30:31], v[12:13]
	v_pk_add_f32 v[12:13], v[18:19], v[22:23]
	;; [unrolled: 1-line block ×8, first 2 shown]
	v_perm_b32 v31, v19, v18, s4
	v_perm_b32 v30, v21, v20, s4
	;; [unrolled: 1-line block ×6, first 2 shown]
	buffer_store_dwordx4 v[28:31], v26, s[0:3], 0 offen glc slc
	;;#ASMSTART
	s_nop 0
	;;#ASMEND
	v_pk_mul_f32 v[34:35], v[18:19], v[18:19]
	v_perm_b32 v31, v15, v14, s4
	v_perm_b32 v30, v17, v16, s4
	v_pk_mul_f32 v[28:29], v[24:25], v[24:25]
	buffer_store_dwordx4 v[30:33], v26, s[0:3], s10 offen glc slc
	v_pk_mul_f32 v[30:31], v[22:23], v[22:23]
	v_add_f32_e32 v26, v28, v29
	v_add_f32_e32 v26, v30, v26
	v_pk_mul_f32 v[32:33], v[20:21], v[20:21]
	v_add_f32_e32 v26, v31, v26
	v_add_f32_e32 v26, v32, v26
	;; [unrolled: 1-line block ×4, first 2 shown]
	v_pk_mul_f32 v[36:37], v[16:17], v[16:17]
	v_add_f32_e32 v26, v35, v26
	v_add_f32_e32 v26, v36, v26
	v_pk_mul_f32 v[38:39], v[14:15], v[14:15]
	v_add_f32_e32 v26, v37, v26
	v_add_f32_e32 v26, v38, v26
	;; [unrolled: 3-line block ×4, first 2 shown]
	v_add_f32_e32 v26, v43, v26
	v_and_b32_e32 v29, 63, v0
	v_cmp_eq_u32_e64 s[0:1], 63, v29
	v_mov_b32_dpp v28, v26 quad_perm:[1,0,3,2] row_mask:0xf bank_mask:0xf
	v_add_f32_e32 v26, v26, v28
	;;#ASMSTART
	s_nop 0
	;;#ASMEND
	s_nop 1
	v_mov_b32_dpp v28, v26 quad_perm:[2,3,0,1] row_mask:0xf bank_mask:0xf
	v_add_f32_e32 v26, v26, v28
	s_nop 1
	v_mov_b32_dpp v28, v26 row_half_mirror row_mask:0xf bank_mask:0xf
	v_add_f32_e32 v26, v26, v28
	s_nop 1
	v_mov_b32_dpp v28, v26 row_mirror row_mask:0xf bank_mask:0xf
	v_add_f32_e32 v26, v26, v28
	s_nop 1
	v_mov_b32_dpp v28, v26 row_bcast:15 row_mask:0xf bank_mask:0xf
	v_add_f32_e32 v26, v26, v28
	s_nop 1
	v_mov_b32_dpp v28, v26 row_bcast:31 row_mask:0xf bank_mask:0xf
	s_and_saveexec_b64 s[2:3], s[0:1]
	s_cbranch_execz .LBB26_3
; %bb.2:
	v_lshrrev_b32_e32 v29, 4, v0
	v_and_b32_e32 v29, 60, v29
	v_add_f32_e32 v26, v26, v28
	ds_write_b32 v29, v26 offset:32
.LBB26_3:
	s_or_b64 exec, exec, s[2:3]
	v_and_b32_e32 v26, 7, v0
	v_lshlrev_b32_e32 v26, 2, v26
	s_waitcnt lgkmcnt(0)
	s_barrier
	ds_read_b32 v28, v26 offset:32
	v_cvt_f32_i32_e32 v29, s9
	s_waitcnt vmcnt(3)
	v_cvt_f32_u32_sdwa v37, v9 dst_sel:DWORD dst_unused:UNUSED_PAD src0_sel:WORD_1
	v_cvt_f32_u32_sdwa v36, v9 dst_sel:DWORD dst_unused:UNUSED_PAD src0_sel:WORD_0
	s_cmp_lg_u32 s14, 0
	s_waitcnt lgkmcnt(0)
	v_mov_b32_dpp v30, v28 quad_perm:[1,0,3,2] row_mask:0xf bank_mask:0xf
	v_add_f32_e32 v28, v28, v30
	s_nop 1
	v_mov_b32_dpp v30, v28 quad_perm:[2,3,0,1] row_mask:0xf bank_mask:0xf
	v_add_f32_e32 v28, v28, v30
	s_nop 1
	v_mov_b32_dpp v30, v28 row_half_mirror row_mask:0xf bank_mask:0xf
	v_add_f32_e32 v28, v28, v30
	v_div_scale_f32 v30, s[2:3], v29, v29, v28
	v_rcp_f32_e32 v31, v30
	v_div_scale_f32 v32, vcc, v28, v29, v28
	s_mov_b32 s2, 0x800000
	v_fma_f32 v33, -v30, v31, 1.0
	v_fmac_f32_e32 v31, v33, v31
	v_mul_f32_e32 v33, v32, v31
	v_fma_f32 v34, -v30, v33, v32
	v_fmac_f32_e32 v33, v34, v31
	v_fma_f32 v30, -v30, v33, v32
	v_div_fmas_f32 v30, v30, v31, v33
	v_div_fixup_f32 v28, v30, v29, v28
	v_cvt_f64_f32_e32 v[28:29], v28
	v_add_f64 v[28:29], v[28:29], s[28:29]
	v_cvt_f32_f64_e32 v28, v[28:29]
	v_mul_f32_e32 v29, 0x4b800000, v28
	v_cmp_gt_f32_e32 vcc, s2, v28
	v_cndmask_b32_e32 v28, v28, v29, vcc
	v_rsq_f32_e32 v28, v28
	v_mul_f32_e32 v29, 0x45800000, v28
	v_cndmask_b32_e32 v28, v28, v29, vcc
	v_mov_b32_e32 v29, v28
	;;#ASMSTART
	v_pk_mul_f32 v[24:25], v[24:25], v[28:29]
	;;#ASMEND
	;;#ASMSTART
	v_pk_mul_f32 v[22:23], v[22:23], v[28:29]
	;;#ASMEND
	;; [unrolled: 3-line block ×8, first 2 shown]
	v_cvt_f32_u32_sdwa v11, v6 dst_sel:DWORD dst_unused:UNUSED_PAD src0_sel:WORD_1
	v_cvt_f32_u32_sdwa v10, v6 dst_sel:DWORD dst_unused:UNUSED_PAD src0_sel:WORD_0
	v_cvt_f32_u32_sdwa v13, v7 dst_sel:DWORD dst_unused:UNUSED_PAD src0_sel:WORD_1
	v_cvt_f32_u32_sdwa v12, v7 dst_sel:DWORD dst_unused:UNUSED_PAD src0_sel:WORD_0
	;; [unrolled: 2-line block ×3, first 2 shown]
	;;#ASMSTART
	v_pk_mul_f32 v[16:17], v[24:25], v[10:11]
	;;#ASMEND
	;;#ASMSTART
	v_pk_mul_f32 v[14:15], v[22:23], v[12:13]
	;;#ASMEND
	;; [unrolled: 3-line block ×4, first 2 shown]
	s_waitcnt vmcnt(2)
	v_cvt_f32_u32_sdwa v7, v2 dst_sel:DWORD dst_unused:UNUSED_PAD src0_sel:WORD_1
	v_cvt_f32_u32_sdwa v6, v2 dst_sel:DWORD dst_unused:UNUSED_PAD src0_sel:WORD_0
	v_cvt_f32_u32_sdwa v19, v3 dst_sel:DWORD dst_unused:UNUSED_PAD src0_sel:WORD_1
	v_cvt_f32_u32_sdwa v18, v3 dst_sel:DWORD dst_unused:UNUSED_PAD src0_sel:WORD_0
	;; [unrolled: 2-line block ×3, first 2 shown]
	v_cvt_f32_u32_sdwa v20, v5 dst_sel:DWORD dst_unused:UNUSED_PAD src0_sel:WORD_0
	v_cvt_f32_u32_sdwa v21, v5 dst_sel:DWORD dst_unused:UNUSED_PAD src0_sel:WORD_1
	;;#ASMSTART
	v_pk_mul_f32 v[10:11], v[30:31], v[6:7]
	;;#ASMEND
	;;#ASMSTART
	v_pk_mul_f32 v[6:7], v[32:33], v[18:19]
	;;#ASMEND
	;; [unrolled: 3-line block ×4, first 2 shown]
	v_and_b32_e32 v18, 0x7fffffff, v16
	v_mov_b32_e32 v20, 0x2edbe6ff
	v_and_b32_e32 v19, 0x7fffffff, v17
	;;#ASMSTART
	v_max3_f32 v18, v20, v18, v19

	;;#ASMEND
	v_and_b32_e32 v20, 0x7fffffff, v15
	v_and_b32_e32 v19, 0x7fffffff, v14
	;;#ASMSTART
	v_max3_f32 v18, v18, v19, v20

	;;#ASMEND
	v_and_b32_e32 v20, 0x7fffffff, v13
	;; [unrolled: 6-line block ×7, first 2 shown]
	v_and_b32_e32 v19, 0x7fffffff, v2
	;;#ASMSTART
	v_max3_f32 v20, v18, v19, v20

	;;#ASMEND
	s_cbranch_scc0 .LBB26_10
; %bb.4:
	s_ashr_i32 s12, s14, 31
	s_lshr_b32 s2, s12, 28
	s_add_i32 s2, s14, s2
	s_ashr_i32 s10, s2, 4
	s_cmp_lt_i32 s10, 16
	s_cbranch_scc1 .LBB26_11
; %bb.5:
	s_cmp_lt_i32 s10, 32
	s_cbranch_scc1 .LBB26_12
; %bb.6:
	;; [unrolled: 3-line block ×3, first 2 shown]
	s_cmp_eq_u32 s10, 64
	v_mov_b32_e32 v18, v20
	s_cbranch_scc0 .LBB26_9
; %bb.8:
	s_nop 0
	v_mov_b32_dpp v18, v20 quad_perm:[1,0,3,2] row_mask:0xf bank_mask:0xf
	v_cmp_gt_f32_e32 vcc, v20, v18
	v_cndmask_b32_e32 v18, v18, v20, vcc
	v_bfrev_b32_e32 v21, 0.5
	s_nop 0
	v_mov_b32_dpp v19, v18 quad_perm:[2,3,0,1] row_mask:0xf bank_mask:0xf
	v_cmp_gt_f32_e32 vcc, v18, v19
	v_cndmask_b32_e32 v18, v19, v18, vcc
	s_nop 1
	v_mov_b32_dpp v19, v18 row_ror:4 row_mask:0xf bank_mask:0xf
	v_cmp_gt_f32_e32 vcc, v18, v19
	v_cndmask_b32_e32 v18, v19, v18, vcc
	s_nop 1
	v_mov_b32_dpp v19, v18 row_ror:8 row_mask:0xf bank_mask:0xf
	v_cmp_gt_f32_e32 vcc, v18, v19
	v_cndmask_b32_e32 v18, v19, v18, vcc
	s_nop 1
	v_mov_b32_dpp v19, v18 row_bcast:15 row_mask:0xf bank_mask:0xf
	v_cmp_gt_f32_e32 vcc, v18, v19
	v_cndmask_b32_e32 v18, v19, v18, vcc
	s_nop 1
	v_mov_b32_dpp v19, v18 row_bcast:31 row_mask:0xf bank_mask:0xf
	v_cmp_gt_f32_e32 vcc, v18, v19
	v_cndmask_b32_e32 v18, v19, v18, vcc
	v_mbcnt_lo_u32_b32 v19, -1, 0
	v_mbcnt_hi_u32_b32 v19, -1, v19
	v_lshl_or_b32 v19, v19, 2, v21
	ds_bpermute_b32 v18, v19, v18
.LBB26_9:
	s_mov_b64 s[2:3], 0
	s_branch .LBB26_14
.LBB26_10:
	s_mov_b64 s[2:3], 0
                                        ; implicit-def: $vgpr21
                                        ; implicit-def: $vgpr18_vgpr19
	s_cbranch_execnz .LBB26_43
	s_branch .LBB26_46
.LBB26_11:
                                        ; implicit-def: $vgpr18
	s_branch .LBB26_21
.LBB26_12:
                                        ; implicit-def: $vgpr18
	s_branch .LBB26_18
.LBB26_13:
	s_mov_b64 s[2:3], -1
                                        ; implicit-def: $vgpr18
.LBB26_14:
	s_andn2_b64 vcc, exec, s[2:3]
	s_cbranch_vccnz .LBB26_17
; %bb.15:
	s_cmp_eq_u32 s10, 32
	s_waitcnt lgkmcnt(0)
	v_mov_b32_e32 v18, v20
	s_cbranch_scc0 .LBB26_17
; %bb.16:
	s_nop 0
	v_mov_b32_dpp v18, v20 quad_perm:[1,0,3,2] row_mask:0xf bank_mask:0xf
	v_cmp_gt_f32_e32 vcc, v20, v18
	v_cndmask_b32_e32 v18, v18, v20, vcc
	v_mov_b32_e32 v21, 0x7c
	s_nop 0
	v_mov_b32_dpp v19, v18 quad_perm:[2,3,0,1] row_mask:0xf bank_mask:0xf
	v_cmp_gt_f32_e32 vcc, v18, v19
	v_cndmask_b32_e32 v18, v19, v18, vcc
	s_nop 1
	v_mov_b32_dpp v19, v18 row_half_mirror row_mask:0xf bank_mask:0xf
	v_cmp_gt_f32_e32 vcc, v18, v19
	v_cndmask_b32_e32 v18, v19, v18, vcc
	s_nop 1
	v_mov_b32_dpp v19, v18 row_mirror row_mask:0xf bank_mask:0xf
	v_cmp_gt_f32_e32 vcc, v18, v19
	v_cndmask_b32_e32 v18, v19, v18, vcc
	s_nop 1
	v_mov_b32_dpp v19, v18 row_bcast:15 row_mask:0xa bank_mask:0xf
	v_cmp_gt_f32_e32 vcc, v18, v19
	v_cndmask_b32_e32 v18, v19, v18, vcc
	v_mbcnt_lo_u32_b32 v19, -1, 0
	v_mbcnt_hi_u32_b32 v19, -1, v19
	v_lshl_or_b32 v19, v19, 2, v21
	ds_bpermute_b32 v18, v19, v18
.LBB26_17:
	s_cbranch_execnz .LBB26_20
.LBB26_18:
	s_cmp_eq_u32 s10, 16
	s_waitcnt lgkmcnt(0)
	v_mov_b32_e32 v18, v20
	s_cbranch_scc0 .LBB26_20
; %bb.19:
	s_nop 0
	v_mov_b32_dpp v18, v20 quad_perm:[1,0,3,2] row_mask:0xf bank_mask:0xf
	v_cmp_gt_f32_e32 vcc, v20, v18
	v_cndmask_b32_e32 v18, v18, v20, vcc
	s_nop 1
	v_mov_b32_dpp v19, v18 quad_perm:[2,3,0,1] row_mask:0xf bank_mask:0xf
	v_cmp_gt_f32_e32 vcc, v18, v19
	v_cndmask_b32_e32 v18, v19, v18, vcc
	s_nop 1
	v_mov_b32_dpp v19, v18 row_half_mirror row_mask:0xf bank_mask:0xf
	v_cmp_gt_f32_e32 vcc, v18, v19
	v_cndmask_b32_e32 v18, v19, v18, vcc
	s_nop 1
	v_mov_b32_dpp v19, v18 row_mirror row_mask:0xf bank_mask:0xf
	v_cmp_gt_f32_e32 vcc, v18, v19
	v_cndmask_b32_e32 v18, v19, v18, vcc
.LBB26_20:
	s_cbranch_execnz .LBB26_33
.LBB26_21:
	s_cmp_lt_i32 s10, 4
	s_cbranch_scc1 .LBB26_25
; %bb.22:
	s_cmp_lt_i32 s10, 8
	s_cbranch_scc1 .LBB26_26
; %bb.23:
	s_cmp_eq_u32 s10, 8
	s_waitcnt lgkmcnt(0)
	v_mov_b32_e32 v18, v20
	s_cbranch_scc0 .LBB26_27
; %bb.24:
	s_nop 0
	v_mov_b32_dpp v18, v20 quad_perm:[1,0,3,2] row_mask:0xf bank_mask:0xf
	v_cmp_gt_f32_e32 vcc, v20, v18
	v_cndmask_b32_e32 v18, v18, v20, vcc
	s_nop 1
	v_mov_b32_dpp v19, v18 quad_perm:[2,3,0,1] row_mask:0xf bank_mask:0xf
	v_cmp_gt_f32_e32 vcc, v18, v19
	v_cndmask_b32_e32 v18, v19, v18, vcc
	s_nop 1
	v_mov_b32_dpp v19, v18 row_half_mirror row_mask:0xf bank_mask:0xf
	v_cmp_gt_f32_e32 vcc, v18, v19
	v_cndmask_b32_e32 v18, v19, v18, vcc
	s_cbranch_execz .LBB26_28
	s_branch .LBB26_30
.LBB26_25:
                                        ; implicit-def: $vgpr18
	s_branch .LBB26_31
.LBB26_26:
                                        ; implicit-def: $vgpr18
	s_branch .LBB26_28
.LBB26_27:
	s_cbranch_execnz .LBB26_30
.LBB26_28:
	s_cmp_eq_u32 s10, 4
	s_waitcnt lgkmcnt(0)
	v_mov_b32_e32 v18, v20
	s_cbranch_scc0 .LBB26_30
; %bb.29:
	s_nop 0
	v_mov_b32_dpp v18, v20 quad_perm:[1,0,3,2] row_mask:0xf bank_mask:0xf
	v_cmp_gt_f32_e32 vcc, v20, v18
	v_cndmask_b32_e32 v18, v18, v20, vcc
	s_nop 1
	v_mov_b32_dpp v19, v18 quad_perm:[2,3,0,1] row_mask:0xf bank_mask:0xf
	v_cmp_gt_f32_e32 vcc, v18, v19
	v_cndmask_b32_e32 v18, v19, v18, vcc
.LBB26_30:
	s_cbranch_execnz .LBB26_33
.LBB26_31:
	s_cmp_lg_u32 s10, 2
	s_waitcnt lgkmcnt(0)
	v_mov_b32_e32 v18, v20
	s_cbranch_scc1 .LBB26_33
; %bb.32:
	s_nop 0
	v_mov_b32_dpp v18, v20 quad_perm:[1,0,3,2] row_mask:0xf bank_mask:0xf
	v_cmp_gt_f32_e32 vcc, v20, v18
	v_cndmask_b32_e32 v18, v18, v20, vcc
.LBB26_33:
	v_cvt_f32_u32_e32 v19, s10
	s_waitcnt lgkmcnt(0)
	v_mul_f32_e32 v21, 0x3b124925, v18
	s_sub_i32 s2, 0, s10
	v_cmp_gt_u32_e32 vcc, s9, v27
	v_rcp_iflag_f32_e32 v19, v19
	s_mov_b64 s[4:5], 0
	v_mul_f32_e32 v18, 0x4f7ffffe, v19
	v_cvt_u32_f32_e32 v18, v18
	v_mul_lo_u32 v19, s2, v18
	v_mul_hi_u32 v19, v18, v19
	v_add_u32_e32 v18, v18, v19
	v_mul_hi_u32 v18, v0, v18
	v_mul_lo_u32 v19, v18, s10
	v_sub_u32_e32 v19, v0, v19
	v_add_u32_e32 v22, 1, v18
	v_cmp_le_u32_e64 s[2:3], s10, v19
	v_cndmask_b32_e64 v18, v18, v22, s[2:3]
	v_subrev_u32_e32 v22, s10, v19
	v_cndmask_b32_e64 v19, v19, v22, s[2:3]
	v_add_u32_e32 v22, 1, v18
	v_cmp_le_u32_e64 s[2:3], s10, v19
	v_cndmask_b32_e64 v22, v18, v22, s[2:3]
	v_mul_lo_u32 v18, v22, s10
	v_sub_u32_e32 v18, v0, v18
	v_cmp_eq_u32_e64 s[2:3], 0, v18
	s_and_b64 s[10:11], s[2:3], vcc
	s_mov_b64 s[2:3], 0
                                        ; implicit-def: $vgpr18_vgpr19
	s_and_saveexec_b64 s[18:19], s[10:11]
	s_xor_b64 s[10:11], exec, s[18:19]
	s_cbranch_execz .LBB26_42
; %bb.34:
	s_bitcmp0_b32 s15, 0
	s_cbranch_scc0 .LBB26_39
; %bb.35:
	s_ashr_i32 s2, s9, 31
	s_mul_hi_u32 s3, s9, s6
	s_mul_i32 s2, s2, s6
	s_add_i32 s19, s3, s2
	s_mul_i32 s18, s9, s6
	s_mov_b32 s15, s12
	s_or_b64 s[2:3], s[18:19], s[14:15]
	s_mov_b32 s2, 0
	s_cmp_lg_u64 s[2:3], 0
	s_cbranch_scc0 .LBB26_50
; %bb.36:
	s_add_u32 s2, s14, s15
	s_mov_b32 s24, s15
	s_mov_b32 s25, s15
	s_addc_u32 s3, s15, s15
	s_xor_b64 s[26:27], s[2:3], s[24:25]
	v_cvt_f32_u32_e32 v18, s26
	v_cvt_f32_u32_e32 v19, s27
	s_sub_u32 s2, 0, s26
	s_subb_u32 s3, 0, s27
	v_madmk_f32 v18, v19, 0x4f800000, v18
	v_rcp_f32_e32 v18, v18
	v_mul_f32_e32 v18, 0x5f7ffffc, v18
	v_mul_f32_e32 v19, 0x2f800000, v18
	v_trunc_f32_e32 v19, v19
	v_madmk_f32 v18, v19, 0xcf800000, v18
	v_cvt_u32_f32_e32 v19, v19
	v_cvt_u32_f32_e32 v18, v18
	v_readfirstlane_b32 s12, v19
	v_readfirstlane_b32 s15, v18
	s_mul_i32 s28, s2, s12
	s_mul_hi_u32 s30, s2, s15
	s_mul_i32 s29, s3, s15
	s_add_i32 s28, s30, s28
	s_add_i32 s28, s28, s29
	s_mul_i32 s31, s2, s15
	s_mul_hi_u32 s29, s15, s28
	s_mul_i32 s30, s15, s28
	s_mul_hi_u32 s15, s15, s31
	s_add_u32 s15, s15, s30
	s_addc_u32 s29, 0, s29
	s_mul_hi_u32 s33, s12, s31
	s_mul_i32 s31, s12, s31
	s_add_u32 s15, s15, s31
	s_mul_hi_u32 s30, s12, s28
	s_addc_u32 s15, s29, s33
	s_addc_u32 s29, s30, 0
	s_mul_i32 s28, s12, s28
	s_add_u32 s15, s15, s28
	s_addc_u32 s28, 0, s29
	v_add_co_u32_e32 v18, vcc, s15, v18
	s_cmp_lg_u64 vcc, 0
	s_addc_u32 s12, s12, s28
	v_readfirstlane_b32 s28, v18
	s_mul_i32 s15, s2, s12
	s_mul_hi_u32 s29, s2, s28
	s_add_i32 s15, s29, s15
	s_mul_i32 s3, s3, s28
	s_add_i32 s15, s15, s3
	s_mul_i32 s2, s2, s28
	s_mul_hi_u32 s29, s12, s2
	s_mul_i32 s30, s12, s2
	s_mul_i32 s33, s28, s15
	s_mul_hi_u32 s2, s28, s2
	s_mul_hi_u32 s31, s28, s15
	s_add_u32 s2, s2, s33
	s_addc_u32 s28, 0, s31
	s_add_u32 s2, s2, s30
	s_mul_hi_u32 s3, s12, s15
	s_addc_u32 s2, s28, s29
	s_addc_u32 s3, s3, 0
	s_mul_i32 s15, s12, s15
	s_add_u32 s2, s2, s15
	s_addc_u32 s3, 0, s3
	v_add_co_u32_e32 v18, vcc, s2, v18
	s_cmp_lg_u64 vcc, 0
	s_addc_u32 s12, s12, s3
	s_ashr_i32 s28, s19, 31
	s_add_u32 s2, s18, s28
	s_mov_b32 s29, s28
	s_addc_u32 s3, s19, s28
	s_xor_b64 s[30:31], s[2:3], s[28:29]
	v_readfirstlane_b32 s15, v18
	s_mul_i32 s3, s30, s12
	s_mul_hi_u32 s19, s30, s15
	s_mul_hi_u32 s2, s30, s12
	s_add_u32 s3, s19, s3
	s_addc_u32 s2, 0, s2
	s_mul_hi_u32 s33, s31, s15
	s_mul_i32 s15, s31, s15
	s_add_u32 s3, s3, s15
	s_mul_hi_u32 s19, s31, s12
	s_addc_u32 s2, s2, s33
	s_addc_u32 s3, s19, 0
	s_mul_i32 s12, s31, s12
	s_add_u32 s12, s2, s12
	s_addc_u32 s15, 0, s3
	s_mul_i32 s2, s26, s15
	s_mul_hi_u32 s3, s26, s12
	s_add_i32 s2, s3, s2
	s_mul_i32 s3, s27, s12
	s_add_i32 s19, s2, s3
	s_mul_i32 s3, s26, s12
	v_mov_b32_e32 v18, s3
	s_sub_i32 s2, s31, s19
	v_sub_co_u32_e32 v18, vcc, s30, v18
	s_cmp_lg_u64 vcc, 0
	s_subb_u32 s30, s2, s27
	v_subrev_co_u32_e64 v19, s[2:3], s26, v18
	s_cmp_lg_u64 s[2:3], 0
	s_subb_u32 s30, s30, 0
	s_cmp_ge_u32 s30, s27
	s_cselect_b32 s33, -1, 0
	v_cmp_le_u32_e64 s[2:3], s26, v19
	s_cmp_eq_u32 s30, s27
	v_cndmask_b32_e64 v19, 0, -1, s[2:3]
	v_mov_b32_e32 v23, s33
	s_cselect_b64 s[2:3], -1, 0
	v_cndmask_b32_e64 v19, v23, v19, s[2:3]
	s_add_u32 s2, s12, 1
	s_addc_u32 s30, s15, 0
	s_add_u32 s3, s12, 2
	s_addc_u32 s33, s15, 0
	v_mov_b32_e32 v23, s2
	v_mov_b32_e32 v24, s3
	v_cmp_ne_u32_e64 s[2:3], 0, v19
	v_cndmask_b32_e64 v19, v23, v24, s[2:3]
	v_mov_b32_e32 v23, s30
	v_mov_b32_e32 v24, s33
	s_cmp_lg_u64 vcc, 0
	v_cndmask_b32_e64 v23, v23, v24, s[2:3]
	s_subb_u32 s2, s31, s19
	s_cmp_ge_u32 s2, s27
	s_cselect_b32 s3, -1, 0
	v_cmp_le_u32_e32 vcc, s26, v18
	s_cmp_eq_u32 s2, s27
	v_cndmask_b32_e64 v18, 0, -1, vcc
	v_mov_b32_e32 v24, s3
	s_cselect_b64 vcc, -1, 0
	v_cndmask_b32_e32 v18, v24, v18, vcc
	v_mov_b32_e32 v24, s15
	v_cmp_ne_u32_e32 vcc, 0, v18
	v_cndmask_b32_e32 v18, v24, v23, vcc
	v_mov_b32_e32 v23, s12
	v_cndmask_b32_e32 v19, v23, v19, vcc
	s_xor_b64 s[2:3], s[28:29], s[24:25]
	v_xor_b32_e32 v19, s2, v19
	v_xor_b32_e32 v23, s3, v18
	v_mov_b32_e32 v24, s3
	v_subrev_co_u32_e32 v18, vcc, s2, v19
	v_subb_co_u32_e32 v19, vcc, v23, v24, vcc
	s_cbranch_execnz .LBB26_38
.LBB26_37:
	v_cvt_f32_u32_e32 v18, s14
	s_sub_i32 s2, 0, s14
	s_mov_b32 s3, 0
	v_rcp_iflag_f32_e32 v18, v18
	v_mul_f32_e32 v18, 0x4f7ffffe, v18
	v_cvt_u32_f32_e32 v18, v18
	v_readfirstlane_b32 s12, v18
	s_mul_i32 s2, s2, s12
	s_mul_hi_u32 s2, s12, s2
	s_add_i32 s12, s12, s2
	s_mul_hi_u32 s2, s18, s12
	s_mul_i32 s15, s2, s14
	s_sub_i32 s15, s18, s15
	s_add_i32 s12, s2, 1
	s_sub_i32 s18, s15, s14
	s_cmp_ge_u32 s15, s14
	s_cselect_b32 s2, s12, s2
	s_cselect_b32 s15, s18, s15
	s_add_i32 s12, s2, 1
	s_cmp_ge_u32 s15, s14
	s_cselect_b32 s2, s12, s2
	v_pk_mov_b32 v[18:19], s[2:3], s[2:3] op_sel:[0,1]
.LBB26_38:
	v_add_co_u32_e32 v18, vcc, v18, v22
	v_addc_co_u32_e32 v19, vcc, 0, v19, vcc
	s_branch .LBB26_41
.LBB26_39:
                                        ; implicit-def: $vgpr18_vgpr19
	s_cbranch_execz .LBB26_41
; %bb.40:
	v_mul_lo_u32 v18, v22, s8
	v_ashrrev_i32_e32 v19, 31, v18
	v_mov_b32_e32 v22, s7
	v_add_co_u32_e32 v18, vcc, s6, v18
	v_addc_co_u32_e32 v19, vcc, v19, v22, vcc
.LBB26_41:
	s_mov_b64 s[2:3], exec
.LBB26_42:
	s_or_b64 exec, exec, s[10:11]
	s_and_b64 vcc, exec, s[4:5]
	s_cbranch_vccz .LBB26_46
.LBB26_43:
	v_mov_b32_dpp v18, v20 quad_perm:[1,0,3,2] row_mask:0xf bank_mask:0xf
	v_cmp_gt_f32_e32 vcc, v20, v18
	v_cndmask_b32_e32 v18, v18, v20, vcc
	s_nop 1
	v_mov_b32_dpp v19, v18 quad_perm:[2,3,0,1] row_mask:0xf bank_mask:0xf
	v_cmp_gt_f32_e32 vcc, v18, v19
	v_cndmask_b32_e32 v18, v19, v18, vcc
	s_nop 1
	v_mov_b32_dpp v19, v18 row_half_mirror row_mask:0xf bank_mask:0xf
	v_cmp_gt_f32_e32 vcc, v18, v19
	v_cndmask_b32_e32 v18, v19, v18, vcc
	s_nop 1
	v_mov_b32_dpp v19, v18 row_mirror row_mask:0xf bank_mask:0xf
	v_cmp_gt_f32_e32 vcc, v18, v19
	v_cndmask_b32_e32 v18, v19, v18, vcc
	s_nop 1
	v_mov_b32_dpp v19, v18 row_bcast:15 row_mask:0xf bank_mask:0xf
	v_cmp_gt_f32_e32 vcc, v18, v19
	v_cndmask_b32_e32 v18, v19, v18, vcc
	s_nop 1
	v_mov_b32_dpp v19, v18 row_bcast:31 row_mask:0xf bank_mask:0xf
	s_and_saveexec_b64 s[2:3], s[0:1]
	s_cbranch_execz .LBB26_45
; %bb.44:
	v_lshrrev_b32_e32 v20, 4, v0
	v_cmp_gt_f32_e32 vcc, v18, v19
	v_and_b32_e32 v20, 60, v20
	v_cndmask_b32_e32 v18, v19, v18, vcc
	ds_write_b32 v20, v18
.LBB26_45:
	s_or_b64 exec, exec, s[2:3]
	s_waitcnt lgkmcnt(0)
	s_barrier
	ds_read_b32 v18, v26
	v_cmp_eq_u32_e64 s[2:3], 0, v0
	s_waitcnt lgkmcnt(0)
	v_mov_b32_dpp v19, v18 quad_perm:[1,0,3,2] row_mask:0xf bank_mask:0xf
	v_cmp_gt_f32_e32 vcc, v18, v19
	v_cndmask_b32_e32 v18, v19, v18, vcc
	s_nop 1
	v_mov_b32_dpp v19, v18 quad_perm:[2,3,0,1] row_mask:0xf bank_mask:0xf
	v_cmp_gt_f32_e32 vcc, v18, v19
	v_cndmask_b32_e32 v18, v19, v18, vcc
	s_nop 1
	v_mov_b32_dpp v19, v18 row_half_mirror row_mask:0xf bank_mask:0xf
	v_cmp_gt_f32_e32 vcc, v18, v19
	v_cndmask_b32_e32 v18, v19, v18, vcc
	v_mul_f32_e32 v21, 0x3b124925, v18
	v_pk_mov_b32 v[18:19], s[6:7], s[6:7] op_sel:[0,1]
.LBB26_46:
	s_and_saveexec_b64 s[0:1], s[2:3]
	s_cbranch_execz .LBB26_48
; %bb.47:
	v_lshlrev_b64 v[18:19], 2, v[18:19]
	v_mov_b32_e32 v0, s21
	v_add_co_u32_e32 v18, vcc, s20, v18
	v_addc_co_u32_e32 v19, vcc, v0, v19, vcc
	global_store_dword v[18:19], v21, off
.LBB26_48:
	s_or_b64 exec, exec, s[0:1]
	s_add_i32 s0, s9, 3
	s_ashr_i32 s1, s0, 31
	s_lshr_b32 s1, s1, 30
	s_add_i32 s0, s0, s1
	;;#ASMSTART
	v_rcp_f32 v18, v21
	;;#ASMEND
	v_mov_b32_e32 v19, v18
	;;#ASMSTART
	v_pk_mul_f32 v[16:17], v[16:17], v[18:19]
	;;#ASMEND
	s_and_b32 s2, s0, -4
	s_ashr_i32 s0, s13, 31
	v_mov_b32_e32 v0, 0xc3e00000
	v_mov_b32_e32 v20, 0x43e00000
	;;#ASMSTART
	v_med3_f32 v16, v16, v0, v20
v_med3_f32 v17, v17, v0, v20
v_cvt_pk_fp8_f32 v21, v16, v17
	;;#ASMEND
	;;#ASMSTART
	v_pk_mul_f32 v[14:15], v[14:15], v[18:19]
	;;#ASMEND
	s_mul_hi_u32 s1, s13, s6
	s_mul_i32 s0, s0, s6
	;;#ASMSTART
	v_med3_f32 v14, v14, v0, v20
v_med3_f32 v15, v15, v0, v20
v_cvt_pk_fp8_f32 v16, v14, v15
	;;#ASMEND
	s_mov_b32 s5, 0x5040100
	s_add_i32 s1, s1, s0
	s_mul_i32 s0, s13, s6
	v_perm_b32 v15, v16, v21, s5
	s_movk_i32 s6, 0xff
	v_and_b32_e32 v14, 0xffffff00, v16
	v_and_b32_sdwa v16, v15, s6 dst_sel:DWORD dst_unused:UNUSED_PAD src0_sel:WORD_1 src1_sel:DWORD
	s_mov_b32 s4, 0xffff
	v_or_b32_sdwa v14, v16, v14 dst_sel:WORD_1 dst_unused:UNUSED_PAD src0_sel:DWORD src1_sel:DWORD
	;;#ASMSTART
	v_pk_mul_f32 v[12:13], v[12:13], v[18:19]
	;;#ASMEND
	v_and_or_b32 v14, v15, s4, v14
	;;#ASMSTART
	v_med3_f32 v12, v12, v0, v20
v_med3_f32 v13, v13, v0, v20
v_cvt_pk_fp8_f32 v15, v12, v13
	;;#ASMEND
	;;#ASMSTART
	v_pk_mul_f32 v[8:9], v[8:9], v[18:19]
	;;#ASMEND
	s_add_u32 s0, s16, s0
	;;#ASMSTART
	v_med3_f32 v8, v8, v0, v20
v_med3_f32 v9, v9, v0, v20
v_cvt_pk_fp8_f32 v12, v8, v9
	;;#ASMEND
	s_addc_u32 s1, s17, s1
	v_lshlrev_b32_e32 v8, 16, v12
	s_and_b32 s1, s1, 0xffff
	s_mov_b32 s3, 0x20000
	v_and_or_b32 v15, v15, s4, v8
	buffer_store_dwordx2 v[14:15], v1, s[0:3], 0 offen
	;;#ASMSTART
	s_nop 0
	;;#ASMEND
	;;#ASMSTART
	v_pk_mul_f32 v[8:9], v[10:11], v[18:19]
	;;#ASMEND
	;;#ASMSTART
	v_med3_f32 v8, v8, v0, v20
v_med3_f32 v9, v9, v0, v20
v_cvt_pk_fp8_f32 v10, v8, v9
	;;#ASMEND
	;;#ASMSTART
	v_pk_mul_f32 v[6:7], v[6:7], v[18:19]
	;;#ASMEND
	;;#ASMSTART
	v_med3_f32 v6, v6, v0, v20
v_med3_f32 v7, v7, v0, v20
v_cvt_pk_fp8_f32 v8, v6, v7
	;;#ASMEND
	v_perm_b32 v7, v8, v10, s5
	v_and_b32_e32 v6, 0xffffff00, v8
	v_and_b32_sdwa v8, v7, s6 dst_sel:DWORD dst_unused:UNUSED_PAD src0_sel:WORD_1 src1_sel:DWORD
	v_or_b32_sdwa v6, v8, v6 dst_sel:WORD_1 dst_unused:UNUSED_PAD src0_sel:DWORD src1_sel:DWORD
	;;#ASMSTART
	v_pk_mul_f32 v[4:5], v[4:5], v[18:19]
	;;#ASMEND
	v_and_or_b32 v6, v7, s4, v6
	;;#ASMSTART
	v_med3_f32 v4, v4, v0, v20
v_med3_f32 v5, v5, v0, v20
v_cvt_pk_fp8_f32 v7, v4, v5
	;;#ASMEND
	;;#ASMSTART
	v_pk_mul_f32 v[2:3], v[2:3], v[18:19]
	;;#ASMEND
	;;#ASMSTART
	v_med3_f32 v2, v2, v0, v20
v_med3_f32 v3, v3, v0, v20
v_cvt_pk_fp8_f32 v0, v2, v3
	;;#ASMEND
	v_lshlrev_b32_e32 v0, 16, v0
	v_and_or_b32 v7, v7, s4, v0
	s_movk_i32 s4, 0x200
	buffer_store_dwordx2 v[6:7], v1, s[0:3], s4 offen
	;;#ASMSTART
	s_nop 0
	;;#ASMEND
.LBB26_49:
	s_endpgm
.LBB26_50:
                                        ; implicit-def: $vgpr18_vgpr19
	s_branch .LBB26_37
	.section	.rodata,"a",@progbits
	.p2align	6, 0x0
	.amdhsa_kernel _ZN5aiter24add_rmsnorm_quant_kernelItDB8_Li512ELi16ELb1ELb1ELb1ELi1EEEvPT0_PT_PfS5_S5_S5_diiiiiiib
		.amdhsa_group_segment_fixed_size 64
		.amdhsa_private_segment_fixed_size 0
		.amdhsa_kernarg_size 88
		.amdhsa_user_sgpr_count 6
		.amdhsa_user_sgpr_private_segment_buffer 1
		.amdhsa_user_sgpr_dispatch_ptr 0
		.amdhsa_user_sgpr_queue_ptr 0
		.amdhsa_user_sgpr_kernarg_segment_ptr 1
		.amdhsa_user_sgpr_dispatch_id 0
		.amdhsa_user_sgpr_flat_scratch_init 0
		.amdhsa_user_sgpr_kernarg_preload_length 0
		.amdhsa_user_sgpr_kernarg_preload_offset 0
		.amdhsa_user_sgpr_private_segment_size 0
		.amdhsa_uses_dynamic_stack 0
		.amdhsa_system_sgpr_private_segment_wavefront_offset 0
		.amdhsa_system_sgpr_workgroup_id_x 1
		.amdhsa_system_sgpr_workgroup_id_y 0
		.amdhsa_system_sgpr_workgroup_id_z 0
		.amdhsa_system_sgpr_workgroup_info 0
		.amdhsa_system_vgpr_workitem_id 0
		.amdhsa_next_free_vgpr 48
		.amdhsa_next_free_sgpr 40
		.amdhsa_accum_offset 48
		.amdhsa_reserve_vcc 1
		.amdhsa_reserve_flat_scratch 0
		.amdhsa_float_round_mode_32 0
		.amdhsa_float_round_mode_16_64 0
		.amdhsa_float_denorm_mode_32 3
		.amdhsa_float_denorm_mode_16_64 3
		.amdhsa_dx10_clamp 1
		.amdhsa_ieee_mode 1
		.amdhsa_fp16_overflow 0
		.amdhsa_tg_split 0
		.amdhsa_exception_fp_ieee_invalid_op 0
		.amdhsa_exception_fp_denorm_src 0
		.amdhsa_exception_fp_ieee_div_zero 0
		.amdhsa_exception_fp_ieee_overflow 0
		.amdhsa_exception_fp_ieee_underflow 0
		.amdhsa_exception_fp_ieee_inexact 0
		.amdhsa_exception_int_div_zero 0
	.end_amdhsa_kernel
	.section	.text._ZN5aiter24add_rmsnorm_quant_kernelItDB8_Li512ELi16ELb1ELb1ELb1ELi1EEEvPT0_PT_PfS5_S5_S5_diiiiiiib,"axG",@progbits,_ZN5aiter24add_rmsnorm_quant_kernelItDB8_Li512ELi16ELb1ELb1ELb1ELi1EEEvPT0_PT_PfS5_S5_S5_diiiiiiib,comdat
.Lfunc_end26:
	.size	_ZN5aiter24add_rmsnorm_quant_kernelItDB8_Li512ELi16ELb1ELb1ELb1ELi1EEEvPT0_PT_PfS5_S5_S5_diiiiiiib, .Lfunc_end26-_ZN5aiter24add_rmsnorm_quant_kernelItDB8_Li512ELi16ELb1ELb1ELb1ELi1EEEvPT0_PT_PfS5_S5_S5_diiiiiiib
                                        ; -- End function
	.section	.AMDGPU.csdata,"",@progbits
; Kernel info:
; codeLenInByte = 4200
; NumSgprs: 44
; NumVgprs: 48
; NumAgprs: 0
; TotalNumVgprs: 48
; ScratchSize: 0
; MemoryBound: 0
; FloatMode: 240
; IeeeMode: 1
; LDSByteSize: 64 bytes/workgroup (compile time only)
; SGPRBlocks: 5
; VGPRBlocks: 5
; NumSGPRsForWavesPerEU: 44
; NumVGPRsForWavesPerEU: 48
; AccumOffset: 48
; Occupancy: 8
; WaveLimiterHint : 0
; COMPUTE_PGM_RSRC2:SCRATCH_EN: 0
; COMPUTE_PGM_RSRC2:USER_SGPR: 6
; COMPUTE_PGM_RSRC2:TRAP_HANDLER: 0
; COMPUTE_PGM_RSRC2:TGID_X_EN: 1
; COMPUTE_PGM_RSRC2:TGID_Y_EN: 0
; COMPUTE_PGM_RSRC2:TGID_Z_EN: 0
; COMPUTE_PGM_RSRC2:TIDIG_COMP_CNT: 0
; COMPUTE_PGM_RSRC3_GFX90A:ACCUM_OFFSET: 11
; COMPUTE_PGM_RSRC3_GFX90A:TG_SPLIT: 0
	.section	.text._ZN5aiter24add_rmsnorm_quant_kernelIDF16_DB8_Li512ELi16ELb1ELb1ELb0ELi1EEEvPT0_PT_PfS5_S5_S5_diiiiiiib,"axG",@progbits,_ZN5aiter24add_rmsnorm_quant_kernelIDF16_DB8_Li512ELi16ELb1ELb1ELb0ELi1EEEvPT0_PT_PfS5_S5_S5_diiiiiiib,comdat
	.protected	_ZN5aiter24add_rmsnorm_quant_kernelIDF16_DB8_Li512ELi16ELb1ELb1ELb0ELi1EEEvPT0_PT_PfS5_S5_S5_diiiiiiib ; -- Begin function _ZN5aiter24add_rmsnorm_quant_kernelIDF16_DB8_Li512ELi16ELb1ELb1ELb0ELi1EEEvPT0_PT_PfS5_S5_S5_diiiiiiib
	.globl	_ZN5aiter24add_rmsnorm_quant_kernelIDF16_DB8_Li512ELi16ELb1ELb1ELb0ELi1EEEvPT0_PT_PfS5_S5_S5_diiiiiiib
	.p2align	8
	.type	_ZN5aiter24add_rmsnorm_quant_kernelIDF16_DB8_Li512ELi16ELb1ELb1ELb0ELi1EEEvPT0_PT_PfS5_S5_S5_diiiiiiib,@function
_ZN5aiter24add_rmsnorm_quant_kernelIDF16_DB8_Li512ELi16ELb1ELb1ELb0ELi1EEEvPT0_PT_PfS5_S5_S5_diiiiiiib: ; @_ZN5aiter24add_rmsnorm_quant_kernelIDF16_DB8_Li512ELi16ELb1ELb1ELb0ELi1EEEvPT0_PT_PfS5_S5_S5_diiiiiiib
; %bb.0:
	s_load_dwordx8 s[8:15], s[4:5], 0x38
	s_mov_b32 s7, 0
	s_waitcnt lgkmcnt(0)
	s_ashr_i32 s0, s8, 31
	v_mov_b32_e32 v2, s8
	v_mov_b32_e32 v3, s0
	v_cmp_ge_i64_e32 vcc, s[6:7], v[2:3]
	s_cbranch_vccnz .LBB27_49
; %bb.1:
	s_load_dwordx8 s[16:23], s[4:5], 0x0
	s_ashr_i32 s0, s10, 31
	s_mul_hi_u32 s1, s10, s6
	s_mul_i32 s0, s0, s6
	s_add_i32 s1, s1, s0
	s_mul_i32 s0, s10, s6
	s_lshl_b64 s[0:1], s[0:1], 1
	s_waitcnt lgkmcnt(0)
	s_add_u32 s0, s22, s0
	s_addc_u32 s1, s23, s1
	s_add_i32 s2, s9, 1
	s_lshr_b32 s3, s2, 31
	s_add_i32 s2, s2, s3
	s_lshl_b32 s2, s2, 1
	s_load_dwordx8 s[24:31], s[4:5], 0x20
	s_and_b32 s2, s2, -4
	s_and_b32 s1, s1, 0xffff
	s_mov_b32 s3, 0x20000
	v_lshlrev_b32_e32 v1, 5, v0
	buffer_load_dwordx4 v[10:13], v1, s[0:3], 16 offen
	buffer_load_dwordx4 v[14:17], v1, s[0:3], 0 offen
	s_ashr_i32 s0, s11, 31
	s_mul_hi_u32 s1, s11, s6
	s_mul_i32 s0, s0, s6
	s_add_i32 s1, s1, s0
	s_mul_i32 s0, s11, s6
	s_waitcnt lgkmcnt(0)
	s_and_b32 s37, s27, 0xffff
	s_lshl_b64 s[0:1], s[0:1], 1
	s_add_u32 s0, s24, s0
	s_addc_u32 s1, s25, s1
	s_and_b32 s1, s1, 0xffff
	buffer_load_dwordx4 v[18:21], v1, s[0:3], 16 offen
	buffer_load_dwordx4 v[22:25], v1, s[0:3], 0 offen
	s_mov_b32 s39, s3
	s_mov_b32 s36, s26
	;; [unrolled: 1-line block ×3, first 2 shown]
	buffer_load_dwordx4 v[6:9], v1, s[36:39], 0 offen
	buffer_load_dwordx4 v[2:5], v1, s[36:39], 16 offen
	s_ashr_i32 s4, s12, 31
	s_mul_hi_u32 s1, s12, s6
	s_mul_i32 s4, s4, s6
	s_mul_i32 s0, s12, s6
	s_add_i32 s1, s1, s4
	s_lshl_b64 s[0:1], s[0:1], 1
	s_add_u32 s0, s18, s0
	s_addc_u32 s1, s19, s1
	s_and_b32 s1, s1, 0xffff
	s_waitcnt vmcnt(5)
	v_cvt_f32_f16_e32 v26, v10
	v_cvt_f32_f16_sdwa v27, v10 dst_sel:DWORD dst_unused:UNUSED_PAD src0_sel:WORD_1
	v_cvt_f32_f16_e32 v10, v11
	v_cvt_f32_f16_sdwa v11, v11 dst_sel:DWORD dst_unused:UNUSED_PAD src0_sel:WORD_1
	v_cvt_f32_f16_e32 v28, v12
	v_cvt_f32_f16_sdwa v29, v12 dst_sel:DWORD dst_unused:UNUSED_PAD src0_sel:WORD_1
	v_cvt_f32_f16_e32 v30, v13
	v_cvt_f32_f16_sdwa v31, v13 dst_sel:DWORD dst_unused:UNUSED_PAD src0_sel:WORD_1
	s_waitcnt vmcnt(4)
	v_cvt_f32_f16_e32 v32, v14
	v_cvt_f32_f16_sdwa v33, v14 dst_sel:DWORD dst_unused:UNUSED_PAD src0_sel:WORD_1
	v_cvt_f32_f16_e32 v34, v15
	v_cvt_f32_f16_sdwa v35, v15 dst_sel:DWORD dst_unused:UNUSED_PAD src0_sel:WORD_1
	v_cvt_f32_f16_e32 v36, v16
	v_cvt_f32_f16_sdwa v37, v16 dst_sel:DWORD dst_unused:UNUSED_PAD src0_sel:WORD_1
	v_cvt_f32_f16_e32 v38, v17
	v_cvt_f32_f16_sdwa v39, v17 dst_sel:DWORD dst_unused:UNUSED_PAD src0_sel:WORD_1
	;; [unrolled: 9-line block ×4, first 2 shown]
	v_pk_add_f32 v[16:17], v[26:27], v[12:13]
	v_pk_add_f32 v[14:15], v[10:11], v[14:15]
	;; [unrolled: 1-line block ×8, first 2 shown]
	v_cvt_f16_f32_e32 v26, v25
	v_cvt_f16_f32_e32 v30, v24
	;; [unrolled: 1-line block ×8, first 2 shown]
	v_pack_b32_f16 v27, v31, v27
	v_pack_b32_f16 v28, v32, v28
	;; [unrolled: 1-line block ×4, first 2 shown]
	v_cvt_f16_f32_e32 v34, v16
	v_cvt_f16_f32_e32 v35, v14
	;; [unrolled: 1-line block ×5, first 2 shown]
	buffer_store_dwordx4 v[26:29], v1, s[0:3], 0 offen
	v_cvt_f16_f32_e32 v30, v17
	v_cvt_f16_f32_e32 v26, v13
	;; [unrolled: 1-line block ×3, first 2 shown]
	v_pack_b32_f16 v29, v37, v38
	;;#ASMSTART
	s_nop 0
	;;#ASMEND
	v_pack_b32_f16 v28, v36, v26
	v_pack_b32_f16 v27, v35, v27
	;; [unrolled: 1-line block ×3, first 2 shown]
	buffer_store_dwordx4 v[26:29], v1, s[0:3], 16 offen
	v_pk_mul_f32 v[30:31], v[18:19], v[18:19]
	v_pk_mul_f32 v[26:27], v[24:25], v[24:25]
	;; [unrolled: 1-line block ×3, first 2 shown]
	v_add_f32_e32 v1, v26, v27
	v_add_f32_e32 v1, v28, v1
	v_add_f32_e32 v1, v29, v1
	v_add_f32_e32 v1, v30, v1
	v_pk_mul_f32 v[32:33], v[22:23], v[22:23]
	v_add_f32_e32 v1, v31, v1
	v_add_f32_e32 v1, v32, v1
	v_pk_mul_f32 v[34:35], v[16:17], v[16:17]
	v_add_f32_e32 v1, v33, v1
	v_add_f32_e32 v1, v34, v1
	;; [unrolled: 3-line block ×5, first 2 shown]
	v_add_f32_e32 v1, v41, v1
	v_and_b32_e32 v27, 63, v0
	v_cmp_eq_u32_e64 s[0:1], 63, v27
	v_mov_b32_dpp v26, v1 quad_perm:[1,0,3,2] row_mask:0xf bank_mask:0xf
	v_add_f32_e32 v1, v1, v26
	;;#ASMSTART
	s_nop 0
	;;#ASMEND
	s_nop 1
	v_mov_b32_dpp v26, v1 quad_perm:[2,3,0,1] row_mask:0xf bank_mask:0xf
	v_add_f32_e32 v1, v1, v26
	s_nop 1
	v_mov_b32_dpp v26, v1 row_half_mirror row_mask:0xf bank_mask:0xf
	v_add_f32_e32 v1, v1, v26
	s_nop 1
	v_mov_b32_dpp v26, v1 row_mirror row_mask:0xf bank_mask:0xf
	v_add_f32_e32 v1, v1, v26
	s_nop 1
	v_mov_b32_dpp v26, v1 row_bcast:15 row_mask:0xf bank_mask:0xf
	v_add_f32_e32 v1, v1, v26
	s_nop 1
	v_mov_b32_dpp v26, v1 row_bcast:31 row_mask:0xf bank_mask:0xf
	s_and_saveexec_b64 s[2:3], s[0:1]
	s_cbranch_execz .LBB27_3
; %bb.2:
	v_lshrrev_b32_e32 v27, 4, v0
	v_and_b32_e32 v27, 60, v27
	v_add_f32_e32 v1, v1, v26
	ds_write_b32 v27, v1 offset:32
.LBB27_3:
	s_or_b64 exec, exec, s[2:3]
	v_and_b32_e32 v1, 7, v0
	v_lshlrev_b32_e32 v26, 2, v1
	s_waitcnt lgkmcnt(0)
	s_barrier
	ds_read_b32 v1, v26 offset:32
	v_cvt_f32_i32_e32 v27, s9
	s_waitcnt vmcnt(3)
	v_cvt_f32_f16_sdwa v37, v9 dst_sel:DWORD dst_unused:UNUSED_PAD src0_sel:WORD_1
	v_cvt_f32_f16_e32 v36, v9
	s_waitcnt vmcnt(2)
	v_cvt_f32_f16_sdwa v9, v2 dst_sel:DWORD dst_unused:UNUSED_PAD src0_sel:WORD_1
	s_waitcnt lgkmcnt(0)
	v_mov_b32_dpp v28, v1 quad_perm:[1,0,3,2] row_mask:0xf bank_mask:0xf
	v_add_f32_e32 v1, v1, v28
	s_cmp_lg_u32 s14, 0
	s_nop 0
	v_mov_b32_dpp v28, v1 quad_perm:[2,3,0,1] row_mask:0xf bank_mask:0xf
	v_add_f32_e32 v1, v1, v28
	s_nop 1
	v_mov_b32_dpp v28, v1 row_half_mirror row_mask:0xf bank_mask:0xf
	v_add_f32_e32 v1, v1, v28
	v_div_scale_f32 v28, s[2:3], v27, v27, v1
	v_rcp_f32_e32 v29, v28
	v_div_scale_f32 v30, vcc, v1, v27, v1
	s_mov_b32 s2, 0x800000
	v_fma_f32 v31, -v28, v29, 1.0
	v_fmac_f32_e32 v29, v31, v29
	v_mul_f32_e32 v31, v30, v29
	v_fma_f32 v32, -v28, v31, v30
	v_fmac_f32_e32 v31, v32, v29
	v_fma_f32 v28, -v28, v31, v30
	v_div_fmas_f32 v28, v28, v29, v31
	v_div_fixup_f32 v1, v28, v27, v1
	v_cvt_f64_f32_e32 v[28:29], v1
	v_add_f64 v[28:29], v[28:29], s[28:29]
	v_cvt_f32_f64_e32 v1, v[28:29]
	v_mul_f32_e32 v27, 0x4b800000, v1
	v_cmp_gt_f32_e32 vcc, s2, v1
	v_cndmask_b32_e32 v1, v1, v27, vcc
	v_rsq_f32_e32 v27, v1
	v_lshlrev_b32_e32 v1, 4, v0
	v_mul_f32_e32 v28, 0x45800000, v27
	v_cndmask_b32_e32 v28, v27, v28, vcc
	v_mov_b32_e32 v29, v28
	;;#ASMSTART
	v_pk_mul_f32 v[24:25], v[24:25], v[28:29]
	;;#ASMEND
	;;#ASMSTART
	v_pk_mul_f32 v[20:21], v[20:21], v[28:29]
	;;#ASMEND
	;; [unrolled: 3-line block ×8, first 2 shown]
	v_cvt_f32_f16_sdwa v11, v6 dst_sel:DWORD dst_unused:UNUSED_PAD src0_sel:WORD_1
	v_cvt_f32_f16_e32 v10, v6
	v_cvt_f32_f16_sdwa v13, v7 dst_sel:DWORD dst_unused:UNUSED_PAD src0_sel:WORD_1
	v_cvt_f32_f16_e32 v12, v7
	;; [unrolled: 2-line block ×3, first 2 shown]
	;;#ASMSTART
	v_pk_mul_f32 v[16:17], v[24:25], v[10:11]
	;;#ASMEND
	;;#ASMSTART
	v_pk_mul_f32 v[14:15], v[20:21], v[12:13]
	;;#ASMEND
	;; [unrolled: 3-line block ×3, first 2 shown]
	v_cvt_f32_f16_e32 v8, v2
	v_cvt_f32_f16_sdwa v19, v3 dst_sel:DWORD dst_unused:UNUSED_PAD src0_sel:WORD_1
	v_cvt_f32_f16_e32 v18, v3
	v_cvt_f32_f16_sdwa v3, v4 dst_sel:DWORD dst_unused:UNUSED_PAD src0_sel:WORD_1
	v_cvt_f32_f16_e32 v2, v4
	v_cvt_f32_f16_e32 v20, v5
	;;#ASMSTART
	v_pk_mul_f32 v[6:7], v[22:23], v[36:37]
	;;#ASMEND
	v_cvt_f32_f16_sdwa v21, v5 dst_sel:DWORD dst_unused:UNUSED_PAD src0_sel:WORD_1
	;;#ASMSTART
	v_pk_mul_f32 v[12:13], v[30:31], v[8:9]
	;;#ASMEND
	;;#ASMSTART
	v_pk_mul_f32 v[8:9], v[32:33], v[18:19]
	;;#ASMEND
	;; [unrolled: 3-line block ×4, first 2 shown]
	v_and_b32_e32 v18, 0x7fffffff, v16
	v_mov_b32_e32 v20, 0x2edbe6ff
	v_and_b32_e32 v19, 0x7fffffff, v17
	;;#ASMSTART
	v_max3_f32 v18, v20, v18, v19

	;;#ASMEND
	v_and_b32_e32 v20, 0x7fffffff, v15
	v_and_b32_e32 v19, 0x7fffffff, v14
	;;#ASMSTART
	v_max3_f32 v18, v18, v19, v20

	;;#ASMEND
	v_and_b32_e32 v20, 0x7fffffff, v11
	;; [unrolled: 6-line block ×7, first 2 shown]
	v_and_b32_e32 v19, 0x7fffffff, v2
	;;#ASMSTART
	v_max3_f32 v20, v18, v19, v20

	;;#ASMEND
	s_cbranch_scc0 .LBB27_10
; %bb.4:
	s_ashr_i32 s12, s14, 31
	s_lshr_b32 s2, s12, 28
	s_add_i32 s2, s14, s2
	s_ashr_i32 s10, s2, 4
	s_cmp_lt_i32 s10, 16
	s_cbranch_scc1 .LBB27_11
; %bb.5:
	s_cmp_lt_i32 s10, 32
	s_cbranch_scc1 .LBB27_12
; %bb.6:
	;; [unrolled: 3-line block ×3, first 2 shown]
	s_cmp_eq_u32 s10, 64
	v_mov_b32_e32 v18, v20
	s_cbranch_scc0 .LBB27_9
; %bb.8:
	s_nop 0
	v_mov_b32_dpp v18, v20 quad_perm:[1,0,3,2] row_mask:0xf bank_mask:0xf
	v_cmp_gt_f32_e32 vcc, v20, v18
	v_cndmask_b32_e32 v18, v18, v20, vcc
	v_bfrev_b32_e32 v21, 0.5
	s_nop 0
	v_mov_b32_dpp v19, v18 quad_perm:[2,3,0,1] row_mask:0xf bank_mask:0xf
	v_cmp_gt_f32_e32 vcc, v18, v19
	v_cndmask_b32_e32 v18, v19, v18, vcc
	s_nop 1
	v_mov_b32_dpp v19, v18 row_ror:4 row_mask:0xf bank_mask:0xf
	v_cmp_gt_f32_e32 vcc, v18, v19
	v_cndmask_b32_e32 v18, v19, v18, vcc
	s_nop 1
	v_mov_b32_dpp v19, v18 row_ror:8 row_mask:0xf bank_mask:0xf
	v_cmp_gt_f32_e32 vcc, v18, v19
	v_cndmask_b32_e32 v18, v19, v18, vcc
	s_nop 1
	v_mov_b32_dpp v19, v18 row_bcast:15 row_mask:0xf bank_mask:0xf
	v_cmp_gt_f32_e32 vcc, v18, v19
	v_cndmask_b32_e32 v18, v19, v18, vcc
	s_nop 1
	v_mov_b32_dpp v19, v18 row_bcast:31 row_mask:0xf bank_mask:0xf
	v_cmp_gt_f32_e32 vcc, v18, v19
	v_cndmask_b32_e32 v18, v19, v18, vcc
	v_mbcnt_lo_u32_b32 v19, -1, 0
	v_mbcnt_hi_u32_b32 v19, -1, v19
	v_lshl_or_b32 v19, v19, 2, v21
	ds_bpermute_b32 v18, v19, v18
.LBB27_9:
	s_mov_b64 s[2:3], 0
	s_branch .LBB27_14
.LBB27_10:
	s_mov_b64 s[2:3], 0
                                        ; implicit-def: $vgpr21
                                        ; implicit-def: $vgpr18_vgpr19
	s_cbranch_execnz .LBB27_43
	s_branch .LBB27_46
.LBB27_11:
                                        ; implicit-def: $vgpr18
	s_branch .LBB27_21
.LBB27_12:
                                        ; implicit-def: $vgpr18
	s_branch .LBB27_18
.LBB27_13:
	s_mov_b64 s[2:3], -1
                                        ; implicit-def: $vgpr18
.LBB27_14:
	s_andn2_b64 vcc, exec, s[2:3]
	s_cbranch_vccnz .LBB27_17
; %bb.15:
	s_cmp_eq_u32 s10, 32
	s_waitcnt lgkmcnt(0)
	v_mov_b32_e32 v18, v20
	s_cbranch_scc0 .LBB27_17
; %bb.16:
	s_nop 0
	v_mov_b32_dpp v18, v20 quad_perm:[1,0,3,2] row_mask:0xf bank_mask:0xf
	v_cmp_gt_f32_e32 vcc, v20, v18
	v_cndmask_b32_e32 v18, v18, v20, vcc
	v_mov_b32_e32 v21, 0x7c
	s_nop 0
	v_mov_b32_dpp v19, v18 quad_perm:[2,3,0,1] row_mask:0xf bank_mask:0xf
	v_cmp_gt_f32_e32 vcc, v18, v19
	v_cndmask_b32_e32 v18, v19, v18, vcc
	s_nop 1
	v_mov_b32_dpp v19, v18 row_half_mirror row_mask:0xf bank_mask:0xf
	v_cmp_gt_f32_e32 vcc, v18, v19
	v_cndmask_b32_e32 v18, v19, v18, vcc
	s_nop 1
	v_mov_b32_dpp v19, v18 row_mirror row_mask:0xf bank_mask:0xf
	v_cmp_gt_f32_e32 vcc, v18, v19
	v_cndmask_b32_e32 v18, v19, v18, vcc
	s_nop 1
	v_mov_b32_dpp v19, v18 row_bcast:15 row_mask:0xa bank_mask:0xf
	v_cmp_gt_f32_e32 vcc, v18, v19
	v_cndmask_b32_e32 v18, v19, v18, vcc
	v_mbcnt_lo_u32_b32 v19, -1, 0
	v_mbcnt_hi_u32_b32 v19, -1, v19
	v_lshl_or_b32 v19, v19, 2, v21
	ds_bpermute_b32 v18, v19, v18
.LBB27_17:
	s_cbranch_execnz .LBB27_20
.LBB27_18:
	s_cmp_eq_u32 s10, 16
	s_waitcnt lgkmcnt(0)
	v_mov_b32_e32 v18, v20
	s_cbranch_scc0 .LBB27_20
; %bb.19:
	s_nop 0
	v_mov_b32_dpp v18, v20 quad_perm:[1,0,3,2] row_mask:0xf bank_mask:0xf
	v_cmp_gt_f32_e32 vcc, v20, v18
	v_cndmask_b32_e32 v18, v18, v20, vcc
	s_nop 1
	v_mov_b32_dpp v19, v18 quad_perm:[2,3,0,1] row_mask:0xf bank_mask:0xf
	v_cmp_gt_f32_e32 vcc, v18, v19
	v_cndmask_b32_e32 v18, v19, v18, vcc
	s_nop 1
	v_mov_b32_dpp v19, v18 row_half_mirror row_mask:0xf bank_mask:0xf
	v_cmp_gt_f32_e32 vcc, v18, v19
	v_cndmask_b32_e32 v18, v19, v18, vcc
	s_nop 1
	v_mov_b32_dpp v19, v18 row_mirror row_mask:0xf bank_mask:0xf
	v_cmp_gt_f32_e32 vcc, v18, v19
	v_cndmask_b32_e32 v18, v19, v18, vcc
.LBB27_20:
	s_cbranch_execnz .LBB27_33
.LBB27_21:
	s_cmp_lt_i32 s10, 4
	s_cbranch_scc1 .LBB27_25
; %bb.22:
	s_cmp_lt_i32 s10, 8
	s_cbranch_scc1 .LBB27_26
; %bb.23:
	s_cmp_eq_u32 s10, 8
	s_waitcnt lgkmcnt(0)
	v_mov_b32_e32 v18, v20
	s_cbranch_scc0 .LBB27_27
; %bb.24:
	s_nop 0
	v_mov_b32_dpp v18, v20 quad_perm:[1,0,3,2] row_mask:0xf bank_mask:0xf
	v_cmp_gt_f32_e32 vcc, v20, v18
	v_cndmask_b32_e32 v18, v18, v20, vcc
	s_nop 1
	v_mov_b32_dpp v19, v18 quad_perm:[2,3,0,1] row_mask:0xf bank_mask:0xf
	v_cmp_gt_f32_e32 vcc, v18, v19
	v_cndmask_b32_e32 v18, v19, v18, vcc
	s_nop 1
	v_mov_b32_dpp v19, v18 row_half_mirror row_mask:0xf bank_mask:0xf
	v_cmp_gt_f32_e32 vcc, v18, v19
	v_cndmask_b32_e32 v18, v19, v18, vcc
	s_cbranch_execz .LBB27_28
	s_branch .LBB27_30
.LBB27_25:
                                        ; implicit-def: $vgpr18
	s_branch .LBB27_31
.LBB27_26:
                                        ; implicit-def: $vgpr18
	s_branch .LBB27_28
.LBB27_27:
	s_cbranch_execnz .LBB27_30
.LBB27_28:
	s_cmp_eq_u32 s10, 4
	s_waitcnt lgkmcnt(0)
	v_mov_b32_e32 v18, v20
	s_cbranch_scc0 .LBB27_30
; %bb.29:
	s_nop 0
	v_mov_b32_dpp v18, v20 quad_perm:[1,0,3,2] row_mask:0xf bank_mask:0xf
	v_cmp_gt_f32_e32 vcc, v20, v18
	v_cndmask_b32_e32 v18, v18, v20, vcc
	s_nop 1
	v_mov_b32_dpp v19, v18 quad_perm:[2,3,0,1] row_mask:0xf bank_mask:0xf
	v_cmp_gt_f32_e32 vcc, v18, v19
	v_cndmask_b32_e32 v18, v19, v18, vcc
.LBB27_30:
	s_cbranch_execnz .LBB27_33
.LBB27_31:
	s_cmp_lg_u32 s10, 2
	s_waitcnt lgkmcnt(0)
	v_mov_b32_e32 v18, v20
	s_cbranch_scc1 .LBB27_33
; %bb.32:
	s_nop 0
	v_mov_b32_dpp v18, v20 quad_perm:[1,0,3,2] row_mask:0xf bank_mask:0xf
	v_cmp_gt_f32_e32 vcc, v20, v18
	v_cndmask_b32_e32 v18, v18, v20, vcc
.LBB27_33:
	v_cvt_f32_u32_e32 v19, s10
	s_waitcnt lgkmcnt(0)
	v_mul_f32_e32 v21, 0x3b124925, v18
	s_sub_i32 s2, 0, s10
	v_cmp_gt_u32_e32 vcc, s9, v1
	v_rcp_iflag_f32_e32 v19, v19
	s_mov_b64 s[4:5], 0
	v_mul_f32_e32 v18, 0x4f7ffffe, v19
	v_cvt_u32_f32_e32 v18, v18
	v_mul_lo_u32 v19, s2, v18
	v_mul_hi_u32 v19, v18, v19
	v_add_u32_e32 v18, v18, v19
	v_mul_hi_u32 v18, v0, v18
	v_mul_lo_u32 v19, v18, s10
	v_sub_u32_e32 v19, v0, v19
	v_add_u32_e32 v22, 1, v18
	v_cmp_le_u32_e64 s[2:3], s10, v19
	v_cndmask_b32_e64 v18, v18, v22, s[2:3]
	v_subrev_u32_e32 v22, s10, v19
	v_cndmask_b32_e64 v19, v19, v22, s[2:3]
	v_add_u32_e32 v22, 1, v18
	v_cmp_le_u32_e64 s[2:3], s10, v19
	v_cndmask_b32_e64 v22, v18, v22, s[2:3]
	v_mul_lo_u32 v18, v22, s10
	v_sub_u32_e32 v18, v0, v18
	v_cmp_eq_u32_e64 s[2:3], 0, v18
	s_and_b64 s[10:11], s[2:3], vcc
	s_mov_b64 s[2:3], 0
                                        ; implicit-def: $vgpr18_vgpr19
	s_and_saveexec_b64 s[18:19], s[10:11]
	s_xor_b64 s[10:11], exec, s[18:19]
	s_cbranch_execz .LBB27_42
; %bb.34:
	s_bitcmp0_b32 s15, 0
	s_cbranch_scc0 .LBB27_39
; %bb.35:
	s_ashr_i32 s2, s9, 31
	s_mul_hi_u32 s3, s9, s6
	s_mul_i32 s2, s2, s6
	s_add_i32 s19, s3, s2
	s_mul_i32 s18, s9, s6
	s_mov_b32 s15, s12
	s_or_b64 s[2:3], s[18:19], s[14:15]
	s_mov_b32 s2, 0
	s_cmp_lg_u64 s[2:3], 0
	s_cbranch_scc0 .LBB27_50
; %bb.36:
	s_add_u32 s2, s14, s15
	s_mov_b32 s24, s15
	s_mov_b32 s25, s15
	s_addc_u32 s3, s15, s15
	s_xor_b64 s[26:27], s[2:3], s[24:25]
	v_cvt_f32_u32_e32 v18, s26
	v_cvt_f32_u32_e32 v19, s27
	s_sub_u32 s2, 0, s26
	s_subb_u32 s3, 0, s27
	v_madmk_f32 v18, v19, 0x4f800000, v18
	v_rcp_f32_e32 v18, v18
	v_mul_f32_e32 v18, 0x5f7ffffc, v18
	v_mul_f32_e32 v19, 0x2f800000, v18
	v_trunc_f32_e32 v19, v19
	v_madmk_f32 v18, v19, 0xcf800000, v18
	v_cvt_u32_f32_e32 v19, v19
	v_cvt_u32_f32_e32 v18, v18
	v_readfirstlane_b32 s12, v19
	v_readfirstlane_b32 s15, v18
	s_mul_i32 s28, s2, s12
	s_mul_hi_u32 s30, s2, s15
	s_mul_i32 s29, s3, s15
	s_add_i32 s28, s30, s28
	s_add_i32 s28, s28, s29
	s_mul_i32 s31, s2, s15
	s_mul_hi_u32 s29, s15, s28
	s_mul_i32 s30, s15, s28
	s_mul_hi_u32 s15, s15, s31
	s_add_u32 s15, s15, s30
	s_addc_u32 s29, 0, s29
	s_mul_hi_u32 s33, s12, s31
	s_mul_i32 s31, s12, s31
	s_add_u32 s15, s15, s31
	s_mul_hi_u32 s30, s12, s28
	s_addc_u32 s15, s29, s33
	s_addc_u32 s29, s30, 0
	s_mul_i32 s28, s12, s28
	s_add_u32 s15, s15, s28
	s_addc_u32 s28, 0, s29
	v_add_co_u32_e32 v18, vcc, s15, v18
	s_cmp_lg_u64 vcc, 0
	s_addc_u32 s12, s12, s28
	v_readfirstlane_b32 s28, v18
	s_mul_i32 s15, s2, s12
	s_mul_hi_u32 s29, s2, s28
	s_add_i32 s15, s29, s15
	s_mul_i32 s3, s3, s28
	s_add_i32 s15, s15, s3
	s_mul_i32 s2, s2, s28
	s_mul_hi_u32 s29, s12, s2
	s_mul_i32 s30, s12, s2
	s_mul_i32 s33, s28, s15
	s_mul_hi_u32 s2, s28, s2
	s_mul_hi_u32 s31, s28, s15
	s_add_u32 s2, s2, s33
	s_addc_u32 s28, 0, s31
	s_add_u32 s2, s2, s30
	s_mul_hi_u32 s3, s12, s15
	s_addc_u32 s2, s28, s29
	s_addc_u32 s3, s3, 0
	s_mul_i32 s15, s12, s15
	s_add_u32 s2, s2, s15
	s_addc_u32 s3, 0, s3
	v_add_co_u32_e32 v18, vcc, s2, v18
	s_cmp_lg_u64 vcc, 0
	s_addc_u32 s12, s12, s3
	s_ashr_i32 s28, s19, 31
	s_add_u32 s2, s18, s28
	s_mov_b32 s29, s28
	s_addc_u32 s3, s19, s28
	s_xor_b64 s[30:31], s[2:3], s[28:29]
	v_readfirstlane_b32 s15, v18
	s_mul_i32 s3, s30, s12
	s_mul_hi_u32 s19, s30, s15
	s_mul_hi_u32 s2, s30, s12
	s_add_u32 s3, s19, s3
	s_addc_u32 s2, 0, s2
	s_mul_hi_u32 s33, s31, s15
	s_mul_i32 s15, s31, s15
	s_add_u32 s3, s3, s15
	s_mul_hi_u32 s19, s31, s12
	s_addc_u32 s2, s2, s33
	s_addc_u32 s3, s19, 0
	s_mul_i32 s12, s31, s12
	s_add_u32 s12, s2, s12
	s_addc_u32 s15, 0, s3
	s_mul_i32 s2, s26, s15
	s_mul_hi_u32 s3, s26, s12
	s_add_i32 s2, s3, s2
	s_mul_i32 s3, s27, s12
	s_add_i32 s19, s2, s3
	s_mul_i32 s3, s26, s12
	v_mov_b32_e32 v18, s3
	s_sub_i32 s2, s31, s19
	v_sub_co_u32_e32 v18, vcc, s30, v18
	s_cmp_lg_u64 vcc, 0
	s_subb_u32 s30, s2, s27
	v_subrev_co_u32_e64 v19, s[2:3], s26, v18
	s_cmp_lg_u64 s[2:3], 0
	s_subb_u32 s30, s30, 0
	s_cmp_ge_u32 s30, s27
	s_cselect_b32 s33, -1, 0
	v_cmp_le_u32_e64 s[2:3], s26, v19
	s_cmp_eq_u32 s30, s27
	v_cndmask_b32_e64 v19, 0, -1, s[2:3]
	v_mov_b32_e32 v23, s33
	s_cselect_b64 s[2:3], -1, 0
	v_cndmask_b32_e64 v19, v23, v19, s[2:3]
	s_add_u32 s2, s12, 1
	s_addc_u32 s30, s15, 0
	s_add_u32 s3, s12, 2
	s_addc_u32 s33, s15, 0
	v_mov_b32_e32 v23, s2
	v_mov_b32_e32 v24, s3
	v_cmp_ne_u32_e64 s[2:3], 0, v19
	v_cndmask_b32_e64 v19, v23, v24, s[2:3]
	v_mov_b32_e32 v23, s30
	v_mov_b32_e32 v24, s33
	s_cmp_lg_u64 vcc, 0
	v_cndmask_b32_e64 v23, v23, v24, s[2:3]
	s_subb_u32 s2, s31, s19
	s_cmp_ge_u32 s2, s27
	s_cselect_b32 s3, -1, 0
	v_cmp_le_u32_e32 vcc, s26, v18
	s_cmp_eq_u32 s2, s27
	v_cndmask_b32_e64 v18, 0, -1, vcc
	v_mov_b32_e32 v24, s3
	s_cselect_b64 vcc, -1, 0
	v_cndmask_b32_e32 v18, v24, v18, vcc
	v_mov_b32_e32 v24, s15
	v_cmp_ne_u32_e32 vcc, 0, v18
	v_cndmask_b32_e32 v18, v24, v23, vcc
	v_mov_b32_e32 v23, s12
	v_cndmask_b32_e32 v19, v23, v19, vcc
	s_xor_b64 s[2:3], s[28:29], s[24:25]
	v_xor_b32_e32 v19, s2, v19
	v_xor_b32_e32 v23, s3, v18
	v_mov_b32_e32 v24, s3
	v_subrev_co_u32_e32 v18, vcc, s2, v19
	v_subb_co_u32_e32 v19, vcc, v23, v24, vcc
	s_cbranch_execnz .LBB27_38
.LBB27_37:
	v_cvt_f32_u32_e32 v18, s14
	s_sub_i32 s2, 0, s14
	s_mov_b32 s3, 0
	v_rcp_iflag_f32_e32 v18, v18
	v_mul_f32_e32 v18, 0x4f7ffffe, v18
	v_cvt_u32_f32_e32 v18, v18
	v_readfirstlane_b32 s12, v18
	s_mul_i32 s2, s2, s12
	s_mul_hi_u32 s2, s12, s2
	s_add_i32 s12, s12, s2
	s_mul_hi_u32 s2, s18, s12
	s_mul_i32 s15, s2, s14
	s_sub_i32 s15, s18, s15
	s_add_i32 s12, s2, 1
	s_sub_i32 s18, s15, s14
	s_cmp_ge_u32 s15, s14
	s_cselect_b32 s2, s12, s2
	s_cselect_b32 s15, s18, s15
	s_add_i32 s12, s2, 1
	s_cmp_ge_u32 s15, s14
	s_cselect_b32 s2, s12, s2
	v_pk_mov_b32 v[18:19], s[2:3], s[2:3] op_sel:[0,1]
.LBB27_38:
	v_add_co_u32_e32 v18, vcc, v18, v22
	v_addc_co_u32_e32 v19, vcc, 0, v19, vcc
	s_branch .LBB27_41
.LBB27_39:
                                        ; implicit-def: $vgpr18_vgpr19
	s_cbranch_execz .LBB27_41
; %bb.40:
	v_mul_lo_u32 v18, v22, s8
	v_ashrrev_i32_e32 v19, 31, v18
	v_mov_b32_e32 v22, s7
	v_add_co_u32_e32 v18, vcc, s6, v18
	v_addc_co_u32_e32 v19, vcc, v19, v22, vcc
.LBB27_41:
	s_mov_b64 s[2:3], exec
.LBB27_42:
	s_or_b64 exec, exec, s[10:11]
	s_and_b64 vcc, exec, s[4:5]
	s_cbranch_vccz .LBB27_46
.LBB27_43:
	v_mov_b32_dpp v18, v20 quad_perm:[1,0,3,2] row_mask:0xf bank_mask:0xf
	v_cmp_gt_f32_e32 vcc, v20, v18
	v_cndmask_b32_e32 v18, v18, v20, vcc
	s_nop 1
	v_mov_b32_dpp v19, v18 quad_perm:[2,3,0,1] row_mask:0xf bank_mask:0xf
	v_cmp_gt_f32_e32 vcc, v18, v19
	v_cndmask_b32_e32 v18, v19, v18, vcc
	s_nop 1
	v_mov_b32_dpp v19, v18 row_half_mirror row_mask:0xf bank_mask:0xf
	v_cmp_gt_f32_e32 vcc, v18, v19
	v_cndmask_b32_e32 v18, v19, v18, vcc
	s_nop 1
	v_mov_b32_dpp v19, v18 row_mirror row_mask:0xf bank_mask:0xf
	v_cmp_gt_f32_e32 vcc, v18, v19
	v_cndmask_b32_e32 v18, v19, v18, vcc
	s_nop 1
	v_mov_b32_dpp v19, v18 row_bcast:15 row_mask:0xf bank_mask:0xf
	v_cmp_gt_f32_e32 vcc, v18, v19
	v_cndmask_b32_e32 v18, v19, v18, vcc
	s_nop 1
	v_mov_b32_dpp v19, v18 row_bcast:31 row_mask:0xf bank_mask:0xf
	s_and_saveexec_b64 s[2:3], s[0:1]
	s_cbranch_execz .LBB27_45
; %bb.44:
	v_lshrrev_b32_e32 v20, 4, v0
	v_cmp_gt_f32_e32 vcc, v18, v19
	v_and_b32_e32 v20, 60, v20
	v_cndmask_b32_e32 v18, v19, v18, vcc
	ds_write_b32 v20, v18
.LBB27_45:
	s_or_b64 exec, exec, s[2:3]
	s_waitcnt lgkmcnt(0)
	s_barrier
	ds_read_b32 v18, v26
	v_cmp_eq_u32_e64 s[2:3], 0, v0
	s_waitcnt lgkmcnt(0)
	v_mov_b32_dpp v19, v18 quad_perm:[1,0,3,2] row_mask:0xf bank_mask:0xf
	v_cmp_gt_f32_e32 vcc, v18, v19
	v_cndmask_b32_e32 v18, v19, v18, vcc
	s_nop 1
	v_mov_b32_dpp v19, v18 quad_perm:[2,3,0,1] row_mask:0xf bank_mask:0xf
	v_cmp_gt_f32_e32 vcc, v18, v19
	v_cndmask_b32_e32 v18, v19, v18, vcc
	s_nop 1
	v_mov_b32_dpp v19, v18 row_half_mirror row_mask:0xf bank_mask:0xf
	v_cmp_gt_f32_e32 vcc, v18, v19
	v_cndmask_b32_e32 v18, v19, v18, vcc
	v_mul_f32_e32 v21, 0x3b124925, v18
	v_pk_mov_b32 v[18:19], s[6:7], s[6:7] op_sel:[0,1]
.LBB27_46:
	s_and_saveexec_b64 s[0:1], s[2:3]
	s_cbranch_execz .LBB27_48
; %bb.47:
	v_lshlrev_b64 v[18:19], 2, v[18:19]
	v_mov_b32_e32 v0, s21
	v_add_co_u32_e32 v18, vcc, s20, v18
	v_addc_co_u32_e32 v19, vcc, v0, v19, vcc
	global_store_dword v[18:19], v21, off
.LBB27_48:
	s_or_b64 exec, exec, s[0:1]
	;;#ASMSTART
	v_rcp_f32 v18, v21
	;;#ASMEND
	v_mov_b32_e32 v19, v18
	;;#ASMSTART
	v_pk_mul_f32 v[16:17], v[16:17], v[18:19]
	;;#ASMEND
	s_add_i32 s0, s9, 3
	v_mov_b32_e32 v0, 0xc3e00000
	v_mov_b32_e32 v20, 0x43e00000
	;;#ASMSTART
	v_med3_f32 v16, v16, v0, v20
v_med3_f32 v17, v17, v0, v20
v_cvt_pk_fp8_f32 v21, v16, v17
	;;#ASMEND
	;;#ASMSTART
	v_pk_mul_f32 v[14:15], v[14:15], v[18:19]
	;;#ASMEND
	s_ashr_i32 s1, s0, 31
	;;#ASMSTART
	v_med3_f32 v14, v14, v0, v20
v_med3_f32 v15, v15, v0, v20
v_cvt_pk_fp8_f32 v16, v14, v15
	;;#ASMEND
	;;#ASMSTART
	v_pk_mul_f32 v[10:11], v[10:11], v[18:19]
	;;#ASMEND
	s_lshr_b32 s1, s1, 30
	s_mov_b32 s4, 0x5040100
	;;#ASMSTART
	v_med3_f32 v10, v10, v0, v20
v_med3_f32 v11, v11, v0, v20
v_cvt_pk_fp8_f32 v15, v10, v11
	;;#ASMEND
	;;#ASMSTART
	v_pk_mul_f32 v[6:7], v[6:7], v[18:19]
	;;#ASMEND
	s_add_i32 s0, s0, s1
	v_perm_b32 v14, v16, v21, s4
	s_mov_b32 s4, 0x1060504
	;;#ASMSTART
	v_med3_f32 v6, v6, v0, v20
v_med3_f32 v7, v7, v0, v20
v_cvt_pk_fp8_f32 v10, v6, v7
	;;#ASMEND
	s_and_b32 s2, s0, -4
	s_ashr_i32 s0, s13, 31
	v_perm_b32 v14, v14, v16, s4
	s_mov_b32 s4, 0x1000504
	;;#ASMSTART
	v_pk_mul_f32 v[6:7], v[12:13], v[18:19]
	;;#ASMEND
	s_mul_hi_u32 s1, s13, s6
	s_mul_i32 s0, s0, s6
	v_perm_b32 v15, v15, v10, s4
	;;#ASMSTART
	v_med3_f32 v6, v6, v0, v20
v_med3_f32 v7, v7, v0, v20
v_cvt_pk_fp8_f32 v10, v6, v7
	;;#ASMEND
	s_add_i32 s1, s1, s0
	s_mul_i32 s0, s13, s6
	;;#ASMSTART
	v_pk_mul_f32 v[6:7], v[8:9], v[18:19]
	;;#ASMEND
	s_add_u32 s0, s16, s0
	;;#ASMSTART
	v_med3_f32 v6, v6, v0, v20
v_med3_f32 v7, v7, v0, v20
v_cvt_pk_fp8_f32 v8, v6, v7
	;;#ASMEND
	;;#ASMSTART
	v_pk_mul_f32 v[4:5], v[4:5], v[18:19]
	;;#ASMEND
	s_addc_u32 s1, s17, s1
	;;#ASMSTART
	v_med3_f32 v4, v4, v0, v20
v_med3_f32 v5, v5, v0, v20
v_cvt_pk_fp8_f32 v6, v4, v5
	;;#ASMEND
	;;#ASMSTART
	v_pk_mul_f32 v[2:3], v[2:3], v[18:19]
	;;#ASMEND
	s_and_b32 s1, s1, 0xffff
	s_mov_b32 s3, 0x20000
	v_perm_b32 v16, v10, v8, s4
	;;#ASMSTART
	v_med3_f32 v2, v2, v0, v20
v_med3_f32 v3, v3, v0, v20
v_cvt_pk_fp8_f32 v0, v2, v3
	;;#ASMEND
	v_perm_b32 v17, v6, v0, s4
	buffer_store_dwordx4 v[14:17], v1, s[0:3], 0 offen
	;;#ASMSTART
	s_nop 0
	;;#ASMEND
.LBB27_49:
	s_endpgm
.LBB27_50:
                                        ; implicit-def: $vgpr18_vgpr19
	s_branch .LBB27_37
	.section	.rodata,"a",@progbits
	.p2align	6, 0x0
	.amdhsa_kernel _ZN5aiter24add_rmsnorm_quant_kernelIDF16_DB8_Li512ELi16ELb1ELb1ELb0ELi1EEEvPT0_PT_PfS5_S5_S5_diiiiiiib
		.amdhsa_group_segment_fixed_size 64
		.amdhsa_private_segment_fixed_size 0
		.amdhsa_kernarg_size 88
		.amdhsa_user_sgpr_count 6
		.amdhsa_user_sgpr_private_segment_buffer 1
		.amdhsa_user_sgpr_dispatch_ptr 0
		.amdhsa_user_sgpr_queue_ptr 0
		.amdhsa_user_sgpr_kernarg_segment_ptr 1
		.amdhsa_user_sgpr_dispatch_id 0
		.amdhsa_user_sgpr_flat_scratch_init 0
		.amdhsa_user_sgpr_kernarg_preload_length 0
		.amdhsa_user_sgpr_kernarg_preload_offset 0
		.amdhsa_user_sgpr_private_segment_size 0
		.amdhsa_uses_dynamic_stack 0
		.amdhsa_system_sgpr_private_segment_wavefront_offset 0
		.amdhsa_system_sgpr_workgroup_id_x 1
		.amdhsa_system_sgpr_workgroup_id_y 0
		.amdhsa_system_sgpr_workgroup_id_z 0
		.amdhsa_system_sgpr_workgroup_info 0
		.amdhsa_system_vgpr_workitem_id 0
		.amdhsa_next_free_vgpr 46
		.amdhsa_next_free_sgpr 40
		.amdhsa_accum_offset 48
		.amdhsa_reserve_vcc 1
		.amdhsa_reserve_flat_scratch 0
		.amdhsa_float_round_mode_32 0
		.amdhsa_float_round_mode_16_64 0
		.amdhsa_float_denorm_mode_32 3
		.amdhsa_float_denorm_mode_16_64 3
		.amdhsa_dx10_clamp 1
		.amdhsa_ieee_mode 1
		.amdhsa_fp16_overflow 0
		.amdhsa_tg_split 0
		.amdhsa_exception_fp_ieee_invalid_op 0
		.amdhsa_exception_fp_denorm_src 0
		.amdhsa_exception_fp_ieee_div_zero 0
		.amdhsa_exception_fp_ieee_overflow 0
		.amdhsa_exception_fp_ieee_underflow 0
		.amdhsa_exception_fp_ieee_inexact 0
		.amdhsa_exception_int_div_zero 0
	.end_amdhsa_kernel
	.section	.text._ZN5aiter24add_rmsnorm_quant_kernelIDF16_DB8_Li512ELi16ELb1ELb1ELb0ELi1EEEvPT0_PT_PfS5_S5_S5_diiiiiiib,"axG",@progbits,_ZN5aiter24add_rmsnorm_quant_kernelIDF16_DB8_Li512ELi16ELb1ELb1ELb0ELi1EEEvPT0_PT_PfS5_S5_S5_diiiiiiib,comdat
.Lfunc_end27:
	.size	_ZN5aiter24add_rmsnorm_quant_kernelIDF16_DB8_Li512ELi16ELb1ELb1ELb0ELi1EEEvPT0_PT_PfS5_S5_S5_diiiiiiib, .Lfunc_end27-_ZN5aiter24add_rmsnorm_quant_kernelIDF16_DB8_Li512ELi16ELb1ELb1ELb0ELi1EEEvPT0_PT_PfS5_S5_S5_diiiiiiib
                                        ; -- End function
	.section	.AMDGPU.csdata,"",@progbits
; Kernel info:
; codeLenInByte = 4052
; NumSgprs: 44
; NumVgprs: 46
; NumAgprs: 0
; TotalNumVgprs: 46
; ScratchSize: 0
; MemoryBound: 0
; FloatMode: 240
; IeeeMode: 1
; LDSByteSize: 64 bytes/workgroup (compile time only)
; SGPRBlocks: 5
; VGPRBlocks: 5
; NumSGPRsForWavesPerEU: 44
; NumVGPRsForWavesPerEU: 46
; AccumOffset: 48
; Occupancy: 8
; WaveLimiterHint : 0
; COMPUTE_PGM_RSRC2:SCRATCH_EN: 0
; COMPUTE_PGM_RSRC2:USER_SGPR: 6
; COMPUTE_PGM_RSRC2:TRAP_HANDLER: 0
; COMPUTE_PGM_RSRC2:TGID_X_EN: 1
; COMPUTE_PGM_RSRC2:TGID_Y_EN: 0
; COMPUTE_PGM_RSRC2:TGID_Z_EN: 0
; COMPUTE_PGM_RSRC2:TIDIG_COMP_CNT: 0
; COMPUTE_PGM_RSRC3_GFX90A:ACCUM_OFFSET: 11
; COMPUTE_PGM_RSRC3_GFX90A:TG_SPLIT: 0
	.section	.text._ZN5aiter24add_rmsnorm_quant_kernelItDB8_Li512ELi16ELb1ELb1ELb0ELi1EEEvPT0_PT_PfS5_S5_S5_diiiiiiib,"axG",@progbits,_ZN5aiter24add_rmsnorm_quant_kernelItDB8_Li512ELi16ELb1ELb1ELb0ELi1EEEvPT0_PT_PfS5_S5_S5_diiiiiiib,comdat
	.protected	_ZN5aiter24add_rmsnorm_quant_kernelItDB8_Li512ELi16ELb1ELb1ELb0ELi1EEEvPT0_PT_PfS5_S5_S5_diiiiiiib ; -- Begin function _ZN5aiter24add_rmsnorm_quant_kernelItDB8_Li512ELi16ELb1ELb1ELb0ELi1EEEvPT0_PT_PfS5_S5_S5_diiiiiiib
	.globl	_ZN5aiter24add_rmsnorm_quant_kernelItDB8_Li512ELi16ELb1ELb1ELb0ELi1EEEvPT0_PT_PfS5_S5_S5_diiiiiiib
	.p2align	8
	.type	_ZN5aiter24add_rmsnorm_quant_kernelItDB8_Li512ELi16ELb1ELb1ELb0ELi1EEEvPT0_PT_PfS5_S5_S5_diiiiiiib,@function
_ZN5aiter24add_rmsnorm_quant_kernelItDB8_Li512ELi16ELb1ELb1ELb0ELi1EEEvPT0_PT_PfS5_S5_S5_diiiiiiib: ; @_ZN5aiter24add_rmsnorm_quant_kernelItDB8_Li512ELi16ELb1ELb1ELb0ELi1EEEvPT0_PT_PfS5_S5_S5_diiiiiiib
; %bb.0:
	s_load_dwordx8 s[8:15], s[4:5], 0x38
	s_mov_b32 s7, 0
	s_waitcnt lgkmcnt(0)
	s_ashr_i32 s0, s8, 31
	v_mov_b32_e32 v2, s8
	v_mov_b32_e32 v3, s0
	v_cmp_ge_i64_e32 vcc, s[6:7], v[2:3]
	s_cbranch_vccnz .LBB28_49
; %bb.1:
	s_load_dwordx8 s[16:23], s[4:5], 0x0
	s_ashr_i32 s0, s10, 31
	s_mul_hi_u32 s1, s10, s6
	s_mul_i32 s0, s0, s6
	s_add_i32 s1, s1, s0
	s_mul_i32 s0, s10, s6
	s_lshl_b64 s[0:1], s[0:1], 1
	s_waitcnt lgkmcnt(0)
	s_add_u32 s0, s22, s0
	s_addc_u32 s1, s23, s1
	s_add_i32 s2, s9, 1
	s_lshr_b32 s3, s2, 31
	s_add_i32 s2, s2, s3
	s_lshl_b32 s2, s2, 1
	s_load_dwordx8 s[24:31], s[4:5], 0x20
	s_and_b32 s2, s2, -4
	s_and_b32 s1, s1, 0xffff
	s_mov_b32 s3, 0x20000
	v_lshlrev_b32_e32 v1, 5, v0
	buffer_load_dwordx4 v[18:21], v1, s[0:3], 16 offen
	buffer_load_dwordx4 v[10:13], v1, s[0:3], 0 offen
	s_ashr_i32 s0, s11, 31
	s_mul_hi_u32 s1, s11, s6
	s_mul_i32 s0, s0, s6
	s_add_i32 s1, s1, s0
	s_mul_i32 s0, s11, s6
	s_waitcnt lgkmcnt(0)
	s_and_b32 s37, s27, 0xffff
	s_lshl_b64 s[0:1], s[0:1], 1
	s_add_u32 s0, s24, s0
	s_addc_u32 s1, s25, s1
	s_and_b32 s1, s1, 0xffff
	buffer_load_dwordx4 v[22:25], v1, s[0:3], 16 offen
	buffer_load_dwordx4 v[14:17], v1, s[0:3], 0 offen
	s_mov_b32 s39, s3
	s_mov_b32 s36, s26
	s_mov_b32 s38, s2
	buffer_load_dwordx4 v[6:9], v1, s[36:39], 0 offen
	buffer_load_dwordx4 v[2:5], v1, s[36:39], 16 offen
	s_ashr_i32 s5, s12, 31
	s_mul_hi_u32 s1, s12, s6
	s_mul_i32 s5, s5, s6
	s_mul_i32 s0, s12, s6
	s_add_i32 s1, s1, s5
	s_lshl_b64 s[0:1], s[0:1], 1
	s_add_u32 s0, s18, s0
	s_mov_b32 s4, 0x7060302
	s_addc_u32 s1, s19, s1
	s_and_b32 s1, s1, 0xffff
	s_waitcnt vmcnt(5)
	v_cvt_f32_u32_sdwa v27, v18 dst_sel:DWORD dst_unused:UNUSED_PAD src0_sel:WORD_1
	v_cvt_f32_u32_sdwa v26, v18 dst_sel:DWORD dst_unused:UNUSED_PAD src0_sel:WORD_0
	v_cvt_f32_u32_sdwa v29, v19 dst_sel:DWORD dst_unused:UNUSED_PAD src0_sel:WORD_1
	v_cvt_f32_u32_sdwa v28, v19 dst_sel:DWORD dst_unused:UNUSED_PAD src0_sel:WORD_0
	v_cvt_f32_u32_sdwa v19, v20 dst_sel:DWORD dst_unused:UNUSED_PAD src0_sel:WORD_1
	v_cvt_f32_u32_sdwa v18, v20 dst_sel:DWORD dst_unused:UNUSED_PAD src0_sel:WORD_0
	v_cvt_f32_u32_sdwa v31, v21 dst_sel:DWORD dst_unused:UNUSED_PAD src0_sel:WORD_1
	v_cvt_f32_u32_sdwa v30, v21 dst_sel:DWORD dst_unused:UNUSED_PAD src0_sel:WORD_0
	s_waitcnt vmcnt(4)
	v_cvt_f32_u32_sdwa v21, v10 dst_sel:DWORD dst_unused:UNUSED_PAD src0_sel:WORD_1
	v_cvt_f32_u32_sdwa v20, v10 dst_sel:DWORD dst_unused:UNUSED_PAD src0_sel:WORD_0
	v_cvt_f32_u32_sdwa v33, v11 dst_sel:DWORD dst_unused:UNUSED_PAD src0_sel:WORD_1
	v_cvt_f32_u32_sdwa v32, v11 dst_sel:DWORD dst_unused:UNUSED_PAD src0_sel:WORD_0
	v_cvt_f32_u32_sdwa v35, v12 dst_sel:DWORD dst_unused:UNUSED_PAD src0_sel:WORD_1
	v_cvt_f32_u32_sdwa v34, v12 dst_sel:DWORD dst_unused:UNUSED_PAD src0_sel:WORD_0
	v_cvt_f32_u32_sdwa v37, v13 dst_sel:DWORD dst_unused:UNUSED_PAD src0_sel:WORD_1
	v_cvt_f32_u32_sdwa v36, v13 dst_sel:DWORD dst_unused:UNUSED_PAD src0_sel:WORD_0
	;; [unrolled: 9-line block ×4, first 2 shown]
	v_pk_add_f32 v[16:17], v[26:27], v[10:11]
	v_pk_add_f32 v[14:15], v[28:29], v[12:13]
	;; [unrolled: 1-line block ×8, first 2 shown]
	v_perm_b32 v29, v19, v18, s4
	v_perm_b32 v28, v21, v20, s4
	;; [unrolled: 1-line block ×8, first 2 shown]
	v_pk_mul_f32 v[34:35], v[24:25], v[24:25]
	v_pk_mul_f32 v[36:37], v[22:23], v[22:23]
	buffer_store_dwordx4 v[26:29], v1, s[0:3], 0 offen
	;;#ASMSTART
	s_nop 0
	;;#ASMEND
	buffer_store_dwordx4 v[30:33], v1, s[0:3], 16 offen
	v_add_f32_e32 v1, v34, v35
	v_add_f32_e32 v1, v36, v1
	v_pk_mul_f32 v[26:27], v[20:21], v[20:21]
	v_add_f32_e32 v1, v37, v1
	v_add_f32_e32 v1, v26, v1
	v_pk_mul_f32 v[28:29], v[18:19], v[18:19]
	;; [unrolled: 3-line block ×6, first 2 shown]
	v_add_f32_e32 v1, v39, v1
	v_add_f32_e32 v1, v40, v1
	;; [unrolled: 1-line block ×3, first 2 shown]
	v_and_b32_e32 v27, 63, v0
	v_cmp_eq_u32_e64 s[0:1], 63, v27
	v_mov_b32_dpp v26, v1 quad_perm:[1,0,3,2] row_mask:0xf bank_mask:0xf
	v_add_f32_e32 v1, v1, v26
	;;#ASMSTART
	s_nop 0
	;;#ASMEND
	s_nop 1
	v_mov_b32_dpp v26, v1 quad_perm:[2,3,0,1] row_mask:0xf bank_mask:0xf
	v_add_f32_e32 v1, v1, v26
	s_nop 1
	v_mov_b32_dpp v26, v1 row_half_mirror row_mask:0xf bank_mask:0xf
	v_add_f32_e32 v1, v1, v26
	s_nop 1
	v_mov_b32_dpp v26, v1 row_mirror row_mask:0xf bank_mask:0xf
	v_add_f32_e32 v1, v1, v26
	s_nop 1
	v_mov_b32_dpp v26, v1 row_bcast:15 row_mask:0xf bank_mask:0xf
	v_add_f32_e32 v1, v1, v26
	s_nop 1
	v_mov_b32_dpp v26, v1 row_bcast:31 row_mask:0xf bank_mask:0xf
	s_and_saveexec_b64 s[2:3], s[0:1]
	s_cbranch_execz .LBB28_3
; %bb.2:
	v_lshrrev_b32_e32 v27, 4, v0
	v_and_b32_e32 v27, 60, v27
	v_add_f32_e32 v1, v1, v26
	ds_write_b32 v27, v1 offset:32
.LBB28_3:
	s_or_b64 exec, exec, s[2:3]
	v_and_b32_e32 v1, 7, v0
	v_lshlrev_b32_e32 v26, 2, v1
	s_waitcnt lgkmcnt(0)
	s_barrier
	ds_read_b32 v1, v26 offset:32
	v_cvt_f32_i32_e32 v27, s9
	s_waitcnt vmcnt(3)
	v_cvt_f32_u32_sdwa v37, v9 dst_sel:DWORD dst_unused:UNUSED_PAD src0_sel:WORD_1
	v_cvt_f32_u32_sdwa v36, v9 dst_sel:DWORD dst_unused:UNUSED_PAD src0_sel:WORD_0
	s_waitcnt vmcnt(2)
	v_cvt_f32_u32_sdwa v9, v2 dst_sel:DWORD dst_unused:UNUSED_PAD src0_sel:WORD_1
	s_waitcnt lgkmcnt(0)
	v_mov_b32_dpp v28, v1 quad_perm:[1,0,3,2] row_mask:0xf bank_mask:0xf
	v_add_f32_e32 v1, v1, v28
	s_cmp_lg_u32 s14, 0
	s_nop 0
	v_mov_b32_dpp v28, v1 quad_perm:[2,3,0,1] row_mask:0xf bank_mask:0xf
	v_add_f32_e32 v1, v1, v28
	s_nop 1
	v_mov_b32_dpp v28, v1 row_half_mirror row_mask:0xf bank_mask:0xf
	v_add_f32_e32 v1, v1, v28
	v_div_scale_f32 v28, s[2:3], v27, v27, v1
	v_rcp_f32_e32 v29, v28
	v_div_scale_f32 v30, vcc, v1, v27, v1
	s_mov_b32 s2, 0x800000
	v_fma_f32 v31, -v28, v29, 1.0
	v_fmac_f32_e32 v29, v31, v29
	v_mul_f32_e32 v31, v30, v29
	v_fma_f32 v32, -v28, v31, v30
	v_fmac_f32_e32 v31, v32, v29
	v_fma_f32 v28, -v28, v31, v30
	v_div_fmas_f32 v28, v28, v29, v31
	v_div_fixup_f32 v1, v28, v27, v1
	v_cvt_f64_f32_e32 v[28:29], v1
	v_add_f64 v[28:29], v[28:29], s[28:29]
	v_cvt_f32_f64_e32 v1, v[28:29]
	v_mul_f32_e32 v27, 0x4b800000, v1
	v_cmp_gt_f32_e32 vcc, s2, v1
	v_cndmask_b32_e32 v1, v1, v27, vcc
	v_rsq_f32_e32 v27, v1
	v_lshlrev_b32_e32 v1, 4, v0
	v_mul_f32_e32 v28, 0x45800000, v27
	v_cndmask_b32_e32 v28, v27, v28, vcc
	v_mov_b32_e32 v29, v28
	;;#ASMSTART
	v_pk_mul_f32 v[24:25], v[24:25], v[28:29]
	;;#ASMEND
	;;#ASMSTART
	v_pk_mul_f32 v[22:23], v[22:23], v[28:29]
	;;#ASMEND
	;; [unrolled: 3-line block ×8, first 2 shown]
	v_cvt_f32_u32_sdwa v11, v6 dst_sel:DWORD dst_unused:UNUSED_PAD src0_sel:WORD_1
	v_cvt_f32_u32_sdwa v10, v6 dst_sel:DWORD dst_unused:UNUSED_PAD src0_sel:WORD_0
	v_cvt_f32_u32_sdwa v13, v7 dst_sel:DWORD dst_unused:UNUSED_PAD src0_sel:WORD_1
	v_cvt_f32_u32_sdwa v12, v7 dst_sel:DWORD dst_unused:UNUSED_PAD src0_sel:WORD_0
	;; [unrolled: 2-line block ×3, first 2 shown]
	;;#ASMSTART
	v_pk_mul_f32 v[16:17], v[24:25], v[10:11]
	;;#ASMEND
	;;#ASMSTART
	v_pk_mul_f32 v[14:15], v[22:23], v[12:13]
	;;#ASMEND
	;; [unrolled: 3-line block ×4, first 2 shown]
	v_cvt_f32_u32_sdwa v8, v2 dst_sel:DWORD dst_unused:UNUSED_PAD src0_sel:WORD_0
	v_cvt_f32_u32_sdwa v19, v3 dst_sel:DWORD dst_unused:UNUSED_PAD src0_sel:WORD_1
	v_cvt_f32_u32_sdwa v18, v3 dst_sel:DWORD dst_unused:UNUSED_PAD src0_sel:WORD_0
	v_cvt_f32_u32_sdwa v3, v4 dst_sel:DWORD dst_unused:UNUSED_PAD src0_sel:WORD_1
	v_cvt_f32_u32_sdwa v2, v4 dst_sel:DWORD dst_unused:UNUSED_PAD src0_sel:WORD_0
	v_cvt_f32_u32_sdwa v20, v5 dst_sel:DWORD dst_unused:UNUSED_PAD src0_sel:WORD_0
	v_cvt_f32_u32_sdwa v21, v5 dst_sel:DWORD dst_unused:UNUSED_PAD src0_sel:WORD_1
	;;#ASMSTART
	v_pk_mul_f32 v[12:13], v[30:31], v[8:9]
	;;#ASMEND
	;;#ASMSTART
	v_pk_mul_f32 v[8:9], v[32:33], v[18:19]
	;;#ASMEND
	;; [unrolled: 3-line block ×4, first 2 shown]
	v_and_b32_e32 v18, 0x7fffffff, v16
	v_mov_b32_e32 v20, 0x2edbe6ff
	v_and_b32_e32 v19, 0x7fffffff, v17
	;;#ASMSTART
	v_max3_f32 v18, v20, v18, v19

	;;#ASMEND
	v_and_b32_e32 v20, 0x7fffffff, v15
	v_and_b32_e32 v19, 0x7fffffff, v14
	;;#ASMSTART
	v_max3_f32 v18, v18, v19, v20

	;;#ASMEND
	v_and_b32_e32 v20, 0x7fffffff, v11
	;; [unrolled: 6-line block ×7, first 2 shown]
	v_and_b32_e32 v19, 0x7fffffff, v2
	;;#ASMSTART
	v_max3_f32 v20, v18, v19, v20

	;;#ASMEND
	s_cbranch_scc0 .LBB28_10
; %bb.4:
	s_ashr_i32 s12, s14, 31
	s_lshr_b32 s2, s12, 28
	s_add_i32 s2, s14, s2
	s_ashr_i32 s10, s2, 4
	s_cmp_lt_i32 s10, 16
	s_cbranch_scc1 .LBB28_11
; %bb.5:
	s_cmp_lt_i32 s10, 32
	s_cbranch_scc1 .LBB28_12
; %bb.6:
	;; [unrolled: 3-line block ×3, first 2 shown]
	s_cmp_eq_u32 s10, 64
	v_mov_b32_e32 v18, v20
	s_cbranch_scc0 .LBB28_9
; %bb.8:
	s_nop 0
	v_mov_b32_dpp v18, v20 quad_perm:[1,0,3,2] row_mask:0xf bank_mask:0xf
	v_cmp_gt_f32_e32 vcc, v20, v18
	v_cndmask_b32_e32 v18, v18, v20, vcc
	v_bfrev_b32_e32 v21, 0.5
	s_nop 0
	v_mov_b32_dpp v19, v18 quad_perm:[2,3,0,1] row_mask:0xf bank_mask:0xf
	v_cmp_gt_f32_e32 vcc, v18, v19
	v_cndmask_b32_e32 v18, v19, v18, vcc
	s_nop 1
	v_mov_b32_dpp v19, v18 row_ror:4 row_mask:0xf bank_mask:0xf
	v_cmp_gt_f32_e32 vcc, v18, v19
	v_cndmask_b32_e32 v18, v19, v18, vcc
	s_nop 1
	v_mov_b32_dpp v19, v18 row_ror:8 row_mask:0xf bank_mask:0xf
	v_cmp_gt_f32_e32 vcc, v18, v19
	v_cndmask_b32_e32 v18, v19, v18, vcc
	s_nop 1
	v_mov_b32_dpp v19, v18 row_bcast:15 row_mask:0xf bank_mask:0xf
	v_cmp_gt_f32_e32 vcc, v18, v19
	v_cndmask_b32_e32 v18, v19, v18, vcc
	s_nop 1
	v_mov_b32_dpp v19, v18 row_bcast:31 row_mask:0xf bank_mask:0xf
	v_cmp_gt_f32_e32 vcc, v18, v19
	v_cndmask_b32_e32 v18, v19, v18, vcc
	v_mbcnt_lo_u32_b32 v19, -1, 0
	v_mbcnt_hi_u32_b32 v19, -1, v19
	v_lshl_or_b32 v19, v19, 2, v21
	ds_bpermute_b32 v18, v19, v18
.LBB28_9:
	s_mov_b64 s[2:3], 0
	s_branch .LBB28_14
.LBB28_10:
	s_mov_b64 s[2:3], 0
                                        ; implicit-def: $vgpr21
                                        ; implicit-def: $vgpr18_vgpr19
	s_cbranch_execnz .LBB28_43
	s_branch .LBB28_46
.LBB28_11:
                                        ; implicit-def: $vgpr18
	s_branch .LBB28_21
.LBB28_12:
                                        ; implicit-def: $vgpr18
	s_branch .LBB28_18
.LBB28_13:
	s_mov_b64 s[2:3], -1
                                        ; implicit-def: $vgpr18
.LBB28_14:
	s_andn2_b64 vcc, exec, s[2:3]
	s_cbranch_vccnz .LBB28_17
; %bb.15:
	s_cmp_eq_u32 s10, 32
	s_waitcnt lgkmcnt(0)
	v_mov_b32_e32 v18, v20
	s_cbranch_scc0 .LBB28_17
; %bb.16:
	s_nop 0
	v_mov_b32_dpp v18, v20 quad_perm:[1,0,3,2] row_mask:0xf bank_mask:0xf
	v_cmp_gt_f32_e32 vcc, v20, v18
	v_cndmask_b32_e32 v18, v18, v20, vcc
	v_mov_b32_e32 v21, 0x7c
	s_nop 0
	v_mov_b32_dpp v19, v18 quad_perm:[2,3,0,1] row_mask:0xf bank_mask:0xf
	v_cmp_gt_f32_e32 vcc, v18, v19
	v_cndmask_b32_e32 v18, v19, v18, vcc
	s_nop 1
	v_mov_b32_dpp v19, v18 row_half_mirror row_mask:0xf bank_mask:0xf
	v_cmp_gt_f32_e32 vcc, v18, v19
	v_cndmask_b32_e32 v18, v19, v18, vcc
	s_nop 1
	v_mov_b32_dpp v19, v18 row_mirror row_mask:0xf bank_mask:0xf
	v_cmp_gt_f32_e32 vcc, v18, v19
	v_cndmask_b32_e32 v18, v19, v18, vcc
	s_nop 1
	v_mov_b32_dpp v19, v18 row_bcast:15 row_mask:0xa bank_mask:0xf
	v_cmp_gt_f32_e32 vcc, v18, v19
	v_cndmask_b32_e32 v18, v19, v18, vcc
	v_mbcnt_lo_u32_b32 v19, -1, 0
	v_mbcnt_hi_u32_b32 v19, -1, v19
	v_lshl_or_b32 v19, v19, 2, v21
	ds_bpermute_b32 v18, v19, v18
.LBB28_17:
	s_cbranch_execnz .LBB28_20
.LBB28_18:
	s_cmp_eq_u32 s10, 16
	s_waitcnt lgkmcnt(0)
	v_mov_b32_e32 v18, v20
	s_cbranch_scc0 .LBB28_20
; %bb.19:
	s_nop 0
	v_mov_b32_dpp v18, v20 quad_perm:[1,0,3,2] row_mask:0xf bank_mask:0xf
	v_cmp_gt_f32_e32 vcc, v20, v18
	v_cndmask_b32_e32 v18, v18, v20, vcc
	s_nop 1
	v_mov_b32_dpp v19, v18 quad_perm:[2,3,0,1] row_mask:0xf bank_mask:0xf
	v_cmp_gt_f32_e32 vcc, v18, v19
	v_cndmask_b32_e32 v18, v19, v18, vcc
	s_nop 1
	v_mov_b32_dpp v19, v18 row_half_mirror row_mask:0xf bank_mask:0xf
	v_cmp_gt_f32_e32 vcc, v18, v19
	v_cndmask_b32_e32 v18, v19, v18, vcc
	s_nop 1
	v_mov_b32_dpp v19, v18 row_mirror row_mask:0xf bank_mask:0xf
	v_cmp_gt_f32_e32 vcc, v18, v19
	v_cndmask_b32_e32 v18, v19, v18, vcc
.LBB28_20:
	s_cbranch_execnz .LBB28_33
.LBB28_21:
	s_cmp_lt_i32 s10, 4
	s_cbranch_scc1 .LBB28_25
; %bb.22:
	s_cmp_lt_i32 s10, 8
	s_cbranch_scc1 .LBB28_26
; %bb.23:
	s_cmp_eq_u32 s10, 8
	s_waitcnt lgkmcnt(0)
	v_mov_b32_e32 v18, v20
	s_cbranch_scc0 .LBB28_27
; %bb.24:
	s_nop 0
	v_mov_b32_dpp v18, v20 quad_perm:[1,0,3,2] row_mask:0xf bank_mask:0xf
	v_cmp_gt_f32_e32 vcc, v20, v18
	v_cndmask_b32_e32 v18, v18, v20, vcc
	s_nop 1
	v_mov_b32_dpp v19, v18 quad_perm:[2,3,0,1] row_mask:0xf bank_mask:0xf
	v_cmp_gt_f32_e32 vcc, v18, v19
	v_cndmask_b32_e32 v18, v19, v18, vcc
	s_nop 1
	v_mov_b32_dpp v19, v18 row_half_mirror row_mask:0xf bank_mask:0xf
	v_cmp_gt_f32_e32 vcc, v18, v19
	v_cndmask_b32_e32 v18, v19, v18, vcc
	s_cbranch_execz .LBB28_28
	s_branch .LBB28_30
.LBB28_25:
                                        ; implicit-def: $vgpr18
	s_branch .LBB28_31
.LBB28_26:
                                        ; implicit-def: $vgpr18
	s_branch .LBB28_28
.LBB28_27:
	s_cbranch_execnz .LBB28_30
.LBB28_28:
	s_cmp_eq_u32 s10, 4
	s_waitcnt lgkmcnt(0)
	v_mov_b32_e32 v18, v20
	s_cbranch_scc0 .LBB28_30
; %bb.29:
	s_nop 0
	v_mov_b32_dpp v18, v20 quad_perm:[1,0,3,2] row_mask:0xf bank_mask:0xf
	v_cmp_gt_f32_e32 vcc, v20, v18
	v_cndmask_b32_e32 v18, v18, v20, vcc
	s_nop 1
	v_mov_b32_dpp v19, v18 quad_perm:[2,3,0,1] row_mask:0xf bank_mask:0xf
	v_cmp_gt_f32_e32 vcc, v18, v19
	v_cndmask_b32_e32 v18, v19, v18, vcc
.LBB28_30:
	s_cbranch_execnz .LBB28_33
.LBB28_31:
	s_cmp_lg_u32 s10, 2
	s_waitcnt lgkmcnt(0)
	v_mov_b32_e32 v18, v20
	s_cbranch_scc1 .LBB28_33
; %bb.32:
	s_nop 0
	v_mov_b32_dpp v18, v20 quad_perm:[1,0,3,2] row_mask:0xf bank_mask:0xf
	v_cmp_gt_f32_e32 vcc, v20, v18
	v_cndmask_b32_e32 v18, v18, v20, vcc
.LBB28_33:
	v_cvt_f32_u32_e32 v19, s10
	s_waitcnt lgkmcnt(0)
	v_mul_f32_e32 v21, 0x3b124925, v18
	s_sub_i32 s2, 0, s10
	v_cmp_gt_u32_e32 vcc, s9, v1
	v_rcp_iflag_f32_e32 v19, v19
	s_mov_b64 s[4:5], 0
	v_mul_f32_e32 v18, 0x4f7ffffe, v19
	v_cvt_u32_f32_e32 v18, v18
	v_mul_lo_u32 v19, s2, v18
	v_mul_hi_u32 v19, v18, v19
	v_add_u32_e32 v18, v18, v19
	v_mul_hi_u32 v18, v0, v18
	v_mul_lo_u32 v19, v18, s10
	v_sub_u32_e32 v19, v0, v19
	v_add_u32_e32 v22, 1, v18
	v_cmp_le_u32_e64 s[2:3], s10, v19
	v_cndmask_b32_e64 v18, v18, v22, s[2:3]
	v_subrev_u32_e32 v22, s10, v19
	v_cndmask_b32_e64 v19, v19, v22, s[2:3]
	v_add_u32_e32 v22, 1, v18
	v_cmp_le_u32_e64 s[2:3], s10, v19
	v_cndmask_b32_e64 v22, v18, v22, s[2:3]
	v_mul_lo_u32 v18, v22, s10
	v_sub_u32_e32 v18, v0, v18
	v_cmp_eq_u32_e64 s[2:3], 0, v18
	s_and_b64 s[10:11], s[2:3], vcc
	s_mov_b64 s[2:3], 0
                                        ; implicit-def: $vgpr18_vgpr19
	s_and_saveexec_b64 s[18:19], s[10:11]
	s_xor_b64 s[10:11], exec, s[18:19]
	s_cbranch_execz .LBB28_42
; %bb.34:
	s_bitcmp0_b32 s15, 0
	s_cbranch_scc0 .LBB28_39
; %bb.35:
	s_ashr_i32 s2, s9, 31
	s_mul_hi_u32 s3, s9, s6
	s_mul_i32 s2, s2, s6
	s_add_i32 s19, s3, s2
	s_mul_i32 s18, s9, s6
	s_mov_b32 s15, s12
	s_or_b64 s[2:3], s[18:19], s[14:15]
	s_mov_b32 s2, 0
	s_cmp_lg_u64 s[2:3], 0
	s_cbranch_scc0 .LBB28_50
; %bb.36:
	s_add_u32 s2, s14, s15
	s_mov_b32 s24, s15
	s_mov_b32 s25, s15
	s_addc_u32 s3, s15, s15
	s_xor_b64 s[26:27], s[2:3], s[24:25]
	v_cvt_f32_u32_e32 v18, s26
	v_cvt_f32_u32_e32 v19, s27
	s_sub_u32 s2, 0, s26
	s_subb_u32 s3, 0, s27
	v_madmk_f32 v18, v19, 0x4f800000, v18
	v_rcp_f32_e32 v18, v18
	v_mul_f32_e32 v18, 0x5f7ffffc, v18
	v_mul_f32_e32 v19, 0x2f800000, v18
	v_trunc_f32_e32 v19, v19
	v_madmk_f32 v18, v19, 0xcf800000, v18
	v_cvt_u32_f32_e32 v19, v19
	v_cvt_u32_f32_e32 v18, v18
	v_readfirstlane_b32 s12, v19
	v_readfirstlane_b32 s15, v18
	s_mul_i32 s28, s2, s12
	s_mul_hi_u32 s30, s2, s15
	s_mul_i32 s29, s3, s15
	s_add_i32 s28, s30, s28
	s_add_i32 s28, s28, s29
	s_mul_i32 s31, s2, s15
	s_mul_hi_u32 s29, s15, s28
	s_mul_i32 s30, s15, s28
	s_mul_hi_u32 s15, s15, s31
	s_add_u32 s15, s15, s30
	s_addc_u32 s29, 0, s29
	s_mul_hi_u32 s33, s12, s31
	s_mul_i32 s31, s12, s31
	s_add_u32 s15, s15, s31
	s_mul_hi_u32 s30, s12, s28
	s_addc_u32 s15, s29, s33
	s_addc_u32 s29, s30, 0
	s_mul_i32 s28, s12, s28
	s_add_u32 s15, s15, s28
	s_addc_u32 s28, 0, s29
	v_add_co_u32_e32 v18, vcc, s15, v18
	s_cmp_lg_u64 vcc, 0
	s_addc_u32 s12, s12, s28
	v_readfirstlane_b32 s28, v18
	s_mul_i32 s15, s2, s12
	s_mul_hi_u32 s29, s2, s28
	s_add_i32 s15, s29, s15
	s_mul_i32 s3, s3, s28
	s_add_i32 s15, s15, s3
	s_mul_i32 s2, s2, s28
	s_mul_hi_u32 s29, s12, s2
	s_mul_i32 s30, s12, s2
	s_mul_i32 s33, s28, s15
	s_mul_hi_u32 s2, s28, s2
	s_mul_hi_u32 s31, s28, s15
	s_add_u32 s2, s2, s33
	s_addc_u32 s28, 0, s31
	s_add_u32 s2, s2, s30
	s_mul_hi_u32 s3, s12, s15
	s_addc_u32 s2, s28, s29
	s_addc_u32 s3, s3, 0
	s_mul_i32 s15, s12, s15
	s_add_u32 s2, s2, s15
	s_addc_u32 s3, 0, s3
	v_add_co_u32_e32 v18, vcc, s2, v18
	s_cmp_lg_u64 vcc, 0
	s_addc_u32 s12, s12, s3
	s_ashr_i32 s28, s19, 31
	s_add_u32 s2, s18, s28
	s_mov_b32 s29, s28
	s_addc_u32 s3, s19, s28
	s_xor_b64 s[30:31], s[2:3], s[28:29]
	v_readfirstlane_b32 s15, v18
	s_mul_i32 s3, s30, s12
	s_mul_hi_u32 s19, s30, s15
	s_mul_hi_u32 s2, s30, s12
	s_add_u32 s3, s19, s3
	s_addc_u32 s2, 0, s2
	s_mul_hi_u32 s33, s31, s15
	s_mul_i32 s15, s31, s15
	s_add_u32 s3, s3, s15
	s_mul_hi_u32 s19, s31, s12
	s_addc_u32 s2, s2, s33
	s_addc_u32 s3, s19, 0
	s_mul_i32 s12, s31, s12
	s_add_u32 s12, s2, s12
	s_addc_u32 s15, 0, s3
	s_mul_i32 s2, s26, s15
	s_mul_hi_u32 s3, s26, s12
	s_add_i32 s2, s3, s2
	s_mul_i32 s3, s27, s12
	s_add_i32 s19, s2, s3
	s_mul_i32 s3, s26, s12
	v_mov_b32_e32 v18, s3
	s_sub_i32 s2, s31, s19
	v_sub_co_u32_e32 v18, vcc, s30, v18
	s_cmp_lg_u64 vcc, 0
	s_subb_u32 s30, s2, s27
	v_subrev_co_u32_e64 v19, s[2:3], s26, v18
	s_cmp_lg_u64 s[2:3], 0
	s_subb_u32 s30, s30, 0
	s_cmp_ge_u32 s30, s27
	s_cselect_b32 s33, -1, 0
	v_cmp_le_u32_e64 s[2:3], s26, v19
	s_cmp_eq_u32 s30, s27
	v_cndmask_b32_e64 v19, 0, -1, s[2:3]
	v_mov_b32_e32 v23, s33
	s_cselect_b64 s[2:3], -1, 0
	v_cndmask_b32_e64 v19, v23, v19, s[2:3]
	s_add_u32 s2, s12, 1
	s_addc_u32 s30, s15, 0
	s_add_u32 s3, s12, 2
	s_addc_u32 s33, s15, 0
	v_mov_b32_e32 v23, s2
	v_mov_b32_e32 v24, s3
	v_cmp_ne_u32_e64 s[2:3], 0, v19
	v_cndmask_b32_e64 v19, v23, v24, s[2:3]
	v_mov_b32_e32 v23, s30
	v_mov_b32_e32 v24, s33
	s_cmp_lg_u64 vcc, 0
	v_cndmask_b32_e64 v23, v23, v24, s[2:3]
	s_subb_u32 s2, s31, s19
	s_cmp_ge_u32 s2, s27
	s_cselect_b32 s3, -1, 0
	v_cmp_le_u32_e32 vcc, s26, v18
	s_cmp_eq_u32 s2, s27
	v_cndmask_b32_e64 v18, 0, -1, vcc
	v_mov_b32_e32 v24, s3
	s_cselect_b64 vcc, -1, 0
	v_cndmask_b32_e32 v18, v24, v18, vcc
	v_mov_b32_e32 v24, s15
	v_cmp_ne_u32_e32 vcc, 0, v18
	v_cndmask_b32_e32 v18, v24, v23, vcc
	v_mov_b32_e32 v23, s12
	v_cndmask_b32_e32 v19, v23, v19, vcc
	s_xor_b64 s[2:3], s[28:29], s[24:25]
	v_xor_b32_e32 v19, s2, v19
	v_xor_b32_e32 v23, s3, v18
	v_mov_b32_e32 v24, s3
	v_subrev_co_u32_e32 v18, vcc, s2, v19
	v_subb_co_u32_e32 v19, vcc, v23, v24, vcc
	s_cbranch_execnz .LBB28_38
.LBB28_37:
	v_cvt_f32_u32_e32 v18, s14
	s_sub_i32 s2, 0, s14
	s_mov_b32 s3, 0
	v_rcp_iflag_f32_e32 v18, v18
	v_mul_f32_e32 v18, 0x4f7ffffe, v18
	v_cvt_u32_f32_e32 v18, v18
	v_readfirstlane_b32 s12, v18
	s_mul_i32 s2, s2, s12
	s_mul_hi_u32 s2, s12, s2
	s_add_i32 s12, s12, s2
	s_mul_hi_u32 s2, s18, s12
	s_mul_i32 s15, s2, s14
	s_sub_i32 s15, s18, s15
	s_add_i32 s12, s2, 1
	s_sub_i32 s18, s15, s14
	s_cmp_ge_u32 s15, s14
	s_cselect_b32 s2, s12, s2
	s_cselect_b32 s15, s18, s15
	s_add_i32 s12, s2, 1
	s_cmp_ge_u32 s15, s14
	s_cselect_b32 s2, s12, s2
	v_pk_mov_b32 v[18:19], s[2:3], s[2:3] op_sel:[0,1]
.LBB28_38:
	v_add_co_u32_e32 v18, vcc, v18, v22
	v_addc_co_u32_e32 v19, vcc, 0, v19, vcc
	s_branch .LBB28_41
.LBB28_39:
                                        ; implicit-def: $vgpr18_vgpr19
	s_cbranch_execz .LBB28_41
; %bb.40:
	v_mul_lo_u32 v18, v22, s8
	v_ashrrev_i32_e32 v19, 31, v18
	v_mov_b32_e32 v22, s7
	v_add_co_u32_e32 v18, vcc, s6, v18
	v_addc_co_u32_e32 v19, vcc, v19, v22, vcc
.LBB28_41:
	s_mov_b64 s[2:3], exec
.LBB28_42:
	s_or_b64 exec, exec, s[10:11]
	s_and_b64 vcc, exec, s[4:5]
	s_cbranch_vccz .LBB28_46
.LBB28_43:
	v_mov_b32_dpp v18, v20 quad_perm:[1,0,3,2] row_mask:0xf bank_mask:0xf
	v_cmp_gt_f32_e32 vcc, v20, v18
	v_cndmask_b32_e32 v18, v18, v20, vcc
	s_nop 1
	v_mov_b32_dpp v19, v18 quad_perm:[2,3,0,1] row_mask:0xf bank_mask:0xf
	v_cmp_gt_f32_e32 vcc, v18, v19
	v_cndmask_b32_e32 v18, v19, v18, vcc
	s_nop 1
	v_mov_b32_dpp v19, v18 row_half_mirror row_mask:0xf bank_mask:0xf
	v_cmp_gt_f32_e32 vcc, v18, v19
	v_cndmask_b32_e32 v18, v19, v18, vcc
	s_nop 1
	v_mov_b32_dpp v19, v18 row_mirror row_mask:0xf bank_mask:0xf
	v_cmp_gt_f32_e32 vcc, v18, v19
	v_cndmask_b32_e32 v18, v19, v18, vcc
	s_nop 1
	v_mov_b32_dpp v19, v18 row_bcast:15 row_mask:0xf bank_mask:0xf
	v_cmp_gt_f32_e32 vcc, v18, v19
	v_cndmask_b32_e32 v18, v19, v18, vcc
	s_nop 1
	v_mov_b32_dpp v19, v18 row_bcast:31 row_mask:0xf bank_mask:0xf
	s_and_saveexec_b64 s[2:3], s[0:1]
	s_cbranch_execz .LBB28_45
; %bb.44:
	v_lshrrev_b32_e32 v20, 4, v0
	v_cmp_gt_f32_e32 vcc, v18, v19
	v_and_b32_e32 v20, 60, v20
	v_cndmask_b32_e32 v18, v19, v18, vcc
	ds_write_b32 v20, v18
.LBB28_45:
	s_or_b64 exec, exec, s[2:3]
	s_waitcnt lgkmcnt(0)
	s_barrier
	ds_read_b32 v18, v26
	v_cmp_eq_u32_e64 s[2:3], 0, v0
	s_waitcnt lgkmcnt(0)
	v_mov_b32_dpp v19, v18 quad_perm:[1,0,3,2] row_mask:0xf bank_mask:0xf
	v_cmp_gt_f32_e32 vcc, v18, v19
	v_cndmask_b32_e32 v18, v19, v18, vcc
	s_nop 1
	v_mov_b32_dpp v19, v18 quad_perm:[2,3,0,1] row_mask:0xf bank_mask:0xf
	v_cmp_gt_f32_e32 vcc, v18, v19
	v_cndmask_b32_e32 v18, v19, v18, vcc
	s_nop 1
	v_mov_b32_dpp v19, v18 row_half_mirror row_mask:0xf bank_mask:0xf
	v_cmp_gt_f32_e32 vcc, v18, v19
	v_cndmask_b32_e32 v18, v19, v18, vcc
	v_mul_f32_e32 v21, 0x3b124925, v18
	v_pk_mov_b32 v[18:19], s[6:7], s[6:7] op_sel:[0,1]
.LBB28_46:
	s_and_saveexec_b64 s[0:1], s[2:3]
	s_cbranch_execz .LBB28_48
; %bb.47:
	v_lshlrev_b64 v[18:19], 2, v[18:19]
	v_mov_b32_e32 v0, s21
	v_add_co_u32_e32 v18, vcc, s20, v18
	v_addc_co_u32_e32 v19, vcc, v0, v19, vcc
	global_store_dword v[18:19], v21, off
.LBB28_48:
	s_or_b64 exec, exec, s[0:1]
	;;#ASMSTART
	v_rcp_f32 v18, v21
	;;#ASMEND
	v_mov_b32_e32 v19, v18
	;;#ASMSTART
	v_pk_mul_f32 v[16:17], v[16:17], v[18:19]
	;;#ASMEND
	s_add_i32 s0, s9, 3
	v_mov_b32_e32 v0, 0xc3e00000
	v_mov_b32_e32 v20, 0x43e00000
	;;#ASMSTART
	v_med3_f32 v16, v16, v0, v20
v_med3_f32 v17, v17, v0, v20
v_cvt_pk_fp8_f32 v21, v16, v17
	;;#ASMEND
	;;#ASMSTART
	v_pk_mul_f32 v[14:15], v[14:15], v[18:19]
	;;#ASMEND
	s_ashr_i32 s1, s0, 31
	;;#ASMSTART
	v_med3_f32 v14, v14, v0, v20
v_med3_f32 v15, v15, v0, v20
v_cvt_pk_fp8_f32 v16, v14, v15
	;;#ASMEND
	;;#ASMSTART
	v_pk_mul_f32 v[10:11], v[10:11], v[18:19]
	;;#ASMEND
	s_lshr_b32 s1, s1, 30
	s_mov_b32 s4, 0x5040100
	;;#ASMSTART
	v_med3_f32 v10, v10, v0, v20
v_med3_f32 v11, v11, v0, v20
v_cvt_pk_fp8_f32 v15, v10, v11
	;;#ASMEND
	;;#ASMSTART
	v_pk_mul_f32 v[6:7], v[6:7], v[18:19]
	;;#ASMEND
	s_add_i32 s0, s0, s1
	v_perm_b32 v14, v16, v21, s4
	s_mov_b32 s4, 0x1060504
	;;#ASMSTART
	v_med3_f32 v6, v6, v0, v20
v_med3_f32 v7, v7, v0, v20
v_cvt_pk_fp8_f32 v10, v6, v7
	;;#ASMEND
	s_and_b32 s2, s0, -4
	s_ashr_i32 s0, s13, 31
	v_perm_b32 v14, v14, v16, s4
	s_mov_b32 s4, 0x1000504
	;;#ASMSTART
	v_pk_mul_f32 v[6:7], v[12:13], v[18:19]
	;;#ASMEND
	s_mul_hi_u32 s1, s13, s6
	s_mul_i32 s0, s0, s6
	v_perm_b32 v15, v15, v10, s4
	;;#ASMSTART
	v_med3_f32 v6, v6, v0, v20
v_med3_f32 v7, v7, v0, v20
v_cvt_pk_fp8_f32 v10, v6, v7
	;;#ASMEND
	s_add_i32 s1, s1, s0
	s_mul_i32 s0, s13, s6
	;;#ASMSTART
	v_pk_mul_f32 v[6:7], v[8:9], v[18:19]
	;;#ASMEND
	s_add_u32 s0, s16, s0
	;;#ASMSTART
	v_med3_f32 v6, v6, v0, v20
v_med3_f32 v7, v7, v0, v20
v_cvt_pk_fp8_f32 v8, v6, v7
	;;#ASMEND
	;;#ASMSTART
	v_pk_mul_f32 v[4:5], v[4:5], v[18:19]
	;;#ASMEND
	s_addc_u32 s1, s17, s1
	;;#ASMSTART
	v_med3_f32 v4, v4, v0, v20
v_med3_f32 v5, v5, v0, v20
v_cvt_pk_fp8_f32 v6, v4, v5
	;;#ASMEND
	;;#ASMSTART
	v_pk_mul_f32 v[2:3], v[2:3], v[18:19]
	;;#ASMEND
	s_and_b32 s1, s1, 0xffff
	s_mov_b32 s3, 0x20000
	v_perm_b32 v16, v10, v8, s4
	;;#ASMSTART
	v_med3_f32 v2, v2, v0, v20
v_med3_f32 v3, v3, v0, v20
v_cvt_pk_fp8_f32 v0, v2, v3
	;;#ASMEND
	v_perm_b32 v17, v6, v0, s4
	buffer_store_dwordx4 v[14:17], v1, s[0:3], 0 offen
	;;#ASMSTART
	s_nop 0
	;;#ASMEND
.LBB28_49:
	s_endpgm
.LBB28_50:
                                        ; implicit-def: $vgpr18_vgpr19
	s_branch .LBB28_37
	.section	.rodata,"a",@progbits
	.p2align	6, 0x0
	.amdhsa_kernel _ZN5aiter24add_rmsnorm_quant_kernelItDB8_Li512ELi16ELb1ELb1ELb0ELi1EEEvPT0_PT_PfS5_S5_S5_diiiiiiib
		.amdhsa_group_segment_fixed_size 64
		.amdhsa_private_segment_fixed_size 0
		.amdhsa_kernarg_size 88
		.amdhsa_user_sgpr_count 6
		.amdhsa_user_sgpr_private_segment_buffer 1
		.amdhsa_user_sgpr_dispatch_ptr 0
		.amdhsa_user_sgpr_queue_ptr 0
		.amdhsa_user_sgpr_kernarg_segment_ptr 1
		.amdhsa_user_sgpr_dispatch_id 0
		.amdhsa_user_sgpr_flat_scratch_init 0
		.amdhsa_user_sgpr_kernarg_preload_length 0
		.amdhsa_user_sgpr_kernarg_preload_offset 0
		.amdhsa_user_sgpr_private_segment_size 0
		.amdhsa_uses_dynamic_stack 0
		.amdhsa_system_sgpr_private_segment_wavefront_offset 0
		.amdhsa_system_sgpr_workgroup_id_x 1
		.amdhsa_system_sgpr_workgroup_id_y 0
		.amdhsa_system_sgpr_workgroup_id_z 0
		.amdhsa_system_sgpr_workgroup_info 0
		.amdhsa_system_vgpr_workitem_id 0
		.amdhsa_next_free_vgpr 46
		.amdhsa_next_free_sgpr 40
		.amdhsa_accum_offset 48
		.amdhsa_reserve_vcc 1
		.amdhsa_reserve_flat_scratch 0
		.amdhsa_float_round_mode_32 0
		.amdhsa_float_round_mode_16_64 0
		.amdhsa_float_denorm_mode_32 3
		.amdhsa_float_denorm_mode_16_64 3
		.amdhsa_dx10_clamp 1
		.amdhsa_ieee_mode 1
		.amdhsa_fp16_overflow 0
		.amdhsa_tg_split 0
		.amdhsa_exception_fp_ieee_invalid_op 0
		.amdhsa_exception_fp_denorm_src 0
		.amdhsa_exception_fp_ieee_div_zero 0
		.amdhsa_exception_fp_ieee_overflow 0
		.amdhsa_exception_fp_ieee_underflow 0
		.amdhsa_exception_fp_ieee_inexact 0
		.amdhsa_exception_int_div_zero 0
	.end_amdhsa_kernel
	.section	.text._ZN5aiter24add_rmsnorm_quant_kernelItDB8_Li512ELi16ELb1ELb1ELb0ELi1EEEvPT0_PT_PfS5_S5_S5_diiiiiiib,"axG",@progbits,_ZN5aiter24add_rmsnorm_quant_kernelItDB8_Li512ELi16ELb1ELb1ELb0ELi1EEEvPT0_PT_PfS5_S5_S5_diiiiiiib,comdat
.Lfunc_end28:
	.size	_ZN5aiter24add_rmsnorm_quant_kernelItDB8_Li512ELi16ELb1ELb1ELb0ELi1EEEvPT0_PT_PfS5_S5_S5_diiiiiiib, .Lfunc_end28-_ZN5aiter24add_rmsnorm_quant_kernelItDB8_Li512ELi16ELb1ELb1ELb0ELi1EEEvPT0_PT_PfS5_S5_S5_diiiiiiib
                                        ; -- End function
	.section	.AMDGPU.csdata,"",@progbits
; Kernel info:
; codeLenInByte = 4092
; NumSgprs: 44
; NumVgprs: 46
; NumAgprs: 0
; TotalNumVgprs: 46
; ScratchSize: 0
; MemoryBound: 0
; FloatMode: 240
; IeeeMode: 1
; LDSByteSize: 64 bytes/workgroup (compile time only)
; SGPRBlocks: 5
; VGPRBlocks: 5
; NumSGPRsForWavesPerEU: 44
; NumVGPRsForWavesPerEU: 46
; AccumOffset: 48
; Occupancy: 8
; WaveLimiterHint : 0
; COMPUTE_PGM_RSRC2:SCRATCH_EN: 0
; COMPUTE_PGM_RSRC2:USER_SGPR: 6
; COMPUTE_PGM_RSRC2:TRAP_HANDLER: 0
; COMPUTE_PGM_RSRC2:TGID_X_EN: 1
; COMPUTE_PGM_RSRC2:TGID_Y_EN: 0
; COMPUTE_PGM_RSRC2:TGID_Z_EN: 0
; COMPUTE_PGM_RSRC2:TIDIG_COMP_CNT: 0
; COMPUTE_PGM_RSRC3_GFX90A:ACCUM_OFFSET: 11
; COMPUTE_PGM_RSRC3_GFX90A:TG_SPLIT: 0
	.section	.text._ZN5aiter24add_rmsnorm_quant_kernelIDF16_DB8_Li1024ELi8ELb1ELb1ELb1ELi1EEEvPT0_PT_PfS5_S5_S5_diiiiiiib,"axG",@progbits,_ZN5aiter24add_rmsnorm_quant_kernelIDF16_DB8_Li1024ELi8ELb1ELb1ELb1ELi1EEEvPT0_PT_PfS5_S5_S5_diiiiiiib,comdat
	.protected	_ZN5aiter24add_rmsnorm_quant_kernelIDF16_DB8_Li1024ELi8ELb1ELb1ELb1ELi1EEEvPT0_PT_PfS5_S5_S5_diiiiiiib ; -- Begin function _ZN5aiter24add_rmsnorm_quant_kernelIDF16_DB8_Li1024ELi8ELb1ELb1ELb1ELi1EEEvPT0_PT_PfS5_S5_S5_diiiiiiib
	.globl	_ZN5aiter24add_rmsnorm_quant_kernelIDF16_DB8_Li1024ELi8ELb1ELb1ELb1ELi1EEEvPT0_PT_PfS5_S5_S5_diiiiiiib
	.p2align	8
	.type	_ZN5aiter24add_rmsnorm_quant_kernelIDF16_DB8_Li1024ELi8ELb1ELb1ELb1ELi1EEEvPT0_PT_PfS5_S5_S5_diiiiiiib,@function
_ZN5aiter24add_rmsnorm_quant_kernelIDF16_DB8_Li1024ELi8ELb1ELb1ELb1ELi1EEEvPT0_PT_PfS5_S5_S5_diiiiiiib: ; @_ZN5aiter24add_rmsnorm_quant_kernelIDF16_DB8_Li1024ELi8ELb1ELb1ELb1ELi1EEEvPT0_PT_PfS5_S5_S5_diiiiiiib
; %bb.0:
	s_load_dwordx8 s[8:15], s[4:5], 0x38
	s_mov_b32 s7, 0
	s_waitcnt lgkmcnt(0)
	s_ashr_i32 s0, s8, 31
	v_mov_b32_e32 v2, s8
	v_mov_b32_e32 v3, s0
	v_cmp_ge_i64_e32 vcc, s[6:7], v[2:3]
	s_cbranch_vccnz .LBB29_49
; %bb.1:
	s_load_dwordx8 s[16:23], s[4:5], 0x0
	s_load_dwordx8 s[24:31], s[4:5], 0x20
	s_ashr_i32 s0, s10, 31
	s_mul_hi_u32 s1, s10, s6
	s_mul_i32 s0, s0, s6
	s_add_i32 s1, s1, s0
	s_mul_i32 s0, s10, s6
	s_lshl_b64 s[0:1], s[0:1], 1
	s_waitcnt lgkmcnt(0)
	s_add_u32 s0, s22, s0
	s_addc_u32 s1, s23, s1
	s_add_i32 s2, s9, 1
	s_lshr_b32 s3, s2, 31
	s_add_i32 s2, s2, s3
	s_lshl_b32 s2, s2, 1
	s_and_b32 s2, s2, -4
	s_and_b32 s1, s1, 0xffff
	s_mov_b32 s3, 0x20000
	v_lshlrev_b32_e32 v1, 4, v0
	buffer_load_dwordx4 v[6:9], v1, s[0:3], 0 offen glc slc
	s_ashr_i32 s0, s11, 31
	s_mul_hi_u32 s1, s11, s6
	s_mul_i32 s0, s0, s6
	s_add_i32 s1, s1, s0
	s_mul_i32 s0, s11, s6
	s_and_b32 s37, s27, 0xffff
	s_lshl_b64 s[0:1], s[0:1], 1
	s_add_u32 s0, s24, s0
	s_addc_u32 s1, s25, s1
	s_and_b32 s1, s1, 0xffff
	buffer_load_dwordx4 v[10:13], v1, s[0:3], 0 offen glc slc
	s_mov_b32 s39, s3
	s_mov_b32 s36, s26
	;; [unrolled: 1-line block ×3, first 2 shown]
	buffer_load_dwordx4 v[2:5], v1, s[36:39], 0 offen
	s_ashr_i32 s4, s12, 31
	s_mul_hi_u32 s1, s12, s6
	s_mul_i32 s4, s4, s6
	s_mul_i32 s0, s12, s6
	s_add_i32 s1, s1, s4
	s_lshl_b64 s[0:1], s[0:1], 1
	s_add_u32 s0, s18, s0
	s_addc_u32 s1, s19, s1
	s_and_b32 s1, s1, 0xffff
	v_and_b32_e32 v24, 63, v0
	s_waitcnt vmcnt(2)
	v_cvt_f32_f16_e32 v14, v6
	v_cvt_f32_f16_sdwa v15, v6 dst_sel:DWORD dst_unused:UNUSED_PAD src0_sel:WORD_1
	v_cvt_f32_f16_e32 v6, v7
	v_cvt_f32_f16_sdwa v7, v7 dst_sel:DWORD dst_unused:UNUSED_PAD src0_sel:WORD_1
	;; [unrolled: 2-line block ×4, first 2 shown]
	s_waitcnt vmcnt(1)
	v_cvt_f32_f16_e32 v8, v10
	v_cvt_f32_f16_sdwa v9, v10 dst_sel:DWORD dst_unused:UNUSED_PAD src0_sel:WORD_1
	v_cvt_f32_f16_e32 v10, v11
	v_cvt_f32_f16_sdwa v11, v11 dst_sel:DWORD dst_unused:UNUSED_PAD src0_sel:WORD_1
	;; [unrolled: 2-line block ×4, first 2 shown]
	v_pk_add_f32 v[12:13], v[14:15], v[8:9]
	v_pk_add_f32 v[10:11], v[6:7], v[10:11]
	;; [unrolled: 1-line block ×4, first 2 shown]
	v_cvt_f16_f32_e32 v22, v13
	v_cvt_f16_f32_e32 v23, v12
	;; [unrolled: 1-line block ×8, first 2 shown]
	v_pk_mul_f32 v[14:15], v[12:13], v[12:13]
	v_pk_mul_f32 v[16:17], v[10:11], v[10:11]
	v_add_f32_e32 v14, v14, v15
	v_add_f32_e32 v14, v16, v14
	v_pk_mul_f32 v[18:19], v[8:9], v[8:9]
	v_add_f32_e32 v31, v17, v14
	v_pack_b32_f16 v17, v30, v29
	v_pack_b32_f16 v16, v28, v27
	;; [unrolled: 1-line block ×4, first 2 shown]
	v_add_f32_e32 v18, v18, v31
	v_pk_mul_f32 v[20:21], v[6:7], v[6:7]
	buffer_store_dwordx4 v[14:17], v1, s[0:3], 0 offen glc slc
	v_add_f32_e32 v1, v19, v18
	v_add_f32_e32 v1, v20, v1
	;; [unrolled: 1-line block ×3, first 2 shown]
	v_cmp_eq_u32_e64 s[0:1], 63, v24
	;;#ASMSTART
	s_nop 0
	;;#ASMEND
	s_nop 0
	v_mov_b32_dpp v14, v1 quad_perm:[1,0,3,2] row_mask:0xf bank_mask:0xf
	v_add_f32_e32 v1, v1, v14
	s_nop 1
	v_mov_b32_dpp v14, v1 quad_perm:[2,3,0,1] row_mask:0xf bank_mask:0xf
	v_add_f32_e32 v1, v1, v14
	s_nop 1
	v_mov_b32_dpp v14, v1 row_half_mirror row_mask:0xf bank_mask:0xf
	v_add_f32_e32 v1, v1, v14
	s_nop 1
	v_mov_b32_dpp v14, v1 row_mirror row_mask:0xf bank_mask:0xf
	v_add_f32_e32 v1, v1, v14
	s_nop 1
	v_mov_b32_dpp v14, v1 row_bcast:15 row_mask:0xf bank_mask:0xf
	v_add_f32_e32 v1, v1, v14
	s_nop 1
	v_mov_b32_dpp v14, v1 row_bcast:31 row_mask:0xf bank_mask:0xf
	s_and_saveexec_b64 s[2:3], s[0:1]
	s_cbranch_execz .LBB29_3
; %bb.2:
	v_lshrrev_b32_e32 v15, 4, v0
	v_and_b32_e32 v15, 60, v15
	v_add_f32_e32 v1, v1, v14
	ds_write_b32 v15, v1 offset:64
.LBB29_3:
	s_or_b64 exec, exec, s[2:3]
	v_and_b32_e32 v1, 15, v0
	v_lshlrev_b32_e32 v14, 2, v1
	s_waitcnt lgkmcnt(0)
	s_barrier
	ds_read_b32 v1, v14 offset:64
	v_cvt_f32_i32_e32 v15, s9
	s_waitcnt vmcnt(1)
	v_cvt_f32_f16_sdwa v21, v3 dst_sel:DWORD dst_unused:UNUSED_PAD src0_sel:WORD_1
	v_cvt_f32_f16_sdwa v23, v5 dst_sel:DWORD dst_unused:UNUSED_PAD src0_sel:WORD_1
	v_cvt_f32_f16_e32 v22, v5
	s_waitcnt lgkmcnt(0)
	v_mov_b32_dpp v16, v1 quad_perm:[1,0,3,2] row_mask:0xf bank_mask:0xf
	v_add_f32_e32 v1, v1, v16
	s_cmp_lg_u32 s14, 0
	s_nop 0
	v_mov_b32_dpp v16, v1 quad_perm:[2,3,0,1] row_mask:0xf bank_mask:0xf
	v_add_f32_e32 v1, v1, v16
	s_nop 1
	v_mov_b32_dpp v16, v1 row_half_mirror row_mask:0xf bank_mask:0xf
	v_add_f32_e32 v1, v1, v16
	s_nop 1
	v_mov_b32_dpp v16, v1 row_mirror row_mask:0xf bank_mask:0xf
	v_add_f32_e32 v1, v1, v16
	v_div_scale_f32 v16, s[2:3], v15, v15, v1
	v_rcp_f32_e32 v17, v16
	v_div_scale_f32 v18, vcc, v1, v15, v1
	s_mov_b32 s2, 0x800000
	v_fma_f32 v19, -v16, v17, 1.0
	v_fmac_f32_e32 v17, v19, v17
	v_mul_f32_e32 v19, v18, v17
	v_fma_f32 v20, -v16, v19, v18
	v_fmac_f32_e32 v19, v20, v17
	v_fma_f32 v16, -v16, v19, v18
	v_div_fmas_f32 v16, v16, v17, v19
	v_div_fixup_f32 v1, v16, v15, v1
	v_cvt_f64_f32_e32 v[16:17], v1
	v_add_f64 v[16:17], v[16:17], s[28:29]
	v_cvt_f32_f64_e32 v1, v[16:17]
	v_mul_f32_e32 v15, 0x4b800000, v1
	v_cmp_gt_f32_e32 vcc, s2, v1
	v_cndmask_b32_e32 v1, v1, v15, vcc
	v_rsq_f32_e32 v15, v1
	v_cvt_f32_f16_e32 v20, v3
	v_cvt_f32_f16_sdwa v3, v4 dst_sel:DWORD dst_unused:UNUSED_PAD src0_sel:WORD_1
	v_lshlrev_b32_e32 v1, 3, v0
	v_mul_f32_e32 v16, 0x45800000, v15
	v_cndmask_b32_e32 v16, v15, v16, vcc
	v_mov_b32_e32 v17, v16
	;;#ASMSTART
	v_pk_mul_f32 v[12:13], v[12:13], v[16:17]
	;;#ASMEND
	;;#ASMSTART
	v_pk_mul_f32 v[10:11], v[10:11], v[16:17]
	;;#ASMEND
	;; [unrolled: 3-line block ×4, first 2 shown]
	v_cvt_f32_f16_sdwa v7, v2 dst_sel:DWORD dst_unused:UNUSED_PAD src0_sel:WORD_1
	v_cvt_f32_f16_e32 v6, v2
	v_cvt_f32_f16_e32 v2, v4
	;;#ASMSTART
	v_pk_mul_f32 v[8:9], v[12:13], v[6:7]
	;;#ASMEND
	;;#ASMSTART
	v_pk_mul_f32 v[6:7], v[10:11], v[20:21]
	;;#ASMEND
	v_and_b32_e32 v10, 0x7fffffff, v8
	v_mov_b32_e32 v12, 0x2edbe6ff
	;;#ASMSTART
	v_pk_mul_f32 v[4:5], v[18:19], v[2:3]
	;;#ASMEND
	;;#ASMSTART
	v_pk_mul_f32 v[2:3], v[16:17], v[22:23]
	;;#ASMEND
	v_and_b32_e32 v11, 0x7fffffff, v9
	;;#ASMSTART
	v_max3_f32 v10, v12, v10, v11

	;;#ASMEND
	v_and_b32_e32 v12, 0x7fffffff, v7
	v_and_b32_e32 v11, 0x7fffffff, v6
	;;#ASMSTART
	v_max3_f32 v10, v10, v11, v12

	;;#ASMEND
	v_and_b32_e32 v12, 0x7fffffff, v5
	;; [unrolled: 6-line block ×3, first 2 shown]
	v_and_b32_e32 v11, 0x7fffffff, v2
	;;#ASMSTART
	v_max3_f32 v12, v10, v11, v12

	;;#ASMEND
	s_cbranch_scc0 .LBB29_10
; %bb.4:
	s_ashr_i32 s12, s14, 31
	s_lshr_b32 s2, s12, 29
	s_add_i32 s2, s14, s2
	s_ashr_i32 s10, s2, 3
	s_cmp_lt_i32 s10, 16
	s_cbranch_scc1 .LBB29_11
; %bb.5:
	s_cmp_lt_i32 s10, 32
	s_cbranch_scc1 .LBB29_12
; %bb.6:
	;; [unrolled: 3-line block ×3, first 2 shown]
	s_cmp_eq_u32 s10, 64
	v_mov_b32_e32 v10, v12
	s_cbranch_scc0 .LBB29_9
; %bb.8:
	s_nop 0
	v_mov_b32_dpp v10, v12 quad_perm:[1,0,3,2] row_mask:0xf bank_mask:0xf
	v_cmp_gt_f32_e32 vcc, v12, v10
	v_cndmask_b32_e32 v10, v10, v12, vcc
	v_bfrev_b32_e32 v13, 0.5
	s_nop 0
	v_mov_b32_dpp v11, v10 quad_perm:[2,3,0,1] row_mask:0xf bank_mask:0xf
	v_cmp_gt_f32_e32 vcc, v10, v11
	v_cndmask_b32_e32 v10, v11, v10, vcc
	s_nop 1
	v_mov_b32_dpp v11, v10 row_ror:4 row_mask:0xf bank_mask:0xf
	v_cmp_gt_f32_e32 vcc, v10, v11
	v_cndmask_b32_e32 v10, v11, v10, vcc
	s_nop 1
	v_mov_b32_dpp v11, v10 row_ror:8 row_mask:0xf bank_mask:0xf
	v_cmp_gt_f32_e32 vcc, v10, v11
	v_cndmask_b32_e32 v10, v11, v10, vcc
	s_nop 1
	v_mov_b32_dpp v11, v10 row_bcast:15 row_mask:0xf bank_mask:0xf
	v_cmp_gt_f32_e32 vcc, v10, v11
	v_cndmask_b32_e32 v10, v11, v10, vcc
	s_nop 1
	v_mov_b32_dpp v11, v10 row_bcast:31 row_mask:0xf bank_mask:0xf
	v_cmp_gt_f32_e32 vcc, v10, v11
	v_cndmask_b32_e32 v10, v11, v10, vcc
	v_mbcnt_lo_u32_b32 v11, -1, 0
	v_mbcnt_hi_u32_b32 v11, -1, v11
	v_lshl_or_b32 v11, v11, 2, v13
	ds_bpermute_b32 v10, v11, v10
.LBB29_9:
	s_mov_b64 s[2:3], 0
	s_branch .LBB29_14
.LBB29_10:
	s_mov_b64 s[2:3], 0
                                        ; implicit-def: $vgpr13
                                        ; implicit-def: $vgpr10_vgpr11
	s_cbranch_execnz .LBB29_43
	s_branch .LBB29_46
.LBB29_11:
                                        ; implicit-def: $vgpr10
	s_branch .LBB29_21
.LBB29_12:
                                        ; implicit-def: $vgpr10
	s_branch .LBB29_18
.LBB29_13:
	s_mov_b64 s[2:3], -1
                                        ; implicit-def: $vgpr10
.LBB29_14:
	s_andn2_b64 vcc, exec, s[2:3]
	s_cbranch_vccnz .LBB29_17
; %bb.15:
	s_cmp_eq_u32 s10, 32
	s_waitcnt lgkmcnt(0)
	v_mov_b32_e32 v10, v12
	s_cbranch_scc0 .LBB29_17
; %bb.16:
	s_nop 0
	v_mov_b32_dpp v10, v12 quad_perm:[1,0,3,2] row_mask:0xf bank_mask:0xf
	v_cmp_gt_f32_e32 vcc, v12, v10
	v_cndmask_b32_e32 v10, v10, v12, vcc
	v_mov_b32_e32 v13, 0x7c
	s_nop 0
	v_mov_b32_dpp v11, v10 quad_perm:[2,3,0,1] row_mask:0xf bank_mask:0xf
	v_cmp_gt_f32_e32 vcc, v10, v11
	v_cndmask_b32_e32 v10, v11, v10, vcc
	s_nop 1
	v_mov_b32_dpp v11, v10 row_half_mirror row_mask:0xf bank_mask:0xf
	v_cmp_gt_f32_e32 vcc, v10, v11
	v_cndmask_b32_e32 v10, v11, v10, vcc
	s_nop 1
	v_mov_b32_dpp v11, v10 row_mirror row_mask:0xf bank_mask:0xf
	v_cmp_gt_f32_e32 vcc, v10, v11
	v_cndmask_b32_e32 v10, v11, v10, vcc
	s_nop 1
	v_mov_b32_dpp v11, v10 row_bcast:15 row_mask:0xa bank_mask:0xf
	v_cmp_gt_f32_e32 vcc, v10, v11
	v_cndmask_b32_e32 v10, v11, v10, vcc
	v_mbcnt_lo_u32_b32 v11, -1, 0
	v_mbcnt_hi_u32_b32 v11, -1, v11
	v_lshl_or_b32 v11, v11, 2, v13
	ds_bpermute_b32 v10, v11, v10
.LBB29_17:
	s_cbranch_execnz .LBB29_20
.LBB29_18:
	s_cmp_eq_u32 s10, 16
	s_waitcnt lgkmcnt(0)
	v_mov_b32_e32 v10, v12
	s_cbranch_scc0 .LBB29_20
; %bb.19:
	s_nop 0
	v_mov_b32_dpp v10, v12 quad_perm:[1,0,3,2] row_mask:0xf bank_mask:0xf
	v_cmp_gt_f32_e32 vcc, v12, v10
	v_cndmask_b32_e32 v10, v10, v12, vcc
	s_nop 1
	v_mov_b32_dpp v11, v10 quad_perm:[2,3,0,1] row_mask:0xf bank_mask:0xf
	v_cmp_gt_f32_e32 vcc, v10, v11
	v_cndmask_b32_e32 v10, v11, v10, vcc
	s_nop 1
	v_mov_b32_dpp v11, v10 row_half_mirror row_mask:0xf bank_mask:0xf
	v_cmp_gt_f32_e32 vcc, v10, v11
	v_cndmask_b32_e32 v10, v11, v10, vcc
	s_nop 1
	v_mov_b32_dpp v11, v10 row_mirror row_mask:0xf bank_mask:0xf
	v_cmp_gt_f32_e32 vcc, v10, v11
	v_cndmask_b32_e32 v10, v11, v10, vcc
.LBB29_20:
	s_cbranch_execnz .LBB29_33
.LBB29_21:
	s_cmp_lt_i32 s10, 4
	s_cbranch_scc1 .LBB29_25
; %bb.22:
	s_cmp_lt_i32 s10, 8
	s_cbranch_scc1 .LBB29_26
; %bb.23:
	s_cmp_eq_u32 s10, 8
	s_waitcnt lgkmcnt(0)
	v_mov_b32_e32 v10, v12
	s_cbranch_scc0 .LBB29_27
; %bb.24:
	s_nop 0
	v_mov_b32_dpp v10, v12 quad_perm:[1,0,3,2] row_mask:0xf bank_mask:0xf
	v_cmp_gt_f32_e32 vcc, v12, v10
	v_cndmask_b32_e32 v10, v10, v12, vcc
	s_nop 1
	v_mov_b32_dpp v11, v10 quad_perm:[2,3,0,1] row_mask:0xf bank_mask:0xf
	v_cmp_gt_f32_e32 vcc, v10, v11
	v_cndmask_b32_e32 v10, v11, v10, vcc
	s_nop 1
	v_mov_b32_dpp v11, v10 row_half_mirror row_mask:0xf bank_mask:0xf
	v_cmp_gt_f32_e32 vcc, v10, v11
	v_cndmask_b32_e32 v10, v11, v10, vcc
	s_cbranch_execz .LBB29_28
	s_branch .LBB29_30
.LBB29_25:
                                        ; implicit-def: $vgpr10
	s_branch .LBB29_31
.LBB29_26:
                                        ; implicit-def: $vgpr10
	s_branch .LBB29_28
.LBB29_27:
	s_cbranch_execnz .LBB29_30
.LBB29_28:
	s_cmp_eq_u32 s10, 4
	s_waitcnt lgkmcnt(0)
	v_mov_b32_e32 v10, v12
	s_cbranch_scc0 .LBB29_30
; %bb.29:
	s_nop 0
	v_mov_b32_dpp v10, v12 quad_perm:[1,0,3,2] row_mask:0xf bank_mask:0xf
	v_cmp_gt_f32_e32 vcc, v12, v10
	v_cndmask_b32_e32 v10, v10, v12, vcc
	s_nop 1
	v_mov_b32_dpp v11, v10 quad_perm:[2,3,0,1] row_mask:0xf bank_mask:0xf
	v_cmp_gt_f32_e32 vcc, v10, v11
	v_cndmask_b32_e32 v10, v11, v10, vcc
.LBB29_30:
	s_cbranch_execnz .LBB29_33
.LBB29_31:
	s_cmp_lg_u32 s10, 2
	s_waitcnt lgkmcnt(0)
	v_mov_b32_e32 v10, v12
	s_cbranch_scc1 .LBB29_33
; %bb.32:
	s_nop 0
	v_mov_b32_dpp v10, v12 quad_perm:[1,0,3,2] row_mask:0xf bank_mask:0xf
	v_cmp_gt_f32_e32 vcc, v12, v10
	v_cndmask_b32_e32 v10, v10, v12, vcc
.LBB29_33:
	v_cvt_f32_u32_e32 v11, s10
	s_waitcnt lgkmcnt(0)
	v_mul_f32_e32 v13, 0x3b124925, v10
	s_sub_i32 s2, 0, s10
	v_cmp_gt_u32_e32 vcc, s9, v1
	v_rcp_iflag_f32_e32 v11, v11
	s_mov_b64 s[4:5], 0
	v_mul_f32_e32 v10, 0x4f7ffffe, v11
	v_cvt_u32_f32_e32 v10, v10
	v_mul_lo_u32 v11, s2, v10
	v_mul_hi_u32 v11, v10, v11
	v_add_u32_e32 v10, v10, v11
	v_mul_hi_u32 v10, v0, v10
	v_mul_lo_u32 v11, v10, s10
	v_sub_u32_e32 v11, v0, v11
	v_add_u32_e32 v15, 1, v10
	v_cmp_le_u32_e64 s[2:3], s10, v11
	v_cndmask_b32_e64 v10, v10, v15, s[2:3]
	v_subrev_u32_e32 v15, s10, v11
	v_cndmask_b32_e64 v11, v11, v15, s[2:3]
	v_add_u32_e32 v15, 1, v10
	v_cmp_le_u32_e64 s[2:3], s10, v11
	v_cndmask_b32_e64 v15, v10, v15, s[2:3]
	v_mul_lo_u32 v10, v15, s10
	v_sub_u32_e32 v10, v0, v10
	v_cmp_eq_u32_e64 s[2:3], 0, v10
	s_and_b64 s[10:11], s[2:3], vcc
	s_mov_b64 s[2:3], 0
                                        ; implicit-def: $vgpr10_vgpr11
	s_and_saveexec_b64 s[18:19], s[10:11]
	s_xor_b64 s[10:11], exec, s[18:19]
	s_cbranch_execz .LBB29_42
; %bb.34:
	s_bitcmp0_b32 s15, 0
	s_cbranch_scc0 .LBB29_39
; %bb.35:
	s_ashr_i32 s2, s9, 31
	s_mul_hi_u32 s3, s9, s6
	s_mul_i32 s2, s2, s6
	s_add_i32 s19, s3, s2
	s_mul_i32 s18, s9, s6
	s_mov_b32 s15, s12
	s_or_b64 s[2:3], s[18:19], s[14:15]
	s_mov_b32 s2, 0
	s_cmp_lg_u64 s[2:3], 0
	s_cbranch_scc0 .LBB29_50
; %bb.36:
	s_add_u32 s2, s14, s15
	s_mov_b32 s24, s15
	s_mov_b32 s25, s15
	s_addc_u32 s3, s15, s15
	s_xor_b64 s[26:27], s[2:3], s[24:25]
	v_cvt_f32_u32_e32 v10, s26
	v_cvt_f32_u32_e32 v11, s27
	s_sub_u32 s2, 0, s26
	s_subb_u32 s3, 0, s27
	v_madmk_f32 v10, v11, 0x4f800000, v10
	v_rcp_f32_e32 v10, v10
	v_mul_f32_e32 v10, 0x5f7ffffc, v10
	v_mul_f32_e32 v11, 0x2f800000, v10
	v_trunc_f32_e32 v11, v11
	v_madmk_f32 v10, v11, 0xcf800000, v10
	v_cvt_u32_f32_e32 v11, v11
	v_cvt_u32_f32_e32 v10, v10
	v_readfirstlane_b32 s12, v11
	v_readfirstlane_b32 s15, v10
	s_mul_i32 s28, s2, s12
	s_mul_hi_u32 s30, s2, s15
	s_mul_i32 s29, s3, s15
	s_add_i32 s28, s30, s28
	s_add_i32 s28, s28, s29
	s_mul_i32 s31, s2, s15
	s_mul_hi_u32 s29, s15, s28
	s_mul_i32 s30, s15, s28
	s_mul_hi_u32 s15, s15, s31
	s_add_u32 s15, s15, s30
	s_addc_u32 s29, 0, s29
	s_mul_hi_u32 s33, s12, s31
	s_mul_i32 s31, s12, s31
	s_add_u32 s15, s15, s31
	s_mul_hi_u32 s30, s12, s28
	s_addc_u32 s15, s29, s33
	s_addc_u32 s29, s30, 0
	s_mul_i32 s28, s12, s28
	s_add_u32 s15, s15, s28
	s_addc_u32 s28, 0, s29
	v_add_co_u32_e32 v10, vcc, s15, v10
	s_cmp_lg_u64 vcc, 0
	s_addc_u32 s12, s12, s28
	v_readfirstlane_b32 s28, v10
	s_mul_i32 s15, s2, s12
	s_mul_hi_u32 s29, s2, s28
	s_add_i32 s15, s29, s15
	s_mul_i32 s3, s3, s28
	s_add_i32 s15, s15, s3
	s_mul_i32 s2, s2, s28
	s_mul_hi_u32 s29, s12, s2
	s_mul_i32 s30, s12, s2
	s_mul_i32 s33, s28, s15
	s_mul_hi_u32 s2, s28, s2
	s_mul_hi_u32 s31, s28, s15
	s_add_u32 s2, s2, s33
	s_addc_u32 s28, 0, s31
	s_add_u32 s2, s2, s30
	s_mul_hi_u32 s3, s12, s15
	s_addc_u32 s2, s28, s29
	s_addc_u32 s3, s3, 0
	s_mul_i32 s15, s12, s15
	s_add_u32 s2, s2, s15
	s_addc_u32 s3, 0, s3
	v_add_co_u32_e32 v10, vcc, s2, v10
	s_cmp_lg_u64 vcc, 0
	s_addc_u32 s12, s12, s3
	s_ashr_i32 s28, s19, 31
	s_add_u32 s2, s18, s28
	s_mov_b32 s29, s28
	s_addc_u32 s3, s19, s28
	s_xor_b64 s[30:31], s[2:3], s[28:29]
	v_readfirstlane_b32 s15, v10
	s_mul_i32 s3, s30, s12
	s_mul_hi_u32 s19, s30, s15
	s_mul_hi_u32 s2, s30, s12
	s_add_u32 s3, s19, s3
	s_addc_u32 s2, 0, s2
	s_mul_hi_u32 s33, s31, s15
	s_mul_i32 s15, s31, s15
	s_add_u32 s3, s3, s15
	s_mul_hi_u32 s19, s31, s12
	s_addc_u32 s2, s2, s33
	s_addc_u32 s3, s19, 0
	s_mul_i32 s12, s31, s12
	s_add_u32 s12, s2, s12
	s_addc_u32 s15, 0, s3
	s_mul_i32 s2, s26, s15
	s_mul_hi_u32 s3, s26, s12
	s_add_i32 s2, s3, s2
	s_mul_i32 s3, s27, s12
	s_add_i32 s19, s2, s3
	s_mul_i32 s3, s26, s12
	v_mov_b32_e32 v10, s3
	s_sub_i32 s2, s31, s19
	v_sub_co_u32_e32 v10, vcc, s30, v10
	s_cmp_lg_u64 vcc, 0
	s_subb_u32 s30, s2, s27
	v_subrev_co_u32_e64 v11, s[2:3], s26, v10
	s_cmp_lg_u64 s[2:3], 0
	s_subb_u32 s30, s30, 0
	s_cmp_ge_u32 s30, s27
	s_cselect_b32 s33, -1, 0
	v_cmp_le_u32_e64 s[2:3], s26, v11
	s_cmp_eq_u32 s30, s27
	v_cndmask_b32_e64 v11, 0, -1, s[2:3]
	v_mov_b32_e32 v16, s33
	s_cselect_b64 s[2:3], -1, 0
	v_cndmask_b32_e64 v11, v16, v11, s[2:3]
	s_add_u32 s2, s12, 1
	s_addc_u32 s30, s15, 0
	s_add_u32 s3, s12, 2
	s_addc_u32 s33, s15, 0
	v_mov_b32_e32 v16, s2
	v_mov_b32_e32 v17, s3
	v_cmp_ne_u32_e64 s[2:3], 0, v11
	v_cndmask_b32_e64 v11, v16, v17, s[2:3]
	v_mov_b32_e32 v16, s30
	v_mov_b32_e32 v17, s33
	s_cmp_lg_u64 vcc, 0
	v_cndmask_b32_e64 v16, v16, v17, s[2:3]
	s_subb_u32 s2, s31, s19
	s_cmp_ge_u32 s2, s27
	s_cselect_b32 s3, -1, 0
	v_cmp_le_u32_e32 vcc, s26, v10
	s_cmp_eq_u32 s2, s27
	v_cndmask_b32_e64 v10, 0, -1, vcc
	v_mov_b32_e32 v17, s3
	s_cselect_b64 vcc, -1, 0
	v_cndmask_b32_e32 v10, v17, v10, vcc
	v_mov_b32_e32 v17, s15
	v_cmp_ne_u32_e32 vcc, 0, v10
	v_cndmask_b32_e32 v10, v17, v16, vcc
	v_mov_b32_e32 v16, s12
	v_cndmask_b32_e32 v11, v16, v11, vcc
	s_xor_b64 s[2:3], s[28:29], s[24:25]
	v_xor_b32_e32 v11, s2, v11
	v_xor_b32_e32 v16, s3, v10
	v_mov_b32_e32 v17, s3
	v_subrev_co_u32_e32 v10, vcc, s2, v11
	v_subb_co_u32_e32 v11, vcc, v16, v17, vcc
	s_cbranch_execnz .LBB29_38
.LBB29_37:
	v_cvt_f32_u32_e32 v10, s14
	s_sub_i32 s2, 0, s14
	s_mov_b32 s3, 0
	v_rcp_iflag_f32_e32 v10, v10
	v_mul_f32_e32 v10, 0x4f7ffffe, v10
	v_cvt_u32_f32_e32 v10, v10
	v_readfirstlane_b32 s12, v10
	s_mul_i32 s2, s2, s12
	s_mul_hi_u32 s2, s12, s2
	s_add_i32 s12, s12, s2
	s_mul_hi_u32 s2, s18, s12
	s_mul_i32 s15, s2, s14
	s_sub_i32 s15, s18, s15
	s_add_i32 s12, s2, 1
	s_sub_i32 s18, s15, s14
	s_cmp_ge_u32 s15, s14
	s_cselect_b32 s2, s12, s2
	s_cselect_b32 s15, s18, s15
	s_add_i32 s12, s2, 1
	s_cmp_ge_u32 s15, s14
	s_cselect_b32 s2, s12, s2
	v_pk_mov_b32 v[10:11], s[2:3], s[2:3] op_sel:[0,1]
.LBB29_38:
	v_add_co_u32_e32 v10, vcc, v10, v15
	v_addc_co_u32_e32 v11, vcc, 0, v11, vcc
	s_branch .LBB29_41
.LBB29_39:
                                        ; implicit-def: $vgpr10_vgpr11
	s_cbranch_execz .LBB29_41
; %bb.40:
	v_mul_lo_u32 v10, v15, s8
	v_ashrrev_i32_e32 v11, 31, v10
	v_mov_b32_e32 v15, s7
	v_add_co_u32_e32 v10, vcc, s6, v10
	v_addc_co_u32_e32 v11, vcc, v11, v15, vcc
.LBB29_41:
	s_mov_b64 s[2:3], exec
.LBB29_42:
	s_or_b64 exec, exec, s[10:11]
	s_and_b64 vcc, exec, s[4:5]
	s_cbranch_vccz .LBB29_46
.LBB29_43:
	v_mov_b32_dpp v10, v12 quad_perm:[1,0,3,2] row_mask:0xf bank_mask:0xf
	v_cmp_gt_f32_e32 vcc, v12, v10
	v_cndmask_b32_e32 v10, v10, v12, vcc
	s_nop 1
	v_mov_b32_dpp v11, v10 quad_perm:[2,3,0,1] row_mask:0xf bank_mask:0xf
	v_cmp_gt_f32_e32 vcc, v10, v11
	v_cndmask_b32_e32 v10, v11, v10, vcc
	s_nop 1
	v_mov_b32_dpp v11, v10 row_half_mirror row_mask:0xf bank_mask:0xf
	v_cmp_gt_f32_e32 vcc, v10, v11
	v_cndmask_b32_e32 v10, v11, v10, vcc
	s_nop 1
	v_mov_b32_dpp v11, v10 row_mirror row_mask:0xf bank_mask:0xf
	v_cmp_gt_f32_e32 vcc, v10, v11
	v_cndmask_b32_e32 v10, v11, v10, vcc
	s_nop 1
	v_mov_b32_dpp v11, v10 row_bcast:15 row_mask:0xf bank_mask:0xf
	v_cmp_gt_f32_e32 vcc, v10, v11
	v_cndmask_b32_e32 v10, v11, v10, vcc
	s_nop 1
	v_mov_b32_dpp v11, v10 row_bcast:31 row_mask:0xf bank_mask:0xf
	s_and_saveexec_b64 s[2:3], s[0:1]
	s_cbranch_execz .LBB29_45
; %bb.44:
	v_lshrrev_b32_e32 v12, 4, v0
	v_cmp_gt_f32_e32 vcc, v10, v11
	v_and_b32_e32 v12, 60, v12
	v_cndmask_b32_e32 v10, v11, v10, vcc
	ds_write_b32 v12, v10
.LBB29_45:
	s_or_b64 exec, exec, s[2:3]
	s_waitcnt lgkmcnt(0)
	s_barrier
	ds_read_b32 v10, v14
	v_cmp_eq_u32_e64 s[2:3], 0, v0
	s_waitcnt lgkmcnt(0)
	v_mov_b32_dpp v11, v10 quad_perm:[1,0,3,2] row_mask:0xf bank_mask:0xf
	v_cmp_gt_f32_e32 vcc, v10, v11
	v_cndmask_b32_e32 v10, v11, v10, vcc
	s_nop 1
	v_mov_b32_dpp v11, v10 quad_perm:[2,3,0,1] row_mask:0xf bank_mask:0xf
	v_cmp_gt_f32_e32 vcc, v10, v11
	v_cndmask_b32_e32 v10, v11, v10, vcc
	s_nop 1
	v_mov_b32_dpp v11, v10 row_half_mirror row_mask:0xf bank_mask:0xf
	v_cmp_gt_f32_e32 vcc, v10, v11
	v_cndmask_b32_e32 v10, v11, v10, vcc
	s_nop 1
	v_mov_b32_dpp v11, v10 row_mirror row_mask:0xf bank_mask:0xf
	v_cmp_gt_f32_e32 vcc, v10, v11
	v_cndmask_b32_e32 v10, v11, v10, vcc
	v_mul_f32_e32 v13, 0x3b124925, v10
	v_pk_mov_b32 v[10:11], s[6:7], s[6:7] op_sel:[0,1]
.LBB29_46:
	s_and_saveexec_b64 s[0:1], s[2:3]
	s_cbranch_execz .LBB29_48
; %bb.47:
	v_lshlrev_b64 v[10:11], 2, v[10:11]
	v_mov_b32_e32 v0, s21
	v_add_co_u32_e32 v10, vcc, s20, v10
	v_addc_co_u32_e32 v11, vcc, v0, v11, vcc
	global_store_dword v[10:11], v13, off
.LBB29_48:
	s_or_b64 exec, exec, s[0:1]
	s_add_i32 s0, s9, 3
	;;#ASMSTART
	v_rcp_f32 v10, v13
	;;#ASMEND
	v_mov_b32_e32 v11, v10
	;;#ASMSTART
	v_pk_mul_f32 v[8:9], v[8:9], v[10:11]
	;;#ASMEND
	s_ashr_i32 s1, s0, 31
	v_mov_b32_e32 v0, 0xc3e00000
	v_mov_b32_e32 v12, 0x43e00000
	;;#ASMSTART
	v_med3_f32 v8, v8, v0, v12
v_med3_f32 v9, v9, v0, v12
v_cvt_pk_fp8_f32 v13, v8, v9
	;;#ASMEND
	;;#ASMSTART
	v_pk_mul_f32 v[6:7], v[6:7], v[10:11]
	;;#ASMEND
	s_lshr_b32 s1, s1, 30
	;;#ASMSTART
	v_med3_f32 v6, v6, v0, v12
v_med3_f32 v7, v7, v0, v12
v_cvt_pk_fp8_f32 v8, v6, v7
	;;#ASMEND
	s_mov_b32 s5, 0x5040100
	s_add_i32 s0, s0, s1
	v_perm_b32 v7, v8, v13, s5
	s_movk_i32 s5, 0xff
	s_and_b32 s2, s0, -4
	s_ashr_i32 s0, s13, 31
	v_and_b32_e32 v6, 0xffffff00, v8
	v_and_b32_sdwa v8, v7, s5 dst_sel:DWORD dst_unused:UNUSED_PAD src0_sel:WORD_1 src1_sel:DWORD
	s_mul_hi_u32 s1, s13, s6
	s_mul_i32 s0, s0, s6
	s_mov_b32 s4, 0xffff
	v_or_b32_sdwa v6, v8, v6 dst_sel:WORD_1 dst_unused:UNUSED_PAD src0_sel:DWORD src1_sel:DWORD
	;;#ASMSTART
	v_pk_mul_f32 v[4:5], v[4:5], v[10:11]
	;;#ASMEND
	s_add_i32 s1, s1, s0
	s_mul_i32 s0, s13, s6
	v_and_or_b32 v6, v7, s4, v6
	;;#ASMSTART
	v_med3_f32 v4, v4, v0, v12
v_med3_f32 v5, v5, v0, v12
v_cvt_pk_fp8_f32 v7, v4, v5
	;;#ASMEND
	;;#ASMSTART
	v_pk_mul_f32 v[2:3], v[2:3], v[10:11]
	;;#ASMEND
	s_add_u32 s0, s16, s0
	;;#ASMSTART
	v_med3_f32 v2, v2, v0, v12
v_med3_f32 v3, v3, v0, v12
v_cvt_pk_fp8_f32 v0, v2, v3
	;;#ASMEND
	s_addc_u32 s1, s17, s1
	v_lshlrev_b32_e32 v0, 16, v0
	s_and_b32 s1, s1, 0xffff
	s_mov_b32 s3, 0x20000
	v_and_or_b32 v7, v7, s4, v0
	buffer_store_dwordx2 v[6:7], v1, s[0:3], 0 offen
	;;#ASMSTART
	s_nop 0
	;;#ASMEND
.LBB29_49:
	s_endpgm
.LBB29_50:
                                        ; implicit-def: $vgpr10_vgpr11
	s_branch .LBB29_37
	.section	.rodata,"a",@progbits
	.p2align	6, 0x0
	.amdhsa_kernel _ZN5aiter24add_rmsnorm_quant_kernelIDF16_DB8_Li1024ELi8ELb1ELb1ELb1ELi1EEEvPT0_PT_PfS5_S5_S5_diiiiiiib
		.amdhsa_group_segment_fixed_size 128
		.amdhsa_private_segment_fixed_size 0
		.amdhsa_kernarg_size 88
		.amdhsa_user_sgpr_count 6
		.amdhsa_user_sgpr_private_segment_buffer 1
		.amdhsa_user_sgpr_dispatch_ptr 0
		.amdhsa_user_sgpr_queue_ptr 0
		.amdhsa_user_sgpr_kernarg_segment_ptr 1
		.amdhsa_user_sgpr_dispatch_id 0
		.amdhsa_user_sgpr_flat_scratch_init 0
		.amdhsa_user_sgpr_kernarg_preload_length 0
		.amdhsa_user_sgpr_kernarg_preload_offset 0
		.amdhsa_user_sgpr_private_segment_size 0
		.amdhsa_uses_dynamic_stack 0
		.amdhsa_system_sgpr_private_segment_wavefront_offset 0
		.amdhsa_system_sgpr_workgroup_id_x 1
		.amdhsa_system_sgpr_workgroup_id_y 0
		.amdhsa_system_sgpr_workgroup_id_z 0
		.amdhsa_system_sgpr_workgroup_info 0
		.amdhsa_system_vgpr_workitem_id 0
		.amdhsa_next_free_vgpr 32
		.amdhsa_next_free_sgpr 40
		.amdhsa_accum_offset 32
		.amdhsa_reserve_vcc 1
		.amdhsa_reserve_flat_scratch 0
		.amdhsa_float_round_mode_32 0
		.amdhsa_float_round_mode_16_64 0
		.amdhsa_float_denorm_mode_32 3
		.amdhsa_float_denorm_mode_16_64 3
		.amdhsa_dx10_clamp 1
		.amdhsa_ieee_mode 1
		.amdhsa_fp16_overflow 0
		.amdhsa_tg_split 0
		.amdhsa_exception_fp_ieee_invalid_op 0
		.amdhsa_exception_fp_denorm_src 0
		.amdhsa_exception_fp_ieee_div_zero 0
		.amdhsa_exception_fp_ieee_overflow 0
		.amdhsa_exception_fp_ieee_underflow 0
		.amdhsa_exception_fp_ieee_inexact 0
		.amdhsa_exception_int_div_zero 0
	.end_amdhsa_kernel
	.section	.text._ZN5aiter24add_rmsnorm_quant_kernelIDF16_DB8_Li1024ELi8ELb1ELb1ELb1ELi1EEEvPT0_PT_PfS5_S5_S5_diiiiiiib,"axG",@progbits,_ZN5aiter24add_rmsnorm_quant_kernelIDF16_DB8_Li1024ELi8ELb1ELb1ELb1ELi1EEEvPT0_PT_PfS5_S5_S5_diiiiiiib,comdat
.Lfunc_end29:
	.size	_ZN5aiter24add_rmsnorm_quant_kernelIDF16_DB8_Li1024ELi8ELb1ELb1ELb1ELi1EEEvPT0_PT_PfS5_S5_S5_diiiiiiib, .Lfunc_end29-_ZN5aiter24add_rmsnorm_quant_kernelIDF16_DB8_Li1024ELi8ELb1ELb1ELb1ELi1EEEvPT0_PT_PfS5_S5_S5_diiiiiiib
                                        ; -- End function
	.section	.AMDGPU.csdata,"",@progbits
; Kernel info:
; codeLenInByte = 3452
; NumSgprs: 44
; NumVgprs: 32
; NumAgprs: 0
; TotalNumVgprs: 32
; ScratchSize: 0
; MemoryBound: 0
; FloatMode: 240
; IeeeMode: 1
; LDSByteSize: 128 bytes/workgroup (compile time only)
; SGPRBlocks: 5
; VGPRBlocks: 3
; NumSGPRsForWavesPerEU: 44
; NumVGPRsForWavesPerEU: 32
; AccumOffset: 32
; Occupancy: 8
; WaveLimiterHint : 0
; COMPUTE_PGM_RSRC2:SCRATCH_EN: 0
; COMPUTE_PGM_RSRC2:USER_SGPR: 6
; COMPUTE_PGM_RSRC2:TRAP_HANDLER: 0
; COMPUTE_PGM_RSRC2:TGID_X_EN: 1
; COMPUTE_PGM_RSRC2:TGID_Y_EN: 0
; COMPUTE_PGM_RSRC2:TGID_Z_EN: 0
; COMPUTE_PGM_RSRC2:TIDIG_COMP_CNT: 0
; COMPUTE_PGM_RSRC3_GFX90A:ACCUM_OFFSET: 7
; COMPUTE_PGM_RSRC3_GFX90A:TG_SPLIT: 0
	.section	.text._ZN5aiter24add_rmsnorm_quant_kernelItDB8_Li1024ELi8ELb1ELb1ELb1ELi1EEEvPT0_PT_PfS5_S5_S5_diiiiiiib,"axG",@progbits,_ZN5aiter24add_rmsnorm_quant_kernelItDB8_Li1024ELi8ELb1ELb1ELb1ELi1EEEvPT0_PT_PfS5_S5_S5_diiiiiiib,comdat
	.protected	_ZN5aiter24add_rmsnorm_quant_kernelItDB8_Li1024ELi8ELb1ELb1ELb1ELi1EEEvPT0_PT_PfS5_S5_S5_diiiiiiib ; -- Begin function _ZN5aiter24add_rmsnorm_quant_kernelItDB8_Li1024ELi8ELb1ELb1ELb1ELi1EEEvPT0_PT_PfS5_S5_S5_diiiiiiib
	.globl	_ZN5aiter24add_rmsnorm_quant_kernelItDB8_Li1024ELi8ELb1ELb1ELb1ELi1EEEvPT0_PT_PfS5_S5_S5_diiiiiiib
	.p2align	8
	.type	_ZN5aiter24add_rmsnorm_quant_kernelItDB8_Li1024ELi8ELb1ELb1ELb1ELi1EEEvPT0_PT_PfS5_S5_S5_diiiiiiib,@function
_ZN5aiter24add_rmsnorm_quant_kernelItDB8_Li1024ELi8ELb1ELb1ELb1ELi1EEEvPT0_PT_PfS5_S5_S5_diiiiiiib: ; @_ZN5aiter24add_rmsnorm_quant_kernelItDB8_Li1024ELi8ELb1ELb1ELb1ELi1EEEvPT0_PT_PfS5_S5_S5_diiiiiiib
; %bb.0:
	s_load_dwordx8 s[8:15], s[4:5], 0x38
	s_mov_b32 s7, 0
	s_waitcnt lgkmcnt(0)
	s_ashr_i32 s0, s8, 31
	v_mov_b32_e32 v2, s8
	v_mov_b32_e32 v3, s0
	v_cmp_ge_i64_e32 vcc, s[6:7], v[2:3]
	s_cbranch_vccnz .LBB30_49
; %bb.1:
	s_load_dwordx8 s[16:23], s[4:5], 0x0
	s_load_dwordx8 s[24:31], s[4:5], 0x20
	s_ashr_i32 s0, s10, 31
	s_mul_hi_u32 s1, s10, s6
	s_mul_i32 s0, s0, s6
	s_add_i32 s1, s1, s0
	s_mul_i32 s0, s10, s6
	s_lshl_b64 s[0:1], s[0:1], 1
	s_waitcnt lgkmcnt(0)
	s_add_u32 s0, s22, s0
	s_addc_u32 s1, s23, s1
	s_add_i32 s2, s9, 1
	s_lshr_b32 s3, s2, 31
	s_add_i32 s2, s2, s3
	s_lshl_b32 s2, s2, 1
	s_and_b32 s2, s2, -4
	s_and_b32 s1, s1, 0xffff
	s_mov_b32 s3, 0x20000
	v_lshlrev_b32_e32 v1, 4, v0
	buffer_load_dwordx4 v[6:9], v1, s[0:3], 0 offen glc slc
	s_ashr_i32 s0, s11, 31
	s_mul_hi_u32 s1, s11, s6
	s_mul_i32 s0, s0, s6
	s_add_i32 s1, s1, s0
	s_mul_i32 s0, s11, s6
	s_and_b32 s37, s27, 0xffff
	s_lshl_b64 s[0:1], s[0:1], 1
	s_add_u32 s0, s24, s0
	s_addc_u32 s1, s25, s1
	s_and_b32 s1, s1, 0xffff
	buffer_load_dwordx4 v[10:13], v1, s[0:3], 0 offen glc slc
	s_mov_b32 s39, s3
	s_mov_b32 s36, s26
	;; [unrolled: 1-line block ×3, first 2 shown]
	buffer_load_dwordx4 v[2:5], v1, s[36:39], 0 offen
	s_ashr_i32 s5, s12, 31
	s_mul_hi_u32 s1, s12, s6
	s_mul_i32 s5, s5, s6
	s_mul_i32 s0, s12, s6
	s_add_i32 s1, s1, s5
	s_lshl_b64 s[0:1], s[0:1], 1
	s_add_u32 s0, s18, s0
	s_mov_b32 s4, 0x7060302
	s_addc_u32 s1, s19, s1
	s_and_b32 s1, s1, 0xffff
	v_and_b32_e32 v26, 63, v0
	s_waitcnt vmcnt(2)
	v_cvt_f32_u32_sdwa v15, v6 dst_sel:DWORD dst_unused:UNUSED_PAD src0_sel:WORD_1
	v_cvt_f32_u32_sdwa v14, v6 dst_sel:DWORD dst_unused:UNUSED_PAD src0_sel:WORD_0
	v_cvt_f32_u32_sdwa v17, v7 dst_sel:DWORD dst_unused:UNUSED_PAD src0_sel:WORD_1
	v_cvt_f32_u32_sdwa v16, v7 dst_sel:DWORD dst_unused:UNUSED_PAD src0_sel:WORD_0
	;; [unrolled: 2-line block ×4, first 2 shown]
	s_waitcnt vmcnt(1)
	v_cvt_f32_u32_sdwa v9, v10 dst_sel:DWORD dst_unused:UNUSED_PAD src0_sel:WORD_1
	v_cvt_f32_u32_sdwa v8, v10 dst_sel:DWORD dst_unused:UNUSED_PAD src0_sel:WORD_0
	v_cvt_f32_u32_sdwa v21, v11 dst_sel:DWORD dst_unused:UNUSED_PAD src0_sel:WORD_1
	v_cvt_f32_u32_sdwa v20, v11 dst_sel:DWORD dst_unused:UNUSED_PAD src0_sel:WORD_0
	;; [unrolled: 2-line block ×4, first 2 shown]
	v_pk_add_f32 v[12:13], v[14:15], v[8:9]
	v_pk_add_f32 v[10:11], v[16:17], v[20:21]
	;; [unrolled: 1-line block ×4, first 2 shown]
	v_perm_b32 v17, v7, v6, s4
	v_perm_b32 v16, v9, v8, s4
	;; [unrolled: 1-line block ×4, first 2 shown]
	v_pk_mul_f32 v[18:19], v[12:13], v[12:13]
	v_pk_mul_f32 v[20:21], v[10:11], v[10:11]
	buffer_store_dwordx4 v[14:17], v1, s[0:3], 0 offen glc slc
	v_add_f32_e32 v1, v18, v19
	v_add_f32_e32 v1, v20, v1
	v_pk_mul_f32 v[22:23], v[8:9], v[8:9]
	v_add_f32_e32 v1, v21, v1
	v_add_f32_e32 v1, v22, v1
	v_pk_mul_f32 v[24:25], v[6:7], v[6:7]
	v_add_f32_e32 v1, v23, v1
	v_add_f32_e32 v1, v24, v1
	;; [unrolled: 1-line block ×3, first 2 shown]
	v_cmp_eq_u32_e64 s[0:1], 63, v26
	;;#ASMSTART
	s_nop 0
	;;#ASMEND
	s_nop 0
	v_mov_b32_dpp v14, v1 quad_perm:[1,0,3,2] row_mask:0xf bank_mask:0xf
	v_add_f32_e32 v1, v1, v14
	s_nop 1
	v_mov_b32_dpp v14, v1 quad_perm:[2,3,0,1] row_mask:0xf bank_mask:0xf
	v_add_f32_e32 v1, v1, v14
	s_nop 1
	v_mov_b32_dpp v14, v1 row_half_mirror row_mask:0xf bank_mask:0xf
	v_add_f32_e32 v1, v1, v14
	s_nop 1
	v_mov_b32_dpp v14, v1 row_mirror row_mask:0xf bank_mask:0xf
	v_add_f32_e32 v1, v1, v14
	s_nop 1
	v_mov_b32_dpp v14, v1 row_bcast:15 row_mask:0xf bank_mask:0xf
	v_add_f32_e32 v1, v1, v14
	s_nop 1
	v_mov_b32_dpp v14, v1 row_bcast:31 row_mask:0xf bank_mask:0xf
	s_and_saveexec_b64 s[2:3], s[0:1]
	s_cbranch_execz .LBB30_3
; %bb.2:
	v_lshrrev_b32_e32 v15, 4, v0
	v_and_b32_e32 v15, 60, v15
	v_add_f32_e32 v1, v1, v14
	ds_write_b32 v15, v1 offset:64
.LBB30_3:
	s_or_b64 exec, exec, s[2:3]
	v_and_b32_e32 v1, 15, v0
	v_lshlrev_b32_e32 v14, 2, v1
	s_waitcnt lgkmcnt(0)
	s_barrier
	ds_read_b32 v1, v14 offset:64
	v_cvt_f32_i32_e32 v15, s9
	s_waitcnt vmcnt(1)
	v_cvt_f32_u32_sdwa v21, v3 dst_sel:DWORD dst_unused:UNUSED_PAD src0_sel:WORD_1
	v_cvt_f32_u32_sdwa v23, v5 dst_sel:DWORD dst_unused:UNUSED_PAD src0_sel:WORD_1
	v_cvt_f32_u32_sdwa v22, v5 dst_sel:DWORD dst_unused:UNUSED_PAD src0_sel:WORD_0
	s_waitcnt lgkmcnt(0)
	v_mov_b32_dpp v16, v1 quad_perm:[1,0,3,2] row_mask:0xf bank_mask:0xf
	v_add_f32_e32 v1, v1, v16
	s_cmp_lg_u32 s14, 0
	s_nop 0
	v_mov_b32_dpp v16, v1 quad_perm:[2,3,0,1] row_mask:0xf bank_mask:0xf
	v_add_f32_e32 v1, v1, v16
	s_nop 1
	v_mov_b32_dpp v16, v1 row_half_mirror row_mask:0xf bank_mask:0xf
	v_add_f32_e32 v1, v1, v16
	s_nop 1
	v_mov_b32_dpp v16, v1 row_mirror row_mask:0xf bank_mask:0xf
	v_add_f32_e32 v1, v1, v16
	v_div_scale_f32 v16, s[2:3], v15, v15, v1
	v_rcp_f32_e32 v17, v16
	v_div_scale_f32 v18, vcc, v1, v15, v1
	s_mov_b32 s2, 0x800000
	v_fma_f32 v19, -v16, v17, 1.0
	v_fmac_f32_e32 v17, v19, v17
	v_mul_f32_e32 v19, v18, v17
	v_fma_f32 v20, -v16, v19, v18
	v_fmac_f32_e32 v19, v20, v17
	v_fma_f32 v16, -v16, v19, v18
	v_div_fmas_f32 v16, v16, v17, v19
	v_div_fixup_f32 v1, v16, v15, v1
	v_cvt_f64_f32_e32 v[16:17], v1
	v_add_f64 v[16:17], v[16:17], s[28:29]
	v_cvt_f32_f64_e32 v1, v[16:17]
	v_mul_f32_e32 v15, 0x4b800000, v1
	v_cmp_gt_f32_e32 vcc, s2, v1
	v_cndmask_b32_e32 v1, v1, v15, vcc
	v_rsq_f32_e32 v15, v1
	v_cvt_f32_u32_sdwa v20, v3 dst_sel:DWORD dst_unused:UNUSED_PAD src0_sel:WORD_0
	v_cvt_f32_u32_sdwa v3, v4 dst_sel:DWORD dst_unused:UNUSED_PAD src0_sel:WORD_1
	v_lshlrev_b32_e32 v1, 3, v0
	v_mul_f32_e32 v16, 0x45800000, v15
	v_cndmask_b32_e32 v16, v15, v16, vcc
	v_mov_b32_e32 v17, v16
	;;#ASMSTART
	v_pk_mul_f32 v[12:13], v[12:13], v[16:17]
	;;#ASMEND
	;;#ASMSTART
	v_pk_mul_f32 v[10:11], v[10:11], v[16:17]
	;;#ASMEND
	;; [unrolled: 3-line block ×4, first 2 shown]
	v_cvt_f32_u32_sdwa v7, v2 dst_sel:DWORD dst_unused:UNUSED_PAD src0_sel:WORD_1
	v_cvt_f32_u32_sdwa v6, v2 dst_sel:DWORD dst_unused:UNUSED_PAD src0_sel:WORD_0
	v_cvt_f32_u32_sdwa v2, v4 dst_sel:DWORD dst_unused:UNUSED_PAD src0_sel:WORD_0
	;;#ASMSTART
	v_pk_mul_f32 v[8:9], v[12:13], v[6:7]
	;;#ASMEND
	;;#ASMSTART
	v_pk_mul_f32 v[6:7], v[10:11], v[20:21]
	;;#ASMEND
	v_and_b32_e32 v10, 0x7fffffff, v8
	v_mov_b32_e32 v12, 0x2edbe6ff
	;;#ASMSTART
	v_pk_mul_f32 v[4:5], v[18:19], v[2:3]
	;;#ASMEND
	;;#ASMSTART
	v_pk_mul_f32 v[2:3], v[16:17], v[22:23]
	;;#ASMEND
	v_and_b32_e32 v11, 0x7fffffff, v9
	;;#ASMSTART
	v_max3_f32 v10, v12, v10, v11

	;;#ASMEND
	v_and_b32_e32 v12, 0x7fffffff, v7
	v_and_b32_e32 v11, 0x7fffffff, v6
	;;#ASMSTART
	v_max3_f32 v10, v10, v11, v12

	;;#ASMEND
	v_and_b32_e32 v12, 0x7fffffff, v5
	;; [unrolled: 6-line block ×3, first 2 shown]
	v_and_b32_e32 v11, 0x7fffffff, v2
	;;#ASMSTART
	v_max3_f32 v12, v10, v11, v12

	;;#ASMEND
	s_cbranch_scc0 .LBB30_10
; %bb.4:
	s_ashr_i32 s12, s14, 31
	s_lshr_b32 s2, s12, 29
	s_add_i32 s2, s14, s2
	s_ashr_i32 s10, s2, 3
	s_cmp_lt_i32 s10, 16
	s_cbranch_scc1 .LBB30_11
; %bb.5:
	s_cmp_lt_i32 s10, 32
	s_cbranch_scc1 .LBB30_12
; %bb.6:
	;; [unrolled: 3-line block ×3, first 2 shown]
	s_cmp_eq_u32 s10, 64
	v_mov_b32_e32 v10, v12
	s_cbranch_scc0 .LBB30_9
; %bb.8:
	s_nop 0
	v_mov_b32_dpp v10, v12 quad_perm:[1,0,3,2] row_mask:0xf bank_mask:0xf
	v_cmp_gt_f32_e32 vcc, v12, v10
	v_cndmask_b32_e32 v10, v10, v12, vcc
	v_bfrev_b32_e32 v13, 0.5
	s_nop 0
	v_mov_b32_dpp v11, v10 quad_perm:[2,3,0,1] row_mask:0xf bank_mask:0xf
	v_cmp_gt_f32_e32 vcc, v10, v11
	v_cndmask_b32_e32 v10, v11, v10, vcc
	s_nop 1
	v_mov_b32_dpp v11, v10 row_ror:4 row_mask:0xf bank_mask:0xf
	v_cmp_gt_f32_e32 vcc, v10, v11
	v_cndmask_b32_e32 v10, v11, v10, vcc
	s_nop 1
	v_mov_b32_dpp v11, v10 row_ror:8 row_mask:0xf bank_mask:0xf
	v_cmp_gt_f32_e32 vcc, v10, v11
	v_cndmask_b32_e32 v10, v11, v10, vcc
	s_nop 1
	v_mov_b32_dpp v11, v10 row_bcast:15 row_mask:0xf bank_mask:0xf
	v_cmp_gt_f32_e32 vcc, v10, v11
	v_cndmask_b32_e32 v10, v11, v10, vcc
	s_nop 1
	v_mov_b32_dpp v11, v10 row_bcast:31 row_mask:0xf bank_mask:0xf
	v_cmp_gt_f32_e32 vcc, v10, v11
	v_cndmask_b32_e32 v10, v11, v10, vcc
	v_mbcnt_lo_u32_b32 v11, -1, 0
	v_mbcnt_hi_u32_b32 v11, -1, v11
	v_lshl_or_b32 v11, v11, 2, v13
	ds_bpermute_b32 v10, v11, v10
.LBB30_9:
	s_mov_b64 s[2:3], 0
	s_branch .LBB30_14
.LBB30_10:
	s_mov_b64 s[2:3], 0
                                        ; implicit-def: $vgpr13
                                        ; implicit-def: $vgpr10_vgpr11
	s_cbranch_execnz .LBB30_43
	s_branch .LBB30_46
.LBB30_11:
                                        ; implicit-def: $vgpr10
	s_branch .LBB30_21
.LBB30_12:
                                        ; implicit-def: $vgpr10
	s_branch .LBB30_18
.LBB30_13:
	s_mov_b64 s[2:3], -1
                                        ; implicit-def: $vgpr10
.LBB30_14:
	s_andn2_b64 vcc, exec, s[2:3]
	s_cbranch_vccnz .LBB30_17
; %bb.15:
	s_cmp_eq_u32 s10, 32
	s_waitcnt lgkmcnt(0)
	v_mov_b32_e32 v10, v12
	s_cbranch_scc0 .LBB30_17
; %bb.16:
	s_nop 0
	v_mov_b32_dpp v10, v12 quad_perm:[1,0,3,2] row_mask:0xf bank_mask:0xf
	v_cmp_gt_f32_e32 vcc, v12, v10
	v_cndmask_b32_e32 v10, v10, v12, vcc
	v_mov_b32_e32 v13, 0x7c
	s_nop 0
	v_mov_b32_dpp v11, v10 quad_perm:[2,3,0,1] row_mask:0xf bank_mask:0xf
	v_cmp_gt_f32_e32 vcc, v10, v11
	v_cndmask_b32_e32 v10, v11, v10, vcc
	s_nop 1
	v_mov_b32_dpp v11, v10 row_half_mirror row_mask:0xf bank_mask:0xf
	v_cmp_gt_f32_e32 vcc, v10, v11
	v_cndmask_b32_e32 v10, v11, v10, vcc
	s_nop 1
	v_mov_b32_dpp v11, v10 row_mirror row_mask:0xf bank_mask:0xf
	v_cmp_gt_f32_e32 vcc, v10, v11
	v_cndmask_b32_e32 v10, v11, v10, vcc
	s_nop 1
	v_mov_b32_dpp v11, v10 row_bcast:15 row_mask:0xa bank_mask:0xf
	v_cmp_gt_f32_e32 vcc, v10, v11
	v_cndmask_b32_e32 v10, v11, v10, vcc
	v_mbcnt_lo_u32_b32 v11, -1, 0
	v_mbcnt_hi_u32_b32 v11, -1, v11
	v_lshl_or_b32 v11, v11, 2, v13
	ds_bpermute_b32 v10, v11, v10
.LBB30_17:
	s_cbranch_execnz .LBB30_20
.LBB30_18:
	s_cmp_eq_u32 s10, 16
	s_waitcnt lgkmcnt(0)
	v_mov_b32_e32 v10, v12
	s_cbranch_scc0 .LBB30_20
; %bb.19:
	s_nop 0
	v_mov_b32_dpp v10, v12 quad_perm:[1,0,3,2] row_mask:0xf bank_mask:0xf
	v_cmp_gt_f32_e32 vcc, v12, v10
	v_cndmask_b32_e32 v10, v10, v12, vcc
	s_nop 1
	v_mov_b32_dpp v11, v10 quad_perm:[2,3,0,1] row_mask:0xf bank_mask:0xf
	v_cmp_gt_f32_e32 vcc, v10, v11
	v_cndmask_b32_e32 v10, v11, v10, vcc
	s_nop 1
	v_mov_b32_dpp v11, v10 row_half_mirror row_mask:0xf bank_mask:0xf
	v_cmp_gt_f32_e32 vcc, v10, v11
	v_cndmask_b32_e32 v10, v11, v10, vcc
	s_nop 1
	v_mov_b32_dpp v11, v10 row_mirror row_mask:0xf bank_mask:0xf
	v_cmp_gt_f32_e32 vcc, v10, v11
	v_cndmask_b32_e32 v10, v11, v10, vcc
.LBB30_20:
	s_cbranch_execnz .LBB30_33
.LBB30_21:
	s_cmp_lt_i32 s10, 4
	s_cbranch_scc1 .LBB30_25
; %bb.22:
	s_cmp_lt_i32 s10, 8
	s_cbranch_scc1 .LBB30_26
; %bb.23:
	s_cmp_eq_u32 s10, 8
	s_waitcnt lgkmcnt(0)
	v_mov_b32_e32 v10, v12
	s_cbranch_scc0 .LBB30_27
; %bb.24:
	s_nop 0
	v_mov_b32_dpp v10, v12 quad_perm:[1,0,3,2] row_mask:0xf bank_mask:0xf
	v_cmp_gt_f32_e32 vcc, v12, v10
	v_cndmask_b32_e32 v10, v10, v12, vcc
	s_nop 1
	v_mov_b32_dpp v11, v10 quad_perm:[2,3,0,1] row_mask:0xf bank_mask:0xf
	v_cmp_gt_f32_e32 vcc, v10, v11
	v_cndmask_b32_e32 v10, v11, v10, vcc
	s_nop 1
	v_mov_b32_dpp v11, v10 row_half_mirror row_mask:0xf bank_mask:0xf
	v_cmp_gt_f32_e32 vcc, v10, v11
	v_cndmask_b32_e32 v10, v11, v10, vcc
	s_cbranch_execz .LBB30_28
	s_branch .LBB30_30
.LBB30_25:
                                        ; implicit-def: $vgpr10
	s_branch .LBB30_31
.LBB30_26:
                                        ; implicit-def: $vgpr10
	s_branch .LBB30_28
.LBB30_27:
	s_cbranch_execnz .LBB30_30
.LBB30_28:
	s_cmp_eq_u32 s10, 4
	s_waitcnt lgkmcnt(0)
	v_mov_b32_e32 v10, v12
	s_cbranch_scc0 .LBB30_30
; %bb.29:
	s_nop 0
	v_mov_b32_dpp v10, v12 quad_perm:[1,0,3,2] row_mask:0xf bank_mask:0xf
	v_cmp_gt_f32_e32 vcc, v12, v10
	v_cndmask_b32_e32 v10, v10, v12, vcc
	s_nop 1
	v_mov_b32_dpp v11, v10 quad_perm:[2,3,0,1] row_mask:0xf bank_mask:0xf
	v_cmp_gt_f32_e32 vcc, v10, v11
	v_cndmask_b32_e32 v10, v11, v10, vcc
.LBB30_30:
	s_cbranch_execnz .LBB30_33
.LBB30_31:
	s_cmp_lg_u32 s10, 2
	s_waitcnt lgkmcnt(0)
	v_mov_b32_e32 v10, v12
	s_cbranch_scc1 .LBB30_33
; %bb.32:
	s_nop 0
	v_mov_b32_dpp v10, v12 quad_perm:[1,0,3,2] row_mask:0xf bank_mask:0xf
	v_cmp_gt_f32_e32 vcc, v12, v10
	v_cndmask_b32_e32 v10, v10, v12, vcc
.LBB30_33:
	v_cvt_f32_u32_e32 v11, s10
	s_waitcnt lgkmcnt(0)
	v_mul_f32_e32 v13, 0x3b124925, v10
	s_sub_i32 s2, 0, s10
	v_cmp_gt_u32_e32 vcc, s9, v1
	v_rcp_iflag_f32_e32 v11, v11
	s_mov_b64 s[4:5], 0
	v_mul_f32_e32 v10, 0x4f7ffffe, v11
	v_cvt_u32_f32_e32 v10, v10
	v_mul_lo_u32 v11, s2, v10
	v_mul_hi_u32 v11, v10, v11
	v_add_u32_e32 v10, v10, v11
	v_mul_hi_u32 v10, v0, v10
	v_mul_lo_u32 v11, v10, s10
	v_sub_u32_e32 v11, v0, v11
	v_add_u32_e32 v15, 1, v10
	v_cmp_le_u32_e64 s[2:3], s10, v11
	v_cndmask_b32_e64 v10, v10, v15, s[2:3]
	v_subrev_u32_e32 v15, s10, v11
	v_cndmask_b32_e64 v11, v11, v15, s[2:3]
	v_add_u32_e32 v15, 1, v10
	v_cmp_le_u32_e64 s[2:3], s10, v11
	v_cndmask_b32_e64 v15, v10, v15, s[2:3]
	v_mul_lo_u32 v10, v15, s10
	v_sub_u32_e32 v10, v0, v10
	v_cmp_eq_u32_e64 s[2:3], 0, v10
	s_and_b64 s[10:11], s[2:3], vcc
	s_mov_b64 s[2:3], 0
                                        ; implicit-def: $vgpr10_vgpr11
	s_and_saveexec_b64 s[18:19], s[10:11]
	s_xor_b64 s[10:11], exec, s[18:19]
	s_cbranch_execz .LBB30_42
; %bb.34:
	s_bitcmp0_b32 s15, 0
	s_cbranch_scc0 .LBB30_39
; %bb.35:
	s_ashr_i32 s2, s9, 31
	s_mul_hi_u32 s3, s9, s6
	s_mul_i32 s2, s2, s6
	s_add_i32 s19, s3, s2
	s_mul_i32 s18, s9, s6
	s_mov_b32 s15, s12
	s_or_b64 s[2:3], s[18:19], s[14:15]
	s_mov_b32 s2, 0
	s_cmp_lg_u64 s[2:3], 0
	s_cbranch_scc0 .LBB30_50
; %bb.36:
	s_add_u32 s2, s14, s15
	s_mov_b32 s24, s15
	s_mov_b32 s25, s15
	s_addc_u32 s3, s15, s15
	s_xor_b64 s[26:27], s[2:3], s[24:25]
	v_cvt_f32_u32_e32 v10, s26
	v_cvt_f32_u32_e32 v11, s27
	s_sub_u32 s2, 0, s26
	s_subb_u32 s3, 0, s27
	v_madmk_f32 v10, v11, 0x4f800000, v10
	v_rcp_f32_e32 v10, v10
	v_mul_f32_e32 v10, 0x5f7ffffc, v10
	v_mul_f32_e32 v11, 0x2f800000, v10
	v_trunc_f32_e32 v11, v11
	v_madmk_f32 v10, v11, 0xcf800000, v10
	v_cvt_u32_f32_e32 v11, v11
	v_cvt_u32_f32_e32 v10, v10
	v_readfirstlane_b32 s12, v11
	v_readfirstlane_b32 s15, v10
	s_mul_i32 s28, s2, s12
	s_mul_hi_u32 s30, s2, s15
	s_mul_i32 s29, s3, s15
	s_add_i32 s28, s30, s28
	s_add_i32 s28, s28, s29
	s_mul_i32 s31, s2, s15
	s_mul_hi_u32 s29, s15, s28
	s_mul_i32 s30, s15, s28
	s_mul_hi_u32 s15, s15, s31
	s_add_u32 s15, s15, s30
	s_addc_u32 s29, 0, s29
	s_mul_hi_u32 s33, s12, s31
	s_mul_i32 s31, s12, s31
	s_add_u32 s15, s15, s31
	s_mul_hi_u32 s30, s12, s28
	s_addc_u32 s15, s29, s33
	s_addc_u32 s29, s30, 0
	s_mul_i32 s28, s12, s28
	s_add_u32 s15, s15, s28
	s_addc_u32 s28, 0, s29
	v_add_co_u32_e32 v10, vcc, s15, v10
	s_cmp_lg_u64 vcc, 0
	s_addc_u32 s12, s12, s28
	v_readfirstlane_b32 s28, v10
	s_mul_i32 s15, s2, s12
	s_mul_hi_u32 s29, s2, s28
	s_add_i32 s15, s29, s15
	s_mul_i32 s3, s3, s28
	s_add_i32 s15, s15, s3
	s_mul_i32 s2, s2, s28
	s_mul_hi_u32 s29, s12, s2
	s_mul_i32 s30, s12, s2
	s_mul_i32 s33, s28, s15
	s_mul_hi_u32 s2, s28, s2
	s_mul_hi_u32 s31, s28, s15
	s_add_u32 s2, s2, s33
	s_addc_u32 s28, 0, s31
	s_add_u32 s2, s2, s30
	s_mul_hi_u32 s3, s12, s15
	s_addc_u32 s2, s28, s29
	s_addc_u32 s3, s3, 0
	s_mul_i32 s15, s12, s15
	s_add_u32 s2, s2, s15
	s_addc_u32 s3, 0, s3
	v_add_co_u32_e32 v10, vcc, s2, v10
	s_cmp_lg_u64 vcc, 0
	s_addc_u32 s12, s12, s3
	s_ashr_i32 s28, s19, 31
	s_add_u32 s2, s18, s28
	s_mov_b32 s29, s28
	s_addc_u32 s3, s19, s28
	s_xor_b64 s[30:31], s[2:3], s[28:29]
	v_readfirstlane_b32 s15, v10
	s_mul_i32 s3, s30, s12
	s_mul_hi_u32 s19, s30, s15
	s_mul_hi_u32 s2, s30, s12
	s_add_u32 s3, s19, s3
	s_addc_u32 s2, 0, s2
	s_mul_hi_u32 s33, s31, s15
	s_mul_i32 s15, s31, s15
	s_add_u32 s3, s3, s15
	s_mul_hi_u32 s19, s31, s12
	s_addc_u32 s2, s2, s33
	s_addc_u32 s3, s19, 0
	s_mul_i32 s12, s31, s12
	s_add_u32 s12, s2, s12
	s_addc_u32 s15, 0, s3
	s_mul_i32 s2, s26, s15
	s_mul_hi_u32 s3, s26, s12
	s_add_i32 s2, s3, s2
	s_mul_i32 s3, s27, s12
	s_add_i32 s19, s2, s3
	s_mul_i32 s3, s26, s12
	v_mov_b32_e32 v10, s3
	s_sub_i32 s2, s31, s19
	v_sub_co_u32_e32 v10, vcc, s30, v10
	s_cmp_lg_u64 vcc, 0
	s_subb_u32 s30, s2, s27
	v_subrev_co_u32_e64 v11, s[2:3], s26, v10
	s_cmp_lg_u64 s[2:3], 0
	s_subb_u32 s30, s30, 0
	s_cmp_ge_u32 s30, s27
	s_cselect_b32 s33, -1, 0
	v_cmp_le_u32_e64 s[2:3], s26, v11
	s_cmp_eq_u32 s30, s27
	v_cndmask_b32_e64 v11, 0, -1, s[2:3]
	v_mov_b32_e32 v16, s33
	s_cselect_b64 s[2:3], -1, 0
	v_cndmask_b32_e64 v11, v16, v11, s[2:3]
	s_add_u32 s2, s12, 1
	s_addc_u32 s30, s15, 0
	s_add_u32 s3, s12, 2
	s_addc_u32 s33, s15, 0
	v_mov_b32_e32 v16, s2
	v_mov_b32_e32 v17, s3
	v_cmp_ne_u32_e64 s[2:3], 0, v11
	v_cndmask_b32_e64 v11, v16, v17, s[2:3]
	v_mov_b32_e32 v16, s30
	v_mov_b32_e32 v17, s33
	s_cmp_lg_u64 vcc, 0
	v_cndmask_b32_e64 v16, v16, v17, s[2:3]
	s_subb_u32 s2, s31, s19
	s_cmp_ge_u32 s2, s27
	s_cselect_b32 s3, -1, 0
	v_cmp_le_u32_e32 vcc, s26, v10
	s_cmp_eq_u32 s2, s27
	v_cndmask_b32_e64 v10, 0, -1, vcc
	v_mov_b32_e32 v17, s3
	s_cselect_b64 vcc, -1, 0
	v_cndmask_b32_e32 v10, v17, v10, vcc
	v_mov_b32_e32 v17, s15
	v_cmp_ne_u32_e32 vcc, 0, v10
	v_cndmask_b32_e32 v10, v17, v16, vcc
	v_mov_b32_e32 v16, s12
	v_cndmask_b32_e32 v11, v16, v11, vcc
	s_xor_b64 s[2:3], s[28:29], s[24:25]
	v_xor_b32_e32 v11, s2, v11
	v_xor_b32_e32 v16, s3, v10
	v_mov_b32_e32 v17, s3
	v_subrev_co_u32_e32 v10, vcc, s2, v11
	v_subb_co_u32_e32 v11, vcc, v16, v17, vcc
	s_cbranch_execnz .LBB30_38
.LBB30_37:
	v_cvt_f32_u32_e32 v10, s14
	s_sub_i32 s2, 0, s14
	s_mov_b32 s3, 0
	v_rcp_iflag_f32_e32 v10, v10
	v_mul_f32_e32 v10, 0x4f7ffffe, v10
	v_cvt_u32_f32_e32 v10, v10
	v_readfirstlane_b32 s12, v10
	s_mul_i32 s2, s2, s12
	s_mul_hi_u32 s2, s12, s2
	s_add_i32 s12, s12, s2
	s_mul_hi_u32 s2, s18, s12
	s_mul_i32 s15, s2, s14
	s_sub_i32 s15, s18, s15
	s_add_i32 s12, s2, 1
	s_sub_i32 s18, s15, s14
	s_cmp_ge_u32 s15, s14
	s_cselect_b32 s2, s12, s2
	s_cselect_b32 s15, s18, s15
	s_add_i32 s12, s2, 1
	s_cmp_ge_u32 s15, s14
	s_cselect_b32 s2, s12, s2
	v_pk_mov_b32 v[10:11], s[2:3], s[2:3] op_sel:[0,1]
.LBB30_38:
	v_add_co_u32_e32 v10, vcc, v10, v15
	v_addc_co_u32_e32 v11, vcc, 0, v11, vcc
	s_branch .LBB30_41
.LBB30_39:
                                        ; implicit-def: $vgpr10_vgpr11
	s_cbranch_execz .LBB30_41
; %bb.40:
	v_mul_lo_u32 v10, v15, s8
	v_ashrrev_i32_e32 v11, 31, v10
	v_mov_b32_e32 v15, s7
	v_add_co_u32_e32 v10, vcc, s6, v10
	v_addc_co_u32_e32 v11, vcc, v11, v15, vcc
.LBB30_41:
	s_mov_b64 s[2:3], exec
.LBB30_42:
	s_or_b64 exec, exec, s[10:11]
	s_and_b64 vcc, exec, s[4:5]
	s_cbranch_vccz .LBB30_46
.LBB30_43:
	v_mov_b32_dpp v10, v12 quad_perm:[1,0,3,2] row_mask:0xf bank_mask:0xf
	v_cmp_gt_f32_e32 vcc, v12, v10
	v_cndmask_b32_e32 v10, v10, v12, vcc
	s_nop 1
	v_mov_b32_dpp v11, v10 quad_perm:[2,3,0,1] row_mask:0xf bank_mask:0xf
	v_cmp_gt_f32_e32 vcc, v10, v11
	v_cndmask_b32_e32 v10, v11, v10, vcc
	s_nop 1
	v_mov_b32_dpp v11, v10 row_half_mirror row_mask:0xf bank_mask:0xf
	v_cmp_gt_f32_e32 vcc, v10, v11
	v_cndmask_b32_e32 v10, v11, v10, vcc
	s_nop 1
	v_mov_b32_dpp v11, v10 row_mirror row_mask:0xf bank_mask:0xf
	v_cmp_gt_f32_e32 vcc, v10, v11
	v_cndmask_b32_e32 v10, v11, v10, vcc
	s_nop 1
	v_mov_b32_dpp v11, v10 row_bcast:15 row_mask:0xf bank_mask:0xf
	v_cmp_gt_f32_e32 vcc, v10, v11
	v_cndmask_b32_e32 v10, v11, v10, vcc
	s_nop 1
	v_mov_b32_dpp v11, v10 row_bcast:31 row_mask:0xf bank_mask:0xf
	s_and_saveexec_b64 s[2:3], s[0:1]
	s_cbranch_execz .LBB30_45
; %bb.44:
	v_lshrrev_b32_e32 v12, 4, v0
	v_cmp_gt_f32_e32 vcc, v10, v11
	v_and_b32_e32 v12, 60, v12
	v_cndmask_b32_e32 v10, v11, v10, vcc
	ds_write_b32 v12, v10
.LBB30_45:
	s_or_b64 exec, exec, s[2:3]
	s_waitcnt lgkmcnt(0)
	s_barrier
	ds_read_b32 v10, v14
	v_cmp_eq_u32_e64 s[2:3], 0, v0
	s_waitcnt lgkmcnt(0)
	v_mov_b32_dpp v11, v10 quad_perm:[1,0,3,2] row_mask:0xf bank_mask:0xf
	v_cmp_gt_f32_e32 vcc, v10, v11
	v_cndmask_b32_e32 v10, v11, v10, vcc
	s_nop 1
	v_mov_b32_dpp v11, v10 quad_perm:[2,3,0,1] row_mask:0xf bank_mask:0xf
	v_cmp_gt_f32_e32 vcc, v10, v11
	v_cndmask_b32_e32 v10, v11, v10, vcc
	s_nop 1
	v_mov_b32_dpp v11, v10 row_half_mirror row_mask:0xf bank_mask:0xf
	v_cmp_gt_f32_e32 vcc, v10, v11
	v_cndmask_b32_e32 v10, v11, v10, vcc
	s_nop 1
	v_mov_b32_dpp v11, v10 row_mirror row_mask:0xf bank_mask:0xf
	v_cmp_gt_f32_e32 vcc, v10, v11
	v_cndmask_b32_e32 v10, v11, v10, vcc
	v_mul_f32_e32 v13, 0x3b124925, v10
	v_pk_mov_b32 v[10:11], s[6:7], s[6:7] op_sel:[0,1]
.LBB30_46:
	s_and_saveexec_b64 s[0:1], s[2:3]
	s_cbranch_execz .LBB30_48
; %bb.47:
	v_lshlrev_b64 v[10:11], 2, v[10:11]
	v_mov_b32_e32 v0, s21
	v_add_co_u32_e32 v10, vcc, s20, v10
	v_addc_co_u32_e32 v11, vcc, v0, v11, vcc
	global_store_dword v[10:11], v13, off
.LBB30_48:
	s_or_b64 exec, exec, s[0:1]
	s_add_i32 s0, s9, 3
	;;#ASMSTART
	v_rcp_f32 v10, v13
	;;#ASMEND
	v_mov_b32_e32 v11, v10
	;;#ASMSTART
	v_pk_mul_f32 v[8:9], v[8:9], v[10:11]
	;;#ASMEND
	s_ashr_i32 s1, s0, 31
	v_mov_b32_e32 v0, 0xc3e00000
	v_mov_b32_e32 v12, 0x43e00000
	;;#ASMSTART
	v_med3_f32 v8, v8, v0, v12
v_med3_f32 v9, v9, v0, v12
v_cvt_pk_fp8_f32 v13, v8, v9
	;;#ASMEND
	;;#ASMSTART
	v_pk_mul_f32 v[6:7], v[6:7], v[10:11]
	;;#ASMEND
	s_lshr_b32 s1, s1, 30
	;;#ASMSTART
	v_med3_f32 v6, v6, v0, v12
v_med3_f32 v7, v7, v0, v12
v_cvt_pk_fp8_f32 v8, v6, v7
	;;#ASMEND
	s_mov_b32 s5, 0x5040100
	s_add_i32 s0, s0, s1
	v_perm_b32 v7, v8, v13, s5
	s_movk_i32 s5, 0xff
	s_and_b32 s2, s0, -4
	s_ashr_i32 s0, s13, 31
	v_and_b32_e32 v6, 0xffffff00, v8
	v_and_b32_sdwa v8, v7, s5 dst_sel:DWORD dst_unused:UNUSED_PAD src0_sel:WORD_1 src1_sel:DWORD
	s_mul_hi_u32 s1, s13, s6
	s_mul_i32 s0, s0, s6
	s_mov_b32 s4, 0xffff
	v_or_b32_sdwa v6, v8, v6 dst_sel:WORD_1 dst_unused:UNUSED_PAD src0_sel:DWORD src1_sel:DWORD
	;;#ASMSTART
	v_pk_mul_f32 v[4:5], v[4:5], v[10:11]
	;;#ASMEND
	s_add_i32 s1, s1, s0
	s_mul_i32 s0, s13, s6
	v_and_or_b32 v6, v7, s4, v6
	;;#ASMSTART
	v_med3_f32 v4, v4, v0, v12
v_med3_f32 v5, v5, v0, v12
v_cvt_pk_fp8_f32 v7, v4, v5
	;;#ASMEND
	;;#ASMSTART
	v_pk_mul_f32 v[2:3], v[2:3], v[10:11]
	;;#ASMEND
	s_add_u32 s0, s16, s0
	;;#ASMSTART
	v_med3_f32 v2, v2, v0, v12
v_med3_f32 v3, v3, v0, v12
v_cvt_pk_fp8_f32 v0, v2, v3
	;;#ASMEND
	s_addc_u32 s1, s17, s1
	v_lshlrev_b32_e32 v0, 16, v0
	s_and_b32 s1, s1, 0xffff
	s_mov_b32 s3, 0x20000
	v_and_or_b32 v7, v7, s4, v0
	buffer_store_dwordx2 v[6:7], v1, s[0:3], 0 offen
	;;#ASMSTART
	s_nop 0
	;;#ASMEND
.LBB30_49:
	s_endpgm
.LBB30_50:
                                        ; implicit-def: $vgpr10_vgpr11
	s_branch .LBB30_37
	.section	.rodata,"a",@progbits
	.p2align	6, 0x0
	.amdhsa_kernel _ZN5aiter24add_rmsnorm_quant_kernelItDB8_Li1024ELi8ELb1ELb1ELb1ELi1EEEvPT0_PT_PfS5_S5_S5_diiiiiiib
		.amdhsa_group_segment_fixed_size 128
		.amdhsa_private_segment_fixed_size 0
		.amdhsa_kernarg_size 88
		.amdhsa_user_sgpr_count 6
		.amdhsa_user_sgpr_private_segment_buffer 1
		.amdhsa_user_sgpr_dispatch_ptr 0
		.amdhsa_user_sgpr_queue_ptr 0
		.amdhsa_user_sgpr_kernarg_segment_ptr 1
		.amdhsa_user_sgpr_dispatch_id 0
		.amdhsa_user_sgpr_flat_scratch_init 0
		.amdhsa_user_sgpr_kernarg_preload_length 0
		.amdhsa_user_sgpr_kernarg_preload_offset 0
		.amdhsa_user_sgpr_private_segment_size 0
		.amdhsa_uses_dynamic_stack 0
		.amdhsa_system_sgpr_private_segment_wavefront_offset 0
		.amdhsa_system_sgpr_workgroup_id_x 1
		.amdhsa_system_sgpr_workgroup_id_y 0
		.amdhsa_system_sgpr_workgroup_id_z 0
		.amdhsa_system_sgpr_workgroup_info 0
		.amdhsa_system_vgpr_workitem_id 0
		.amdhsa_next_free_vgpr 27
		.amdhsa_next_free_sgpr 40
		.amdhsa_accum_offset 28
		.amdhsa_reserve_vcc 1
		.amdhsa_reserve_flat_scratch 0
		.amdhsa_float_round_mode_32 0
		.amdhsa_float_round_mode_16_64 0
		.amdhsa_float_denorm_mode_32 3
		.amdhsa_float_denorm_mode_16_64 3
		.amdhsa_dx10_clamp 1
		.amdhsa_ieee_mode 1
		.amdhsa_fp16_overflow 0
		.amdhsa_tg_split 0
		.amdhsa_exception_fp_ieee_invalid_op 0
		.amdhsa_exception_fp_denorm_src 0
		.amdhsa_exception_fp_ieee_div_zero 0
		.amdhsa_exception_fp_ieee_overflow 0
		.amdhsa_exception_fp_ieee_underflow 0
		.amdhsa_exception_fp_ieee_inexact 0
		.amdhsa_exception_int_div_zero 0
	.end_amdhsa_kernel
	.section	.text._ZN5aiter24add_rmsnorm_quant_kernelItDB8_Li1024ELi8ELb1ELb1ELb1ELi1EEEvPT0_PT_PfS5_S5_S5_diiiiiiib,"axG",@progbits,_ZN5aiter24add_rmsnorm_quant_kernelItDB8_Li1024ELi8ELb1ELb1ELb1ELi1EEEvPT0_PT_PfS5_S5_S5_diiiiiiib,comdat
.Lfunc_end30:
	.size	_ZN5aiter24add_rmsnorm_quant_kernelItDB8_Li1024ELi8ELb1ELb1ELb1ELi1EEEvPT0_PT_PfS5_S5_S5_diiiiiiib, .Lfunc_end30-_ZN5aiter24add_rmsnorm_quant_kernelItDB8_Li1024ELi8ELb1ELb1ELb1ELi1EEEvPT0_PT_PfS5_S5_S5_diiiiiiib
                                        ; -- End function
	.section	.AMDGPU.csdata,"",@progbits
; Kernel info:
; codeLenInByte = 3476
; NumSgprs: 44
; NumVgprs: 27
; NumAgprs: 0
; TotalNumVgprs: 27
; ScratchSize: 0
; MemoryBound: 0
; FloatMode: 240
; IeeeMode: 1
; LDSByteSize: 128 bytes/workgroup (compile time only)
; SGPRBlocks: 5
; VGPRBlocks: 3
; NumSGPRsForWavesPerEU: 44
; NumVGPRsForWavesPerEU: 27
; AccumOffset: 28
; Occupancy: 8
; WaveLimiterHint : 0
; COMPUTE_PGM_RSRC2:SCRATCH_EN: 0
; COMPUTE_PGM_RSRC2:USER_SGPR: 6
; COMPUTE_PGM_RSRC2:TRAP_HANDLER: 0
; COMPUTE_PGM_RSRC2:TGID_X_EN: 1
; COMPUTE_PGM_RSRC2:TGID_Y_EN: 0
; COMPUTE_PGM_RSRC2:TGID_Z_EN: 0
; COMPUTE_PGM_RSRC2:TIDIG_COMP_CNT: 0
; COMPUTE_PGM_RSRC3_GFX90A:ACCUM_OFFSET: 6
; COMPUTE_PGM_RSRC3_GFX90A:TG_SPLIT: 0
	.section	.text._ZN5aiter24add_rmsnorm_quant_kernelIDF16_DB8_Li1024ELi8ELb1ELb1ELb0ELi1EEEvPT0_PT_PfS5_S5_S5_diiiiiiib,"axG",@progbits,_ZN5aiter24add_rmsnorm_quant_kernelIDF16_DB8_Li1024ELi8ELb1ELb1ELb0ELi1EEEvPT0_PT_PfS5_S5_S5_diiiiiiib,comdat
	.protected	_ZN5aiter24add_rmsnorm_quant_kernelIDF16_DB8_Li1024ELi8ELb1ELb1ELb0ELi1EEEvPT0_PT_PfS5_S5_S5_diiiiiiib ; -- Begin function _ZN5aiter24add_rmsnorm_quant_kernelIDF16_DB8_Li1024ELi8ELb1ELb1ELb0ELi1EEEvPT0_PT_PfS5_S5_S5_diiiiiiib
	.globl	_ZN5aiter24add_rmsnorm_quant_kernelIDF16_DB8_Li1024ELi8ELb1ELb1ELb0ELi1EEEvPT0_PT_PfS5_S5_S5_diiiiiiib
	.p2align	8
	.type	_ZN5aiter24add_rmsnorm_quant_kernelIDF16_DB8_Li1024ELi8ELb1ELb1ELb0ELi1EEEvPT0_PT_PfS5_S5_S5_diiiiiiib,@function
_ZN5aiter24add_rmsnorm_quant_kernelIDF16_DB8_Li1024ELi8ELb1ELb1ELb0ELi1EEEvPT0_PT_PfS5_S5_S5_diiiiiiib: ; @_ZN5aiter24add_rmsnorm_quant_kernelIDF16_DB8_Li1024ELi8ELb1ELb1ELb0ELi1EEEvPT0_PT_PfS5_S5_S5_diiiiiiib
; %bb.0:
	s_load_dwordx8 s[8:15], s[4:5], 0x38
	s_mov_b32 s7, 0
	s_waitcnt lgkmcnt(0)
	s_ashr_i32 s0, s8, 31
	v_mov_b32_e32 v2, s8
	v_mov_b32_e32 v3, s0
	v_cmp_ge_i64_e32 vcc, s[6:7], v[2:3]
	s_cbranch_vccnz .LBB31_49
; %bb.1:
	s_load_dwordx8 s[16:23], s[4:5], 0x0
	s_load_dwordx8 s[24:31], s[4:5], 0x20
	s_ashr_i32 s0, s10, 31
	s_mul_hi_u32 s1, s10, s6
	s_mul_i32 s0, s0, s6
	s_add_i32 s1, s1, s0
	s_mul_i32 s0, s10, s6
	s_lshl_b64 s[0:1], s[0:1], 1
	s_waitcnt lgkmcnt(0)
	s_add_u32 s0, s22, s0
	s_addc_u32 s1, s23, s1
	s_add_i32 s2, s9, 1
	s_lshr_b32 s3, s2, 31
	s_add_i32 s2, s2, s3
	s_lshl_b32 s2, s2, 1
	s_and_b32 s2, s2, -4
	s_and_b32 s1, s1, 0xffff
	s_mov_b32 s3, 0x20000
	v_lshlrev_b32_e32 v1, 4, v0
	buffer_load_dwordx4 v[6:9], v1, s[0:3], 0 offen glc slc
	s_ashr_i32 s0, s11, 31
	s_mul_hi_u32 s1, s11, s6
	s_mul_i32 s0, s0, s6
	s_add_i32 s1, s1, s0
	s_mul_i32 s0, s11, s6
	s_and_b32 s37, s27, 0xffff
	s_lshl_b64 s[0:1], s[0:1], 1
	s_add_u32 s0, s24, s0
	s_addc_u32 s1, s25, s1
	s_and_b32 s1, s1, 0xffff
	buffer_load_dwordx4 v[10:13], v1, s[0:3], 0 offen glc slc
	s_mov_b32 s39, s3
	s_mov_b32 s36, s26
	s_mov_b32 s38, s2
	buffer_load_dwordx4 v[2:5], v1, s[36:39], 0 offen
	s_ashr_i32 s4, s12, 31
	s_mul_hi_u32 s1, s12, s6
	s_mul_i32 s4, s4, s6
	s_mul_i32 s0, s12, s6
	s_add_i32 s1, s1, s4
	s_lshl_b64 s[0:1], s[0:1], 1
	s_add_u32 s0, s18, s0
	s_addc_u32 s1, s19, s1
	s_and_b32 s1, s1, 0xffff
	v_and_b32_e32 v24, 63, v0
	s_waitcnt vmcnt(2)
	v_cvt_f32_f16_e32 v14, v6
	v_cvt_f32_f16_sdwa v15, v6 dst_sel:DWORD dst_unused:UNUSED_PAD src0_sel:WORD_1
	v_cvt_f32_f16_e32 v6, v7
	v_cvt_f32_f16_sdwa v7, v7 dst_sel:DWORD dst_unused:UNUSED_PAD src0_sel:WORD_1
	;; [unrolled: 2-line block ×4, first 2 shown]
	s_waitcnt vmcnt(1)
	v_cvt_f32_f16_e32 v8, v10
	v_cvt_f32_f16_sdwa v9, v10 dst_sel:DWORD dst_unused:UNUSED_PAD src0_sel:WORD_1
	v_cvt_f32_f16_e32 v10, v11
	v_cvt_f32_f16_sdwa v11, v11 dst_sel:DWORD dst_unused:UNUSED_PAD src0_sel:WORD_1
	;; [unrolled: 2-line block ×4, first 2 shown]
	v_pk_add_f32 v[12:13], v[14:15], v[8:9]
	v_pk_add_f32 v[10:11], v[6:7], v[10:11]
	v_pk_add_f32 v[8:9], v[16:17], v[20:21]
	v_pk_add_f32 v[6:7], v[18:19], v[22:23]
	v_cvt_f16_f32_e32 v22, v13
	v_cvt_f16_f32_e32 v23, v12
	;; [unrolled: 1-line block ×8, first 2 shown]
	v_pk_mul_f32 v[14:15], v[12:13], v[12:13]
	v_pk_mul_f32 v[16:17], v[10:11], v[10:11]
	v_add_f32_e32 v14, v14, v15
	v_add_f32_e32 v14, v16, v14
	v_pk_mul_f32 v[18:19], v[8:9], v[8:9]
	v_add_f32_e32 v31, v17, v14
	v_pack_b32_f16 v17, v30, v29
	v_pack_b32_f16 v16, v28, v27
	;; [unrolled: 1-line block ×4, first 2 shown]
	v_add_f32_e32 v18, v18, v31
	v_pk_mul_f32 v[20:21], v[6:7], v[6:7]
	buffer_store_dwordx4 v[14:17], v1, s[0:3], 0 offen glc slc
	v_add_f32_e32 v1, v19, v18
	v_add_f32_e32 v1, v20, v1
	;; [unrolled: 1-line block ×3, first 2 shown]
	v_cmp_eq_u32_e64 s[0:1], 63, v24
	;;#ASMSTART
	s_nop 0
	;;#ASMEND
	s_nop 0
	v_mov_b32_dpp v14, v1 quad_perm:[1,0,3,2] row_mask:0xf bank_mask:0xf
	v_add_f32_e32 v1, v1, v14
	s_nop 1
	v_mov_b32_dpp v14, v1 quad_perm:[2,3,0,1] row_mask:0xf bank_mask:0xf
	v_add_f32_e32 v1, v1, v14
	s_nop 1
	v_mov_b32_dpp v14, v1 row_half_mirror row_mask:0xf bank_mask:0xf
	v_add_f32_e32 v1, v1, v14
	s_nop 1
	v_mov_b32_dpp v14, v1 row_mirror row_mask:0xf bank_mask:0xf
	v_add_f32_e32 v1, v1, v14
	s_nop 1
	v_mov_b32_dpp v14, v1 row_bcast:15 row_mask:0xf bank_mask:0xf
	v_add_f32_e32 v1, v1, v14
	s_nop 1
	v_mov_b32_dpp v14, v1 row_bcast:31 row_mask:0xf bank_mask:0xf
	s_and_saveexec_b64 s[2:3], s[0:1]
	s_cbranch_execz .LBB31_3
; %bb.2:
	v_lshrrev_b32_e32 v15, 4, v0
	v_and_b32_e32 v15, 60, v15
	v_add_f32_e32 v1, v1, v14
	ds_write_b32 v15, v1 offset:64
.LBB31_3:
	s_or_b64 exec, exec, s[2:3]
	v_and_b32_e32 v1, 15, v0
	v_lshlrev_b32_e32 v14, 2, v1
	s_waitcnt lgkmcnt(0)
	s_barrier
	ds_read_b32 v1, v14 offset:64
	v_cvt_f32_i32_e32 v15, s9
	s_waitcnt vmcnt(1)
	v_cvt_f32_f16_sdwa v21, v3 dst_sel:DWORD dst_unused:UNUSED_PAD src0_sel:WORD_1
	v_cvt_f32_f16_sdwa v23, v5 dst_sel:DWORD dst_unused:UNUSED_PAD src0_sel:WORD_1
	v_cvt_f32_f16_e32 v22, v5
	s_waitcnt lgkmcnt(0)
	v_mov_b32_dpp v16, v1 quad_perm:[1,0,3,2] row_mask:0xf bank_mask:0xf
	v_add_f32_e32 v1, v1, v16
	s_cmp_lg_u32 s14, 0
	s_nop 0
	v_mov_b32_dpp v16, v1 quad_perm:[2,3,0,1] row_mask:0xf bank_mask:0xf
	v_add_f32_e32 v1, v1, v16
	s_nop 1
	v_mov_b32_dpp v16, v1 row_half_mirror row_mask:0xf bank_mask:0xf
	v_add_f32_e32 v1, v1, v16
	s_nop 1
	v_mov_b32_dpp v16, v1 row_mirror row_mask:0xf bank_mask:0xf
	v_add_f32_e32 v1, v1, v16
	v_div_scale_f32 v16, s[2:3], v15, v15, v1
	v_rcp_f32_e32 v17, v16
	v_div_scale_f32 v18, vcc, v1, v15, v1
	s_mov_b32 s2, 0x800000
	v_fma_f32 v19, -v16, v17, 1.0
	v_fmac_f32_e32 v17, v19, v17
	v_mul_f32_e32 v19, v18, v17
	v_fma_f32 v20, -v16, v19, v18
	v_fmac_f32_e32 v19, v20, v17
	v_fma_f32 v16, -v16, v19, v18
	v_div_fmas_f32 v16, v16, v17, v19
	v_div_fixup_f32 v1, v16, v15, v1
	v_cvt_f64_f32_e32 v[16:17], v1
	v_add_f64 v[16:17], v[16:17], s[28:29]
	v_cvt_f32_f64_e32 v1, v[16:17]
	v_mul_f32_e32 v15, 0x4b800000, v1
	v_cmp_gt_f32_e32 vcc, s2, v1
	v_cndmask_b32_e32 v1, v1, v15, vcc
	v_rsq_f32_e32 v15, v1
	v_cvt_f32_f16_e32 v20, v3
	v_cvt_f32_f16_sdwa v3, v4 dst_sel:DWORD dst_unused:UNUSED_PAD src0_sel:WORD_1
	v_lshlrev_b32_e32 v1, 3, v0
	v_mul_f32_e32 v16, 0x45800000, v15
	v_cndmask_b32_e32 v16, v15, v16, vcc
	v_mov_b32_e32 v17, v16
	;;#ASMSTART
	v_pk_mul_f32 v[12:13], v[12:13], v[16:17]
	;;#ASMEND
	;;#ASMSTART
	v_pk_mul_f32 v[10:11], v[10:11], v[16:17]
	;;#ASMEND
	;; [unrolled: 3-line block ×4, first 2 shown]
	v_cvt_f32_f16_sdwa v7, v2 dst_sel:DWORD dst_unused:UNUSED_PAD src0_sel:WORD_1
	v_cvt_f32_f16_e32 v6, v2
	v_cvt_f32_f16_e32 v2, v4
	;;#ASMSTART
	v_pk_mul_f32 v[8:9], v[12:13], v[6:7]
	;;#ASMEND
	;;#ASMSTART
	v_pk_mul_f32 v[6:7], v[10:11], v[20:21]
	;;#ASMEND
	v_and_b32_e32 v10, 0x7fffffff, v8
	v_mov_b32_e32 v12, 0x2edbe6ff
	;;#ASMSTART
	v_pk_mul_f32 v[4:5], v[18:19], v[2:3]
	;;#ASMEND
	;;#ASMSTART
	v_pk_mul_f32 v[2:3], v[16:17], v[22:23]
	;;#ASMEND
	v_and_b32_e32 v11, 0x7fffffff, v9
	;;#ASMSTART
	v_max3_f32 v10, v12, v10, v11

	;;#ASMEND
	v_and_b32_e32 v12, 0x7fffffff, v7
	v_and_b32_e32 v11, 0x7fffffff, v6
	;;#ASMSTART
	v_max3_f32 v10, v10, v11, v12

	;;#ASMEND
	v_and_b32_e32 v12, 0x7fffffff, v5
	;; [unrolled: 6-line block ×3, first 2 shown]
	v_and_b32_e32 v11, 0x7fffffff, v2
	;;#ASMSTART
	v_max3_f32 v12, v10, v11, v12

	;;#ASMEND
	s_cbranch_scc0 .LBB31_10
; %bb.4:
	s_ashr_i32 s12, s14, 31
	s_lshr_b32 s2, s12, 29
	s_add_i32 s2, s14, s2
	s_ashr_i32 s10, s2, 3
	s_cmp_lt_i32 s10, 16
	s_cbranch_scc1 .LBB31_11
; %bb.5:
	s_cmp_lt_i32 s10, 32
	s_cbranch_scc1 .LBB31_12
; %bb.6:
	;; [unrolled: 3-line block ×3, first 2 shown]
	s_cmp_eq_u32 s10, 64
	v_mov_b32_e32 v10, v12
	s_cbranch_scc0 .LBB31_9
; %bb.8:
	s_nop 0
	v_mov_b32_dpp v10, v12 quad_perm:[1,0,3,2] row_mask:0xf bank_mask:0xf
	v_cmp_gt_f32_e32 vcc, v12, v10
	v_cndmask_b32_e32 v10, v10, v12, vcc
	v_bfrev_b32_e32 v13, 0.5
	s_nop 0
	v_mov_b32_dpp v11, v10 quad_perm:[2,3,0,1] row_mask:0xf bank_mask:0xf
	v_cmp_gt_f32_e32 vcc, v10, v11
	v_cndmask_b32_e32 v10, v11, v10, vcc
	s_nop 1
	v_mov_b32_dpp v11, v10 row_ror:4 row_mask:0xf bank_mask:0xf
	v_cmp_gt_f32_e32 vcc, v10, v11
	v_cndmask_b32_e32 v10, v11, v10, vcc
	s_nop 1
	v_mov_b32_dpp v11, v10 row_ror:8 row_mask:0xf bank_mask:0xf
	v_cmp_gt_f32_e32 vcc, v10, v11
	v_cndmask_b32_e32 v10, v11, v10, vcc
	s_nop 1
	v_mov_b32_dpp v11, v10 row_bcast:15 row_mask:0xf bank_mask:0xf
	v_cmp_gt_f32_e32 vcc, v10, v11
	v_cndmask_b32_e32 v10, v11, v10, vcc
	s_nop 1
	v_mov_b32_dpp v11, v10 row_bcast:31 row_mask:0xf bank_mask:0xf
	v_cmp_gt_f32_e32 vcc, v10, v11
	v_cndmask_b32_e32 v10, v11, v10, vcc
	v_mbcnt_lo_u32_b32 v11, -1, 0
	v_mbcnt_hi_u32_b32 v11, -1, v11
	v_lshl_or_b32 v11, v11, 2, v13
	ds_bpermute_b32 v10, v11, v10
.LBB31_9:
	s_mov_b64 s[2:3], 0
	s_branch .LBB31_14
.LBB31_10:
	s_mov_b64 s[2:3], 0
                                        ; implicit-def: $vgpr13
                                        ; implicit-def: $vgpr10_vgpr11
	s_cbranch_execnz .LBB31_43
	s_branch .LBB31_46
.LBB31_11:
                                        ; implicit-def: $vgpr10
	s_branch .LBB31_21
.LBB31_12:
                                        ; implicit-def: $vgpr10
	s_branch .LBB31_18
.LBB31_13:
	s_mov_b64 s[2:3], -1
                                        ; implicit-def: $vgpr10
.LBB31_14:
	s_andn2_b64 vcc, exec, s[2:3]
	s_cbranch_vccnz .LBB31_17
; %bb.15:
	s_cmp_eq_u32 s10, 32
	s_waitcnt lgkmcnt(0)
	v_mov_b32_e32 v10, v12
	s_cbranch_scc0 .LBB31_17
; %bb.16:
	s_nop 0
	v_mov_b32_dpp v10, v12 quad_perm:[1,0,3,2] row_mask:0xf bank_mask:0xf
	v_cmp_gt_f32_e32 vcc, v12, v10
	v_cndmask_b32_e32 v10, v10, v12, vcc
	v_mov_b32_e32 v13, 0x7c
	s_nop 0
	v_mov_b32_dpp v11, v10 quad_perm:[2,3,0,1] row_mask:0xf bank_mask:0xf
	v_cmp_gt_f32_e32 vcc, v10, v11
	v_cndmask_b32_e32 v10, v11, v10, vcc
	s_nop 1
	v_mov_b32_dpp v11, v10 row_half_mirror row_mask:0xf bank_mask:0xf
	v_cmp_gt_f32_e32 vcc, v10, v11
	v_cndmask_b32_e32 v10, v11, v10, vcc
	s_nop 1
	v_mov_b32_dpp v11, v10 row_mirror row_mask:0xf bank_mask:0xf
	v_cmp_gt_f32_e32 vcc, v10, v11
	v_cndmask_b32_e32 v10, v11, v10, vcc
	s_nop 1
	v_mov_b32_dpp v11, v10 row_bcast:15 row_mask:0xa bank_mask:0xf
	v_cmp_gt_f32_e32 vcc, v10, v11
	v_cndmask_b32_e32 v10, v11, v10, vcc
	v_mbcnt_lo_u32_b32 v11, -1, 0
	v_mbcnt_hi_u32_b32 v11, -1, v11
	v_lshl_or_b32 v11, v11, 2, v13
	ds_bpermute_b32 v10, v11, v10
.LBB31_17:
	s_cbranch_execnz .LBB31_20
.LBB31_18:
	s_cmp_eq_u32 s10, 16
	s_waitcnt lgkmcnt(0)
	v_mov_b32_e32 v10, v12
	s_cbranch_scc0 .LBB31_20
; %bb.19:
	s_nop 0
	v_mov_b32_dpp v10, v12 quad_perm:[1,0,3,2] row_mask:0xf bank_mask:0xf
	v_cmp_gt_f32_e32 vcc, v12, v10
	v_cndmask_b32_e32 v10, v10, v12, vcc
	s_nop 1
	v_mov_b32_dpp v11, v10 quad_perm:[2,3,0,1] row_mask:0xf bank_mask:0xf
	v_cmp_gt_f32_e32 vcc, v10, v11
	v_cndmask_b32_e32 v10, v11, v10, vcc
	s_nop 1
	v_mov_b32_dpp v11, v10 row_half_mirror row_mask:0xf bank_mask:0xf
	v_cmp_gt_f32_e32 vcc, v10, v11
	v_cndmask_b32_e32 v10, v11, v10, vcc
	s_nop 1
	v_mov_b32_dpp v11, v10 row_mirror row_mask:0xf bank_mask:0xf
	v_cmp_gt_f32_e32 vcc, v10, v11
	v_cndmask_b32_e32 v10, v11, v10, vcc
.LBB31_20:
	s_cbranch_execnz .LBB31_33
.LBB31_21:
	s_cmp_lt_i32 s10, 4
	s_cbranch_scc1 .LBB31_25
; %bb.22:
	s_cmp_lt_i32 s10, 8
	s_cbranch_scc1 .LBB31_26
; %bb.23:
	s_cmp_eq_u32 s10, 8
	s_waitcnt lgkmcnt(0)
	v_mov_b32_e32 v10, v12
	s_cbranch_scc0 .LBB31_27
; %bb.24:
	s_nop 0
	v_mov_b32_dpp v10, v12 quad_perm:[1,0,3,2] row_mask:0xf bank_mask:0xf
	v_cmp_gt_f32_e32 vcc, v12, v10
	v_cndmask_b32_e32 v10, v10, v12, vcc
	s_nop 1
	v_mov_b32_dpp v11, v10 quad_perm:[2,3,0,1] row_mask:0xf bank_mask:0xf
	v_cmp_gt_f32_e32 vcc, v10, v11
	v_cndmask_b32_e32 v10, v11, v10, vcc
	s_nop 1
	v_mov_b32_dpp v11, v10 row_half_mirror row_mask:0xf bank_mask:0xf
	v_cmp_gt_f32_e32 vcc, v10, v11
	v_cndmask_b32_e32 v10, v11, v10, vcc
	s_cbranch_execz .LBB31_28
	s_branch .LBB31_30
.LBB31_25:
                                        ; implicit-def: $vgpr10
	s_branch .LBB31_31
.LBB31_26:
                                        ; implicit-def: $vgpr10
	s_branch .LBB31_28
.LBB31_27:
	s_cbranch_execnz .LBB31_30
.LBB31_28:
	s_cmp_eq_u32 s10, 4
	s_waitcnt lgkmcnt(0)
	v_mov_b32_e32 v10, v12
	s_cbranch_scc0 .LBB31_30
; %bb.29:
	s_nop 0
	v_mov_b32_dpp v10, v12 quad_perm:[1,0,3,2] row_mask:0xf bank_mask:0xf
	v_cmp_gt_f32_e32 vcc, v12, v10
	v_cndmask_b32_e32 v10, v10, v12, vcc
	s_nop 1
	v_mov_b32_dpp v11, v10 quad_perm:[2,3,0,1] row_mask:0xf bank_mask:0xf
	v_cmp_gt_f32_e32 vcc, v10, v11
	v_cndmask_b32_e32 v10, v11, v10, vcc
.LBB31_30:
	s_cbranch_execnz .LBB31_33
.LBB31_31:
	s_cmp_lg_u32 s10, 2
	s_waitcnt lgkmcnt(0)
	v_mov_b32_e32 v10, v12
	s_cbranch_scc1 .LBB31_33
; %bb.32:
	s_nop 0
	v_mov_b32_dpp v10, v12 quad_perm:[1,0,3,2] row_mask:0xf bank_mask:0xf
	v_cmp_gt_f32_e32 vcc, v12, v10
	v_cndmask_b32_e32 v10, v10, v12, vcc
.LBB31_33:
	v_cvt_f32_u32_e32 v11, s10
	s_waitcnt lgkmcnt(0)
	v_mul_f32_e32 v13, 0x3b124925, v10
	s_sub_i32 s2, 0, s10
	v_cmp_gt_u32_e32 vcc, s9, v1
	v_rcp_iflag_f32_e32 v11, v11
	s_mov_b64 s[4:5], 0
	v_mul_f32_e32 v10, 0x4f7ffffe, v11
	v_cvt_u32_f32_e32 v10, v10
	v_mul_lo_u32 v11, s2, v10
	v_mul_hi_u32 v11, v10, v11
	v_add_u32_e32 v10, v10, v11
	v_mul_hi_u32 v10, v0, v10
	v_mul_lo_u32 v11, v10, s10
	v_sub_u32_e32 v11, v0, v11
	v_add_u32_e32 v15, 1, v10
	v_cmp_le_u32_e64 s[2:3], s10, v11
	v_cndmask_b32_e64 v10, v10, v15, s[2:3]
	v_subrev_u32_e32 v15, s10, v11
	v_cndmask_b32_e64 v11, v11, v15, s[2:3]
	v_add_u32_e32 v15, 1, v10
	v_cmp_le_u32_e64 s[2:3], s10, v11
	v_cndmask_b32_e64 v15, v10, v15, s[2:3]
	v_mul_lo_u32 v10, v15, s10
	v_sub_u32_e32 v10, v0, v10
	v_cmp_eq_u32_e64 s[2:3], 0, v10
	s_and_b64 s[10:11], s[2:3], vcc
	s_mov_b64 s[2:3], 0
                                        ; implicit-def: $vgpr10_vgpr11
	s_and_saveexec_b64 s[18:19], s[10:11]
	s_xor_b64 s[10:11], exec, s[18:19]
	s_cbranch_execz .LBB31_42
; %bb.34:
	s_bitcmp0_b32 s15, 0
	s_cbranch_scc0 .LBB31_39
; %bb.35:
	s_ashr_i32 s2, s9, 31
	s_mul_hi_u32 s3, s9, s6
	s_mul_i32 s2, s2, s6
	s_add_i32 s19, s3, s2
	s_mul_i32 s18, s9, s6
	s_mov_b32 s15, s12
	s_or_b64 s[2:3], s[18:19], s[14:15]
	s_mov_b32 s2, 0
	s_cmp_lg_u64 s[2:3], 0
	s_cbranch_scc0 .LBB31_50
; %bb.36:
	s_add_u32 s2, s14, s15
	s_mov_b32 s24, s15
	s_mov_b32 s25, s15
	s_addc_u32 s3, s15, s15
	s_xor_b64 s[26:27], s[2:3], s[24:25]
	v_cvt_f32_u32_e32 v10, s26
	v_cvt_f32_u32_e32 v11, s27
	s_sub_u32 s2, 0, s26
	s_subb_u32 s3, 0, s27
	v_madmk_f32 v10, v11, 0x4f800000, v10
	v_rcp_f32_e32 v10, v10
	v_mul_f32_e32 v10, 0x5f7ffffc, v10
	v_mul_f32_e32 v11, 0x2f800000, v10
	v_trunc_f32_e32 v11, v11
	v_madmk_f32 v10, v11, 0xcf800000, v10
	v_cvt_u32_f32_e32 v11, v11
	v_cvt_u32_f32_e32 v10, v10
	v_readfirstlane_b32 s12, v11
	v_readfirstlane_b32 s15, v10
	s_mul_i32 s28, s2, s12
	s_mul_hi_u32 s30, s2, s15
	s_mul_i32 s29, s3, s15
	s_add_i32 s28, s30, s28
	s_add_i32 s28, s28, s29
	s_mul_i32 s31, s2, s15
	s_mul_hi_u32 s29, s15, s28
	s_mul_i32 s30, s15, s28
	s_mul_hi_u32 s15, s15, s31
	s_add_u32 s15, s15, s30
	s_addc_u32 s29, 0, s29
	s_mul_hi_u32 s33, s12, s31
	s_mul_i32 s31, s12, s31
	s_add_u32 s15, s15, s31
	s_mul_hi_u32 s30, s12, s28
	s_addc_u32 s15, s29, s33
	s_addc_u32 s29, s30, 0
	s_mul_i32 s28, s12, s28
	s_add_u32 s15, s15, s28
	s_addc_u32 s28, 0, s29
	v_add_co_u32_e32 v10, vcc, s15, v10
	s_cmp_lg_u64 vcc, 0
	s_addc_u32 s12, s12, s28
	v_readfirstlane_b32 s28, v10
	s_mul_i32 s15, s2, s12
	s_mul_hi_u32 s29, s2, s28
	s_add_i32 s15, s29, s15
	s_mul_i32 s3, s3, s28
	s_add_i32 s15, s15, s3
	s_mul_i32 s2, s2, s28
	s_mul_hi_u32 s29, s12, s2
	s_mul_i32 s30, s12, s2
	s_mul_i32 s33, s28, s15
	s_mul_hi_u32 s2, s28, s2
	s_mul_hi_u32 s31, s28, s15
	s_add_u32 s2, s2, s33
	s_addc_u32 s28, 0, s31
	s_add_u32 s2, s2, s30
	s_mul_hi_u32 s3, s12, s15
	s_addc_u32 s2, s28, s29
	s_addc_u32 s3, s3, 0
	s_mul_i32 s15, s12, s15
	s_add_u32 s2, s2, s15
	s_addc_u32 s3, 0, s3
	v_add_co_u32_e32 v10, vcc, s2, v10
	s_cmp_lg_u64 vcc, 0
	s_addc_u32 s12, s12, s3
	s_ashr_i32 s28, s19, 31
	s_add_u32 s2, s18, s28
	s_mov_b32 s29, s28
	s_addc_u32 s3, s19, s28
	s_xor_b64 s[30:31], s[2:3], s[28:29]
	v_readfirstlane_b32 s15, v10
	s_mul_i32 s3, s30, s12
	s_mul_hi_u32 s19, s30, s15
	s_mul_hi_u32 s2, s30, s12
	s_add_u32 s3, s19, s3
	s_addc_u32 s2, 0, s2
	s_mul_hi_u32 s33, s31, s15
	s_mul_i32 s15, s31, s15
	s_add_u32 s3, s3, s15
	s_mul_hi_u32 s19, s31, s12
	s_addc_u32 s2, s2, s33
	s_addc_u32 s3, s19, 0
	s_mul_i32 s12, s31, s12
	s_add_u32 s12, s2, s12
	s_addc_u32 s15, 0, s3
	s_mul_i32 s2, s26, s15
	s_mul_hi_u32 s3, s26, s12
	s_add_i32 s2, s3, s2
	s_mul_i32 s3, s27, s12
	s_add_i32 s19, s2, s3
	s_mul_i32 s3, s26, s12
	v_mov_b32_e32 v10, s3
	s_sub_i32 s2, s31, s19
	v_sub_co_u32_e32 v10, vcc, s30, v10
	s_cmp_lg_u64 vcc, 0
	s_subb_u32 s30, s2, s27
	v_subrev_co_u32_e64 v11, s[2:3], s26, v10
	s_cmp_lg_u64 s[2:3], 0
	s_subb_u32 s30, s30, 0
	s_cmp_ge_u32 s30, s27
	s_cselect_b32 s33, -1, 0
	v_cmp_le_u32_e64 s[2:3], s26, v11
	s_cmp_eq_u32 s30, s27
	v_cndmask_b32_e64 v11, 0, -1, s[2:3]
	v_mov_b32_e32 v16, s33
	s_cselect_b64 s[2:3], -1, 0
	v_cndmask_b32_e64 v11, v16, v11, s[2:3]
	s_add_u32 s2, s12, 1
	s_addc_u32 s30, s15, 0
	s_add_u32 s3, s12, 2
	s_addc_u32 s33, s15, 0
	v_mov_b32_e32 v16, s2
	v_mov_b32_e32 v17, s3
	v_cmp_ne_u32_e64 s[2:3], 0, v11
	v_cndmask_b32_e64 v11, v16, v17, s[2:3]
	v_mov_b32_e32 v16, s30
	v_mov_b32_e32 v17, s33
	s_cmp_lg_u64 vcc, 0
	v_cndmask_b32_e64 v16, v16, v17, s[2:3]
	s_subb_u32 s2, s31, s19
	s_cmp_ge_u32 s2, s27
	s_cselect_b32 s3, -1, 0
	v_cmp_le_u32_e32 vcc, s26, v10
	s_cmp_eq_u32 s2, s27
	v_cndmask_b32_e64 v10, 0, -1, vcc
	v_mov_b32_e32 v17, s3
	s_cselect_b64 vcc, -1, 0
	v_cndmask_b32_e32 v10, v17, v10, vcc
	v_mov_b32_e32 v17, s15
	v_cmp_ne_u32_e32 vcc, 0, v10
	v_cndmask_b32_e32 v10, v17, v16, vcc
	v_mov_b32_e32 v16, s12
	v_cndmask_b32_e32 v11, v16, v11, vcc
	s_xor_b64 s[2:3], s[28:29], s[24:25]
	v_xor_b32_e32 v11, s2, v11
	v_xor_b32_e32 v16, s3, v10
	v_mov_b32_e32 v17, s3
	v_subrev_co_u32_e32 v10, vcc, s2, v11
	v_subb_co_u32_e32 v11, vcc, v16, v17, vcc
	s_cbranch_execnz .LBB31_38
.LBB31_37:
	v_cvt_f32_u32_e32 v10, s14
	s_sub_i32 s2, 0, s14
	s_mov_b32 s3, 0
	v_rcp_iflag_f32_e32 v10, v10
	v_mul_f32_e32 v10, 0x4f7ffffe, v10
	v_cvt_u32_f32_e32 v10, v10
	v_readfirstlane_b32 s12, v10
	s_mul_i32 s2, s2, s12
	s_mul_hi_u32 s2, s12, s2
	s_add_i32 s12, s12, s2
	s_mul_hi_u32 s2, s18, s12
	s_mul_i32 s15, s2, s14
	s_sub_i32 s15, s18, s15
	s_add_i32 s12, s2, 1
	s_sub_i32 s18, s15, s14
	s_cmp_ge_u32 s15, s14
	s_cselect_b32 s2, s12, s2
	s_cselect_b32 s15, s18, s15
	s_add_i32 s12, s2, 1
	s_cmp_ge_u32 s15, s14
	s_cselect_b32 s2, s12, s2
	v_pk_mov_b32 v[10:11], s[2:3], s[2:3] op_sel:[0,1]
.LBB31_38:
	v_add_co_u32_e32 v10, vcc, v10, v15
	v_addc_co_u32_e32 v11, vcc, 0, v11, vcc
	s_branch .LBB31_41
.LBB31_39:
                                        ; implicit-def: $vgpr10_vgpr11
	s_cbranch_execz .LBB31_41
; %bb.40:
	v_mul_lo_u32 v10, v15, s8
	v_ashrrev_i32_e32 v11, 31, v10
	v_mov_b32_e32 v15, s7
	v_add_co_u32_e32 v10, vcc, s6, v10
	v_addc_co_u32_e32 v11, vcc, v11, v15, vcc
.LBB31_41:
	s_mov_b64 s[2:3], exec
.LBB31_42:
	s_or_b64 exec, exec, s[10:11]
	s_and_b64 vcc, exec, s[4:5]
	s_cbranch_vccz .LBB31_46
.LBB31_43:
	v_mov_b32_dpp v10, v12 quad_perm:[1,0,3,2] row_mask:0xf bank_mask:0xf
	v_cmp_gt_f32_e32 vcc, v12, v10
	v_cndmask_b32_e32 v10, v10, v12, vcc
	s_nop 1
	v_mov_b32_dpp v11, v10 quad_perm:[2,3,0,1] row_mask:0xf bank_mask:0xf
	v_cmp_gt_f32_e32 vcc, v10, v11
	v_cndmask_b32_e32 v10, v11, v10, vcc
	s_nop 1
	v_mov_b32_dpp v11, v10 row_half_mirror row_mask:0xf bank_mask:0xf
	v_cmp_gt_f32_e32 vcc, v10, v11
	v_cndmask_b32_e32 v10, v11, v10, vcc
	s_nop 1
	v_mov_b32_dpp v11, v10 row_mirror row_mask:0xf bank_mask:0xf
	v_cmp_gt_f32_e32 vcc, v10, v11
	v_cndmask_b32_e32 v10, v11, v10, vcc
	s_nop 1
	v_mov_b32_dpp v11, v10 row_bcast:15 row_mask:0xf bank_mask:0xf
	v_cmp_gt_f32_e32 vcc, v10, v11
	v_cndmask_b32_e32 v10, v11, v10, vcc
	s_nop 1
	v_mov_b32_dpp v11, v10 row_bcast:31 row_mask:0xf bank_mask:0xf
	s_and_saveexec_b64 s[2:3], s[0:1]
	s_cbranch_execz .LBB31_45
; %bb.44:
	v_lshrrev_b32_e32 v12, 4, v0
	v_cmp_gt_f32_e32 vcc, v10, v11
	v_and_b32_e32 v12, 60, v12
	v_cndmask_b32_e32 v10, v11, v10, vcc
	ds_write_b32 v12, v10
.LBB31_45:
	s_or_b64 exec, exec, s[2:3]
	s_waitcnt lgkmcnt(0)
	s_barrier
	ds_read_b32 v10, v14
	v_cmp_eq_u32_e64 s[2:3], 0, v0
	s_waitcnt lgkmcnt(0)
	v_mov_b32_dpp v11, v10 quad_perm:[1,0,3,2] row_mask:0xf bank_mask:0xf
	v_cmp_gt_f32_e32 vcc, v10, v11
	v_cndmask_b32_e32 v10, v11, v10, vcc
	s_nop 1
	v_mov_b32_dpp v11, v10 quad_perm:[2,3,0,1] row_mask:0xf bank_mask:0xf
	v_cmp_gt_f32_e32 vcc, v10, v11
	v_cndmask_b32_e32 v10, v11, v10, vcc
	s_nop 1
	v_mov_b32_dpp v11, v10 row_half_mirror row_mask:0xf bank_mask:0xf
	v_cmp_gt_f32_e32 vcc, v10, v11
	v_cndmask_b32_e32 v10, v11, v10, vcc
	s_nop 1
	v_mov_b32_dpp v11, v10 row_mirror row_mask:0xf bank_mask:0xf
	v_cmp_gt_f32_e32 vcc, v10, v11
	v_cndmask_b32_e32 v10, v11, v10, vcc
	v_mul_f32_e32 v13, 0x3b124925, v10
	v_pk_mov_b32 v[10:11], s[6:7], s[6:7] op_sel:[0,1]
.LBB31_46:
	s_and_saveexec_b64 s[0:1], s[2:3]
	s_cbranch_execz .LBB31_48
; %bb.47:
	v_lshlrev_b64 v[10:11], 2, v[10:11]
	v_mov_b32_e32 v0, s21
	v_add_co_u32_e32 v10, vcc, s20, v10
	v_addc_co_u32_e32 v11, vcc, v0, v11, vcc
	global_store_dword v[10:11], v13, off
.LBB31_48:
	s_or_b64 exec, exec, s[0:1]
	s_add_i32 s0, s9, 3
	;;#ASMSTART
	v_rcp_f32 v10, v13
	;;#ASMEND
	v_mov_b32_e32 v11, v10
	;;#ASMSTART
	v_pk_mul_f32 v[8:9], v[8:9], v[10:11]
	;;#ASMEND
	s_ashr_i32 s1, s0, 31
	v_mov_b32_e32 v0, 0xc3e00000
	v_mov_b32_e32 v12, 0x43e00000
	;;#ASMSTART
	v_med3_f32 v8, v8, v0, v12
v_med3_f32 v9, v9, v0, v12
v_cvt_pk_fp8_f32 v13, v8, v9
	;;#ASMEND
	;;#ASMSTART
	v_pk_mul_f32 v[6:7], v[6:7], v[10:11]
	;;#ASMEND
	s_lshr_b32 s1, s1, 30
	;;#ASMSTART
	v_med3_f32 v6, v6, v0, v12
v_med3_f32 v7, v7, v0, v12
v_cvt_pk_fp8_f32 v8, v6, v7
	;;#ASMEND
	s_mov_b32 s5, 0x5040100
	s_add_i32 s0, s0, s1
	v_perm_b32 v7, v8, v13, s5
	s_movk_i32 s5, 0xff
	s_and_b32 s2, s0, -4
	s_ashr_i32 s0, s13, 31
	v_and_b32_e32 v6, 0xffffff00, v8
	v_and_b32_sdwa v8, v7, s5 dst_sel:DWORD dst_unused:UNUSED_PAD src0_sel:WORD_1 src1_sel:DWORD
	s_mul_hi_u32 s1, s13, s6
	s_mul_i32 s0, s0, s6
	s_mov_b32 s4, 0xffff
	v_or_b32_sdwa v6, v8, v6 dst_sel:WORD_1 dst_unused:UNUSED_PAD src0_sel:DWORD src1_sel:DWORD
	;;#ASMSTART
	v_pk_mul_f32 v[4:5], v[4:5], v[10:11]
	;;#ASMEND
	s_add_i32 s1, s1, s0
	s_mul_i32 s0, s13, s6
	v_and_or_b32 v6, v7, s4, v6
	;;#ASMSTART
	v_med3_f32 v4, v4, v0, v12
v_med3_f32 v5, v5, v0, v12
v_cvt_pk_fp8_f32 v7, v4, v5
	;;#ASMEND
	;;#ASMSTART
	v_pk_mul_f32 v[2:3], v[2:3], v[10:11]
	;;#ASMEND
	s_add_u32 s0, s16, s0
	;;#ASMSTART
	v_med3_f32 v2, v2, v0, v12
v_med3_f32 v3, v3, v0, v12
v_cvt_pk_fp8_f32 v0, v2, v3
	;;#ASMEND
	s_addc_u32 s1, s17, s1
	v_lshlrev_b32_e32 v0, 16, v0
	s_and_b32 s1, s1, 0xffff
	s_mov_b32 s3, 0x20000
	v_and_or_b32 v7, v7, s4, v0
	buffer_store_dwordx2 v[6:7], v1, s[0:3], 0 offen
	;;#ASMSTART
	s_nop 0
	;;#ASMEND
.LBB31_49:
	s_endpgm
.LBB31_50:
                                        ; implicit-def: $vgpr10_vgpr11
	s_branch .LBB31_37
	.section	.rodata,"a",@progbits
	.p2align	6, 0x0
	.amdhsa_kernel _ZN5aiter24add_rmsnorm_quant_kernelIDF16_DB8_Li1024ELi8ELb1ELb1ELb0ELi1EEEvPT0_PT_PfS5_S5_S5_diiiiiiib
		.amdhsa_group_segment_fixed_size 128
		.amdhsa_private_segment_fixed_size 0
		.amdhsa_kernarg_size 88
		.amdhsa_user_sgpr_count 6
		.amdhsa_user_sgpr_private_segment_buffer 1
		.amdhsa_user_sgpr_dispatch_ptr 0
		.amdhsa_user_sgpr_queue_ptr 0
		.amdhsa_user_sgpr_kernarg_segment_ptr 1
		.amdhsa_user_sgpr_dispatch_id 0
		.amdhsa_user_sgpr_flat_scratch_init 0
		.amdhsa_user_sgpr_kernarg_preload_length 0
		.amdhsa_user_sgpr_kernarg_preload_offset 0
		.amdhsa_user_sgpr_private_segment_size 0
		.amdhsa_uses_dynamic_stack 0
		.amdhsa_system_sgpr_private_segment_wavefront_offset 0
		.amdhsa_system_sgpr_workgroup_id_x 1
		.amdhsa_system_sgpr_workgroup_id_y 0
		.amdhsa_system_sgpr_workgroup_id_z 0
		.amdhsa_system_sgpr_workgroup_info 0
		.amdhsa_system_vgpr_workitem_id 0
		.amdhsa_next_free_vgpr 32
		.amdhsa_next_free_sgpr 40
		.amdhsa_accum_offset 32
		.amdhsa_reserve_vcc 1
		.amdhsa_reserve_flat_scratch 0
		.amdhsa_float_round_mode_32 0
		.amdhsa_float_round_mode_16_64 0
		.amdhsa_float_denorm_mode_32 3
		.amdhsa_float_denorm_mode_16_64 3
		.amdhsa_dx10_clamp 1
		.amdhsa_ieee_mode 1
		.amdhsa_fp16_overflow 0
		.amdhsa_tg_split 0
		.amdhsa_exception_fp_ieee_invalid_op 0
		.amdhsa_exception_fp_denorm_src 0
		.amdhsa_exception_fp_ieee_div_zero 0
		.amdhsa_exception_fp_ieee_overflow 0
		.amdhsa_exception_fp_ieee_underflow 0
		.amdhsa_exception_fp_ieee_inexact 0
		.amdhsa_exception_int_div_zero 0
	.end_amdhsa_kernel
	.section	.text._ZN5aiter24add_rmsnorm_quant_kernelIDF16_DB8_Li1024ELi8ELb1ELb1ELb0ELi1EEEvPT0_PT_PfS5_S5_S5_diiiiiiib,"axG",@progbits,_ZN5aiter24add_rmsnorm_quant_kernelIDF16_DB8_Li1024ELi8ELb1ELb1ELb0ELi1EEEvPT0_PT_PfS5_S5_S5_diiiiiiib,comdat
.Lfunc_end31:
	.size	_ZN5aiter24add_rmsnorm_quant_kernelIDF16_DB8_Li1024ELi8ELb1ELb1ELb0ELi1EEEvPT0_PT_PfS5_S5_S5_diiiiiiib, .Lfunc_end31-_ZN5aiter24add_rmsnorm_quant_kernelIDF16_DB8_Li1024ELi8ELb1ELb1ELb0ELi1EEEvPT0_PT_PfS5_S5_S5_diiiiiiib
                                        ; -- End function
	.section	.AMDGPU.csdata,"",@progbits
; Kernel info:
; codeLenInByte = 3452
; NumSgprs: 44
; NumVgprs: 32
; NumAgprs: 0
; TotalNumVgprs: 32
; ScratchSize: 0
; MemoryBound: 0
; FloatMode: 240
; IeeeMode: 1
; LDSByteSize: 128 bytes/workgroup (compile time only)
; SGPRBlocks: 5
; VGPRBlocks: 3
; NumSGPRsForWavesPerEU: 44
; NumVGPRsForWavesPerEU: 32
; AccumOffset: 32
; Occupancy: 8
; WaveLimiterHint : 0
; COMPUTE_PGM_RSRC2:SCRATCH_EN: 0
; COMPUTE_PGM_RSRC2:USER_SGPR: 6
; COMPUTE_PGM_RSRC2:TRAP_HANDLER: 0
; COMPUTE_PGM_RSRC2:TGID_X_EN: 1
; COMPUTE_PGM_RSRC2:TGID_Y_EN: 0
; COMPUTE_PGM_RSRC2:TGID_Z_EN: 0
; COMPUTE_PGM_RSRC2:TIDIG_COMP_CNT: 0
; COMPUTE_PGM_RSRC3_GFX90A:ACCUM_OFFSET: 7
; COMPUTE_PGM_RSRC3_GFX90A:TG_SPLIT: 0
	.section	.text._ZN5aiter24add_rmsnorm_quant_kernelItDB8_Li1024ELi8ELb1ELb1ELb0ELi1EEEvPT0_PT_PfS5_S5_S5_diiiiiiib,"axG",@progbits,_ZN5aiter24add_rmsnorm_quant_kernelItDB8_Li1024ELi8ELb1ELb1ELb0ELi1EEEvPT0_PT_PfS5_S5_S5_diiiiiiib,comdat
	.protected	_ZN5aiter24add_rmsnorm_quant_kernelItDB8_Li1024ELi8ELb1ELb1ELb0ELi1EEEvPT0_PT_PfS5_S5_S5_diiiiiiib ; -- Begin function _ZN5aiter24add_rmsnorm_quant_kernelItDB8_Li1024ELi8ELb1ELb1ELb0ELi1EEEvPT0_PT_PfS5_S5_S5_diiiiiiib
	.globl	_ZN5aiter24add_rmsnorm_quant_kernelItDB8_Li1024ELi8ELb1ELb1ELb0ELi1EEEvPT0_PT_PfS5_S5_S5_diiiiiiib
	.p2align	8
	.type	_ZN5aiter24add_rmsnorm_quant_kernelItDB8_Li1024ELi8ELb1ELb1ELb0ELi1EEEvPT0_PT_PfS5_S5_S5_diiiiiiib,@function
_ZN5aiter24add_rmsnorm_quant_kernelItDB8_Li1024ELi8ELb1ELb1ELb0ELi1EEEvPT0_PT_PfS5_S5_S5_diiiiiiib: ; @_ZN5aiter24add_rmsnorm_quant_kernelItDB8_Li1024ELi8ELb1ELb1ELb0ELi1EEEvPT0_PT_PfS5_S5_S5_diiiiiiib
; %bb.0:
	s_load_dwordx8 s[8:15], s[4:5], 0x38
	s_mov_b32 s7, 0
	s_waitcnt lgkmcnt(0)
	s_ashr_i32 s0, s8, 31
	v_mov_b32_e32 v2, s8
	v_mov_b32_e32 v3, s0
	v_cmp_ge_i64_e32 vcc, s[6:7], v[2:3]
	s_cbranch_vccnz .LBB32_49
; %bb.1:
	s_load_dwordx8 s[16:23], s[4:5], 0x0
	s_load_dwordx8 s[24:31], s[4:5], 0x20
	s_ashr_i32 s0, s10, 31
	s_mul_hi_u32 s1, s10, s6
	s_mul_i32 s0, s0, s6
	s_add_i32 s1, s1, s0
	s_mul_i32 s0, s10, s6
	s_lshl_b64 s[0:1], s[0:1], 1
	s_waitcnt lgkmcnt(0)
	s_add_u32 s0, s22, s0
	s_addc_u32 s1, s23, s1
	s_add_i32 s2, s9, 1
	s_lshr_b32 s3, s2, 31
	s_add_i32 s2, s2, s3
	s_lshl_b32 s2, s2, 1
	s_and_b32 s2, s2, -4
	s_and_b32 s1, s1, 0xffff
	s_mov_b32 s3, 0x20000
	v_lshlrev_b32_e32 v1, 4, v0
	buffer_load_dwordx4 v[6:9], v1, s[0:3], 0 offen glc slc
	s_ashr_i32 s0, s11, 31
	s_mul_hi_u32 s1, s11, s6
	s_mul_i32 s0, s0, s6
	s_add_i32 s1, s1, s0
	s_mul_i32 s0, s11, s6
	s_and_b32 s37, s27, 0xffff
	s_lshl_b64 s[0:1], s[0:1], 1
	s_add_u32 s0, s24, s0
	s_addc_u32 s1, s25, s1
	s_and_b32 s1, s1, 0xffff
	buffer_load_dwordx4 v[10:13], v1, s[0:3], 0 offen glc slc
	s_mov_b32 s39, s3
	s_mov_b32 s36, s26
	;; [unrolled: 1-line block ×3, first 2 shown]
	buffer_load_dwordx4 v[2:5], v1, s[36:39], 0 offen
	s_ashr_i32 s5, s12, 31
	s_mul_hi_u32 s1, s12, s6
	s_mul_i32 s5, s5, s6
	s_mul_i32 s0, s12, s6
	s_add_i32 s1, s1, s5
	s_lshl_b64 s[0:1], s[0:1], 1
	s_add_u32 s0, s18, s0
	s_mov_b32 s4, 0x7060302
	s_addc_u32 s1, s19, s1
	s_and_b32 s1, s1, 0xffff
	v_and_b32_e32 v26, 63, v0
	s_waitcnt vmcnt(2)
	v_cvt_f32_u32_sdwa v15, v6 dst_sel:DWORD dst_unused:UNUSED_PAD src0_sel:WORD_1
	v_cvt_f32_u32_sdwa v14, v6 dst_sel:DWORD dst_unused:UNUSED_PAD src0_sel:WORD_0
	v_cvt_f32_u32_sdwa v17, v7 dst_sel:DWORD dst_unused:UNUSED_PAD src0_sel:WORD_1
	v_cvt_f32_u32_sdwa v16, v7 dst_sel:DWORD dst_unused:UNUSED_PAD src0_sel:WORD_0
	;; [unrolled: 2-line block ×4, first 2 shown]
	s_waitcnt vmcnt(1)
	v_cvt_f32_u32_sdwa v9, v10 dst_sel:DWORD dst_unused:UNUSED_PAD src0_sel:WORD_1
	v_cvt_f32_u32_sdwa v8, v10 dst_sel:DWORD dst_unused:UNUSED_PAD src0_sel:WORD_0
	v_cvt_f32_u32_sdwa v21, v11 dst_sel:DWORD dst_unused:UNUSED_PAD src0_sel:WORD_1
	v_cvt_f32_u32_sdwa v20, v11 dst_sel:DWORD dst_unused:UNUSED_PAD src0_sel:WORD_0
	;; [unrolled: 2-line block ×4, first 2 shown]
	v_pk_add_f32 v[12:13], v[14:15], v[8:9]
	v_pk_add_f32 v[10:11], v[16:17], v[20:21]
	;; [unrolled: 1-line block ×4, first 2 shown]
	v_perm_b32 v17, v7, v6, s4
	v_perm_b32 v16, v9, v8, s4
	;; [unrolled: 1-line block ×4, first 2 shown]
	v_pk_mul_f32 v[18:19], v[12:13], v[12:13]
	v_pk_mul_f32 v[20:21], v[10:11], v[10:11]
	buffer_store_dwordx4 v[14:17], v1, s[0:3], 0 offen glc slc
	v_add_f32_e32 v1, v18, v19
	v_add_f32_e32 v1, v20, v1
	v_pk_mul_f32 v[22:23], v[8:9], v[8:9]
	v_add_f32_e32 v1, v21, v1
	v_add_f32_e32 v1, v22, v1
	v_pk_mul_f32 v[24:25], v[6:7], v[6:7]
	v_add_f32_e32 v1, v23, v1
	v_add_f32_e32 v1, v24, v1
	v_add_f32_e32 v1, v25, v1
	v_cmp_eq_u32_e64 s[0:1], 63, v26
	;;#ASMSTART
	s_nop 0
	;;#ASMEND
	s_nop 0
	v_mov_b32_dpp v14, v1 quad_perm:[1,0,3,2] row_mask:0xf bank_mask:0xf
	v_add_f32_e32 v1, v1, v14
	s_nop 1
	v_mov_b32_dpp v14, v1 quad_perm:[2,3,0,1] row_mask:0xf bank_mask:0xf
	v_add_f32_e32 v1, v1, v14
	s_nop 1
	v_mov_b32_dpp v14, v1 row_half_mirror row_mask:0xf bank_mask:0xf
	v_add_f32_e32 v1, v1, v14
	s_nop 1
	v_mov_b32_dpp v14, v1 row_mirror row_mask:0xf bank_mask:0xf
	v_add_f32_e32 v1, v1, v14
	s_nop 1
	v_mov_b32_dpp v14, v1 row_bcast:15 row_mask:0xf bank_mask:0xf
	v_add_f32_e32 v1, v1, v14
	s_nop 1
	v_mov_b32_dpp v14, v1 row_bcast:31 row_mask:0xf bank_mask:0xf
	s_and_saveexec_b64 s[2:3], s[0:1]
	s_cbranch_execz .LBB32_3
; %bb.2:
	v_lshrrev_b32_e32 v15, 4, v0
	v_and_b32_e32 v15, 60, v15
	v_add_f32_e32 v1, v1, v14
	ds_write_b32 v15, v1 offset:64
.LBB32_3:
	s_or_b64 exec, exec, s[2:3]
	v_and_b32_e32 v1, 15, v0
	v_lshlrev_b32_e32 v14, 2, v1
	s_waitcnt lgkmcnt(0)
	s_barrier
	ds_read_b32 v1, v14 offset:64
	v_cvt_f32_i32_e32 v15, s9
	s_waitcnt vmcnt(1)
	v_cvt_f32_u32_sdwa v21, v3 dst_sel:DWORD dst_unused:UNUSED_PAD src0_sel:WORD_1
	v_cvt_f32_u32_sdwa v23, v5 dst_sel:DWORD dst_unused:UNUSED_PAD src0_sel:WORD_1
	v_cvt_f32_u32_sdwa v22, v5 dst_sel:DWORD dst_unused:UNUSED_PAD src0_sel:WORD_0
	s_waitcnt lgkmcnt(0)
	v_mov_b32_dpp v16, v1 quad_perm:[1,0,3,2] row_mask:0xf bank_mask:0xf
	v_add_f32_e32 v1, v1, v16
	s_cmp_lg_u32 s14, 0
	s_nop 0
	v_mov_b32_dpp v16, v1 quad_perm:[2,3,0,1] row_mask:0xf bank_mask:0xf
	v_add_f32_e32 v1, v1, v16
	s_nop 1
	v_mov_b32_dpp v16, v1 row_half_mirror row_mask:0xf bank_mask:0xf
	v_add_f32_e32 v1, v1, v16
	s_nop 1
	v_mov_b32_dpp v16, v1 row_mirror row_mask:0xf bank_mask:0xf
	v_add_f32_e32 v1, v1, v16
	v_div_scale_f32 v16, s[2:3], v15, v15, v1
	v_rcp_f32_e32 v17, v16
	v_div_scale_f32 v18, vcc, v1, v15, v1
	s_mov_b32 s2, 0x800000
	v_fma_f32 v19, -v16, v17, 1.0
	v_fmac_f32_e32 v17, v19, v17
	v_mul_f32_e32 v19, v18, v17
	v_fma_f32 v20, -v16, v19, v18
	v_fmac_f32_e32 v19, v20, v17
	v_fma_f32 v16, -v16, v19, v18
	v_div_fmas_f32 v16, v16, v17, v19
	v_div_fixup_f32 v1, v16, v15, v1
	v_cvt_f64_f32_e32 v[16:17], v1
	v_add_f64 v[16:17], v[16:17], s[28:29]
	v_cvt_f32_f64_e32 v1, v[16:17]
	v_mul_f32_e32 v15, 0x4b800000, v1
	v_cmp_gt_f32_e32 vcc, s2, v1
	v_cndmask_b32_e32 v1, v1, v15, vcc
	v_rsq_f32_e32 v15, v1
	v_cvt_f32_u32_sdwa v20, v3 dst_sel:DWORD dst_unused:UNUSED_PAD src0_sel:WORD_0
	v_cvt_f32_u32_sdwa v3, v4 dst_sel:DWORD dst_unused:UNUSED_PAD src0_sel:WORD_1
	v_lshlrev_b32_e32 v1, 3, v0
	v_mul_f32_e32 v16, 0x45800000, v15
	v_cndmask_b32_e32 v16, v15, v16, vcc
	v_mov_b32_e32 v17, v16
	;;#ASMSTART
	v_pk_mul_f32 v[12:13], v[12:13], v[16:17]
	;;#ASMEND
	;;#ASMSTART
	v_pk_mul_f32 v[10:11], v[10:11], v[16:17]
	;;#ASMEND
	;; [unrolled: 3-line block ×4, first 2 shown]
	v_cvt_f32_u32_sdwa v7, v2 dst_sel:DWORD dst_unused:UNUSED_PAD src0_sel:WORD_1
	v_cvt_f32_u32_sdwa v6, v2 dst_sel:DWORD dst_unused:UNUSED_PAD src0_sel:WORD_0
	v_cvt_f32_u32_sdwa v2, v4 dst_sel:DWORD dst_unused:UNUSED_PAD src0_sel:WORD_0
	;;#ASMSTART
	v_pk_mul_f32 v[8:9], v[12:13], v[6:7]
	;;#ASMEND
	;;#ASMSTART
	v_pk_mul_f32 v[6:7], v[10:11], v[20:21]
	;;#ASMEND
	v_and_b32_e32 v10, 0x7fffffff, v8
	v_mov_b32_e32 v12, 0x2edbe6ff
	;;#ASMSTART
	v_pk_mul_f32 v[4:5], v[18:19], v[2:3]
	;;#ASMEND
	;;#ASMSTART
	v_pk_mul_f32 v[2:3], v[16:17], v[22:23]
	;;#ASMEND
	v_and_b32_e32 v11, 0x7fffffff, v9
	;;#ASMSTART
	v_max3_f32 v10, v12, v10, v11

	;;#ASMEND
	v_and_b32_e32 v12, 0x7fffffff, v7
	v_and_b32_e32 v11, 0x7fffffff, v6
	;;#ASMSTART
	v_max3_f32 v10, v10, v11, v12

	;;#ASMEND
	v_and_b32_e32 v12, 0x7fffffff, v5
	;; [unrolled: 6-line block ×3, first 2 shown]
	v_and_b32_e32 v11, 0x7fffffff, v2
	;;#ASMSTART
	v_max3_f32 v12, v10, v11, v12

	;;#ASMEND
	s_cbranch_scc0 .LBB32_10
; %bb.4:
	s_ashr_i32 s12, s14, 31
	s_lshr_b32 s2, s12, 29
	s_add_i32 s2, s14, s2
	s_ashr_i32 s10, s2, 3
	s_cmp_lt_i32 s10, 16
	s_cbranch_scc1 .LBB32_11
; %bb.5:
	s_cmp_lt_i32 s10, 32
	s_cbranch_scc1 .LBB32_12
; %bb.6:
	;; [unrolled: 3-line block ×3, first 2 shown]
	s_cmp_eq_u32 s10, 64
	v_mov_b32_e32 v10, v12
	s_cbranch_scc0 .LBB32_9
; %bb.8:
	s_nop 0
	v_mov_b32_dpp v10, v12 quad_perm:[1,0,3,2] row_mask:0xf bank_mask:0xf
	v_cmp_gt_f32_e32 vcc, v12, v10
	v_cndmask_b32_e32 v10, v10, v12, vcc
	v_bfrev_b32_e32 v13, 0.5
	s_nop 0
	v_mov_b32_dpp v11, v10 quad_perm:[2,3,0,1] row_mask:0xf bank_mask:0xf
	v_cmp_gt_f32_e32 vcc, v10, v11
	v_cndmask_b32_e32 v10, v11, v10, vcc
	s_nop 1
	v_mov_b32_dpp v11, v10 row_ror:4 row_mask:0xf bank_mask:0xf
	v_cmp_gt_f32_e32 vcc, v10, v11
	v_cndmask_b32_e32 v10, v11, v10, vcc
	s_nop 1
	v_mov_b32_dpp v11, v10 row_ror:8 row_mask:0xf bank_mask:0xf
	v_cmp_gt_f32_e32 vcc, v10, v11
	v_cndmask_b32_e32 v10, v11, v10, vcc
	s_nop 1
	v_mov_b32_dpp v11, v10 row_bcast:15 row_mask:0xf bank_mask:0xf
	v_cmp_gt_f32_e32 vcc, v10, v11
	v_cndmask_b32_e32 v10, v11, v10, vcc
	s_nop 1
	v_mov_b32_dpp v11, v10 row_bcast:31 row_mask:0xf bank_mask:0xf
	v_cmp_gt_f32_e32 vcc, v10, v11
	v_cndmask_b32_e32 v10, v11, v10, vcc
	v_mbcnt_lo_u32_b32 v11, -1, 0
	v_mbcnt_hi_u32_b32 v11, -1, v11
	v_lshl_or_b32 v11, v11, 2, v13
	ds_bpermute_b32 v10, v11, v10
.LBB32_9:
	s_mov_b64 s[2:3], 0
	s_branch .LBB32_14
.LBB32_10:
	s_mov_b64 s[2:3], 0
                                        ; implicit-def: $vgpr13
                                        ; implicit-def: $vgpr10_vgpr11
	s_cbranch_execnz .LBB32_43
	s_branch .LBB32_46
.LBB32_11:
                                        ; implicit-def: $vgpr10
	s_branch .LBB32_21
.LBB32_12:
                                        ; implicit-def: $vgpr10
	s_branch .LBB32_18
.LBB32_13:
	s_mov_b64 s[2:3], -1
                                        ; implicit-def: $vgpr10
.LBB32_14:
	s_andn2_b64 vcc, exec, s[2:3]
	s_cbranch_vccnz .LBB32_17
; %bb.15:
	s_cmp_eq_u32 s10, 32
	s_waitcnt lgkmcnt(0)
	v_mov_b32_e32 v10, v12
	s_cbranch_scc0 .LBB32_17
; %bb.16:
	s_nop 0
	v_mov_b32_dpp v10, v12 quad_perm:[1,0,3,2] row_mask:0xf bank_mask:0xf
	v_cmp_gt_f32_e32 vcc, v12, v10
	v_cndmask_b32_e32 v10, v10, v12, vcc
	v_mov_b32_e32 v13, 0x7c
	s_nop 0
	v_mov_b32_dpp v11, v10 quad_perm:[2,3,0,1] row_mask:0xf bank_mask:0xf
	v_cmp_gt_f32_e32 vcc, v10, v11
	v_cndmask_b32_e32 v10, v11, v10, vcc
	s_nop 1
	v_mov_b32_dpp v11, v10 row_half_mirror row_mask:0xf bank_mask:0xf
	v_cmp_gt_f32_e32 vcc, v10, v11
	v_cndmask_b32_e32 v10, v11, v10, vcc
	s_nop 1
	v_mov_b32_dpp v11, v10 row_mirror row_mask:0xf bank_mask:0xf
	v_cmp_gt_f32_e32 vcc, v10, v11
	v_cndmask_b32_e32 v10, v11, v10, vcc
	s_nop 1
	v_mov_b32_dpp v11, v10 row_bcast:15 row_mask:0xa bank_mask:0xf
	v_cmp_gt_f32_e32 vcc, v10, v11
	v_cndmask_b32_e32 v10, v11, v10, vcc
	v_mbcnt_lo_u32_b32 v11, -1, 0
	v_mbcnt_hi_u32_b32 v11, -1, v11
	v_lshl_or_b32 v11, v11, 2, v13
	ds_bpermute_b32 v10, v11, v10
.LBB32_17:
	s_cbranch_execnz .LBB32_20
.LBB32_18:
	s_cmp_eq_u32 s10, 16
	s_waitcnt lgkmcnt(0)
	v_mov_b32_e32 v10, v12
	s_cbranch_scc0 .LBB32_20
; %bb.19:
	s_nop 0
	v_mov_b32_dpp v10, v12 quad_perm:[1,0,3,2] row_mask:0xf bank_mask:0xf
	v_cmp_gt_f32_e32 vcc, v12, v10
	v_cndmask_b32_e32 v10, v10, v12, vcc
	s_nop 1
	v_mov_b32_dpp v11, v10 quad_perm:[2,3,0,1] row_mask:0xf bank_mask:0xf
	v_cmp_gt_f32_e32 vcc, v10, v11
	v_cndmask_b32_e32 v10, v11, v10, vcc
	s_nop 1
	v_mov_b32_dpp v11, v10 row_half_mirror row_mask:0xf bank_mask:0xf
	v_cmp_gt_f32_e32 vcc, v10, v11
	v_cndmask_b32_e32 v10, v11, v10, vcc
	s_nop 1
	v_mov_b32_dpp v11, v10 row_mirror row_mask:0xf bank_mask:0xf
	v_cmp_gt_f32_e32 vcc, v10, v11
	v_cndmask_b32_e32 v10, v11, v10, vcc
.LBB32_20:
	s_cbranch_execnz .LBB32_33
.LBB32_21:
	s_cmp_lt_i32 s10, 4
	s_cbranch_scc1 .LBB32_25
; %bb.22:
	s_cmp_lt_i32 s10, 8
	s_cbranch_scc1 .LBB32_26
; %bb.23:
	s_cmp_eq_u32 s10, 8
	s_waitcnt lgkmcnt(0)
	v_mov_b32_e32 v10, v12
	s_cbranch_scc0 .LBB32_27
; %bb.24:
	s_nop 0
	v_mov_b32_dpp v10, v12 quad_perm:[1,0,3,2] row_mask:0xf bank_mask:0xf
	v_cmp_gt_f32_e32 vcc, v12, v10
	v_cndmask_b32_e32 v10, v10, v12, vcc
	s_nop 1
	v_mov_b32_dpp v11, v10 quad_perm:[2,3,0,1] row_mask:0xf bank_mask:0xf
	v_cmp_gt_f32_e32 vcc, v10, v11
	v_cndmask_b32_e32 v10, v11, v10, vcc
	s_nop 1
	v_mov_b32_dpp v11, v10 row_half_mirror row_mask:0xf bank_mask:0xf
	v_cmp_gt_f32_e32 vcc, v10, v11
	v_cndmask_b32_e32 v10, v11, v10, vcc
	s_cbranch_execz .LBB32_28
	s_branch .LBB32_30
.LBB32_25:
                                        ; implicit-def: $vgpr10
	s_branch .LBB32_31
.LBB32_26:
                                        ; implicit-def: $vgpr10
	s_branch .LBB32_28
.LBB32_27:
	s_cbranch_execnz .LBB32_30
.LBB32_28:
	s_cmp_eq_u32 s10, 4
	s_waitcnt lgkmcnt(0)
	v_mov_b32_e32 v10, v12
	s_cbranch_scc0 .LBB32_30
; %bb.29:
	s_nop 0
	v_mov_b32_dpp v10, v12 quad_perm:[1,0,3,2] row_mask:0xf bank_mask:0xf
	v_cmp_gt_f32_e32 vcc, v12, v10
	v_cndmask_b32_e32 v10, v10, v12, vcc
	s_nop 1
	v_mov_b32_dpp v11, v10 quad_perm:[2,3,0,1] row_mask:0xf bank_mask:0xf
	v_cmp_gt_f32_e32 vcc, v10, v11
	v_cndmask_b32_e32 v10, v11, v10, vcc
.LBB32_30:
	s_cbranch_execnz .LBB32_33
.LBB32_31:
	s_cmp_lg_u32 s10, 2
	s_waitcnt lgkmcnt(0)
	v_mov_b32_e32 v10, v12
	s_cbranch_scc1 .LBB32_33
; %bb.32:
	s_nop 0
	v_mov_b32_dpp v10, v12 quad_perm:[1,0,3,2] row_mask:0xf bank_mask:0xf
	v_cmp_gt_f32_e32 vcc, v12, v10
	v_cndmask_b32_e32 v10, v10, v12, vcc
.LBB32_33:
	v_cvt_f32_u32_e32 v11, s10
	s_waitcnt lgkmcnt(0)
	v_mul_f32_e32 v13, 0x3b124925, v10
	s_sub_i32 s2, 0, s10
	v_cmp_gt_u32_e32 vcc, s9, v1
	v_rcp_iflag_f32_e32 v11, v11
	s_mov_b64 s[4:5], 0
	v_mul_f32_e32 v10, 0x4f7ffffe, v11
	v_cvt_u32_f32_e32 v10, v10
	v_mul_lo_u32 v11, s2, v10
	v_mul_hi_u32 v11, v10, v11
	v_add_u32_e32 v10, v10, v11
	v_mul_hi_u32 v10, v0, v10
	v_mul_lo_u32 v11, v10, s10
	v_sub_u32_e32 v11, v0, v11
	v_add_u32_e32 v15, 1, v10
	v_cmp_le_u32_e64 s[2:3], s10, v11
	v_cndmask_b32_e64 v10, v10, v15, s[2:3]
	v_subrev_u32_e32 v15, s10, v11
	v_cndmask_b32_e64 v11, v11, v15, s[2:3]
	v_add_u32_e32 v15, 1, v10
	v_cmp_le_u32_e64 s[2:3], s10, v11
	v_cndmask_b32_e64 v15, v10, v15, s[2:3]
	v_mul_lo_u32 v10, v15, s10
	v_sub_u32_e32 v10, v0, v10
	v_cmp_eq_u32_e64 s[2:3], 0, v10
	s_and_b64 s[10:11], s[2:3], vcc
	s_mov_b64 s[2:3], 0
                                        ; implicit-def: $vgpr10_vgpr11
	s_and_saveexec_b64 s[18:19], s[10:11]
	s_xor_b64 s[10:11], exec, s[18:19]
	s_cbranch_execz .LBB32_42
; %bb.34:
	s_bitcmp0_b32 s15, 0
	s_cbranch_scc0 .LBB32_39
; %bb.35:
	s_ashr_i32 s2, s9, 31
	s_mul_hi_u32 s3, s9, s6
	s_mul_i32 s2, s2, s6
	s_add_i32 s19, s3, s2
	s_mul_i32 s18, s9, s6
	s_mov_b32 s15, s12
	s_or_b64 s[2:3], s[18:19], s[14:15]
	s_mov_b32 s2, 0
	s_cmp_lg_u64 s[2:3], 0
	s_cbranch_scc0 .LBB32_50
; %bb.36:
	s_add_u32 s2, s14, s15
	s_mov_b32 s24, s15
	s_mov_b32 s25, s15
	s_addc_u32 s3, s15, s15
	s_xor_b64 s[26:27], s[2:3], s[24:25]
	v_cvt_f32_u32_e32 v10, s26
	v_cvt_f32_u32_e32 v11, s27
	s_sub_u32 s2, 0, s26
	s_subb_u32 s3, 0, s27
	v_madmk_f32 v10, v11, 0x4f800000, v10
	v_rcp_f32_e32 v10, v10
	v_mul_f32_e32 v10, 0x5f7ffffc, v10
	v_mul_f32_e32 v11, 0x2f800000, v10
	v_trunc_f32_e32 v11, v11
	v_madmk_f32 v10, v11, 0xcf800000, v10
	v_cvt_u32_f32_e32 v11, v11
	v_cvt_u32_f32_e32 v10, v10
	v_readfirstlane_b32 s12, v11
	v_readfirstlane_b32 s15, v10
	s_mul_i32 s28, s2, s12
	s_mul_hi_u32 s30, s2, s15
	s_mul_i32 s29, s3, s15
	s_add_i32 s28, s30, s28
	s_add_i32 s28, s28, s29
	s_mul_i32 s31, s2, s15
	s_mul_hi_u32 s29, s15, s28
	s_mul_i32 s30, s15, s28
	s_mul_hi_u32 s15, s15, s31
	s_add_u32 s15, s15, s30
	s_addc_u32 s29, 0, s29
	s_mul_hi_u32 s33, s12, s31
	s_mul_i32 s31, s12, s31
	s_add_u32 s15, s15, s31
	s_mul_hi_u32 s30, s12, s28
	s_addc_u32 s15, s29, s33
	s_addc_u32 s29, s30, 0
	s_mul_i32 s28, s12, s28
	s_add_u32 s15, s15, s28
	s_addc_u32 s28, 0, s29
	v_add_co_u32_e32 v10, vcc, s15, v10
	s_cmp_lg_u64 vcc, 0
	s_addc_u32 s12, s12, s28
	v_readfirstlane_b32 s28, v10
	s_mul_i32 s15, s2, s12
	s_mul_hi_u32 s29, s2, s28
	s_add_i32 s15, s29, s15
	s_mul_i32 s3, s3, s28
	s_add_i32 s15, s15, s3
	s_mul_i32 s2, s2, s28
	s_mul_hi_u32 s29, s12, s2
	s_mul_i32 s30, s12, s2
	s_mul_i32 s33, s28, s15
	s_mul_hi_u32 s2, s28, s2
	s_mul_hi_u32 s31, s28, s15
	s_add_u32 s2, s2, s33
	s_addc_u32 s28, 0, s31
	s_add_u32 s2, s2, s30
	s_mul_hi_u32 s3, s12, s15
	s_addc_u32 s2, s28, s29
	s_addc_u32 s3, s3, 0
	s_mul_i32 s15, s12, s15
	s_add_u32 s2, s2, s15
	s_addc_u32 s3, 0, s3
	v_add_co_u32_e32 v10, vcc, s2, v10
	s_cmp_lg_u64 vcc, 0
	s_addc_u32 s12, s12, s3
	s_ashr_i32 s28, s19, 31
	s_add_u32 s2, s18, s28
	s_mov_b32 s29, s28
	s_addc_u32 s3, s19, s28
	s_xor_b64 s[30:31], s[2:3], s[28:29]
	v_readfirstlane_b32 s15, v10
	s_mul_i32 s3, s30, s12
	s_mul_hi_u32 s19, s30, s15
	s_mul_hi_u32 s2, s30, s12
	s_add_u32 s3, s19, s3
	s_addc_u32 s2, 0, s2
	s_mul_hi_u32 s33, s31, s15
	s_mul_i32 s15, s31, s15
	s_add_u32 s3, s3, s15
	s_mul_hi_u32 s19, s31, s12
	s_addc_u32 s2, s2, s33
	s_addc_u32 s3, s19, 0
	s_mul_i32 s12, s31, s12
	s_add_u32 s12, s2, s12
	s_addc_u32 s15, 0, s3
	s_mul_i32 s2, s26, s15
	s_mul_hi_u32 s3, s26, s12
	s_add_i32 s2, s3, s2
	s_mul_i32 s3, s27, s12
	s_add_i32 s19, s2, s3
	s_mul_i32 s3, s26, s12
	v_mov_b32_e32 v10, s3
	s_sub_i32 s2, s31, s19
	v_sub_co_u32_e32 v10, vcc, s30, v10
	s_cmp_lg_u64 vcc, 0
	s_subb_u32 s30, s2, s27
	v_subrev_co_u32_e64 v11, s[2:3], s26, v10
	s_cmp_lg_u64 s[2:3], 0
	s_subb_u32 s30, s30, 0
	s_cmp_ge_u32 s30, s27
	s_cselect_b32 s33, -1, 0
	v_cmp_le_u32_e64 s[2:3], s26, v11
	s_cmp_eq_u32 s30, s27
	v_cndmask_b32_e64 v11, 0, -1, s[2:3]
	v_mov_b32_e32 v16, s33
	s_cselect_b64 s[2:3], -1, 0
	v_cndmask_b32_e64 v11, v16, v11, s[2:3]
	s_add_u32 s2, s12, 1
	s_addc_u32 s30, s15, 0
	s_add_u32 s3, s12, 2
	s_addc_u32 s33, s15, 0
	v_mov_b32_e32 v16, s2
	v_mov_b32_e32 v17, s3
	v_cmp_ne_u32_e64 s[2:3], 0, v11
	v_cndmask_b32_e64 v11, v16, v17, s[2:3]
	v_mov_b32_e32 v16, s30
	v_mov_b32_e32 v17, s33
	s_cmp_lg_u64 vcc, 0
	v_cndmask_b32_e64 v16, v16, v17, s[2:3]
	s_subb_u32 s2, s31, s19
	s_cmp_ge_u32 s2, s27
	s_cselect_b32 s3, -1, 0
	v_cmp_le_u32_e32 vcc, s26, v10
	s_cmp_eq_u32 s2, s27
	v_cndmask_b32_e64 v10, 0, -1, vcc
	v_mov_b32_e32 v17, s3
	s_cselect_b64 vcc, -1, 0
	v_cndmask_b32_e32 v10, v17, v10, vcc
	v_mov_b32_e32 v17, s15
	v_cmp_ne_u32_e32 vcc, 0, v10
	v_cndmask_b32_e32 v10, v17, v16, vcc
	v_mov_b32_e32 v16, s12
	v_cndmask_b32_e32 v11, v16, v11, vcc
	s_xor_b64 s[2:3], s[28:29], s[24:25]
	v_xor_b32_e32 v11, s2, v11
	v_xor_b32_e32 v16, s3, v10
	v_mov_b32_e32 v17, s3
	v_subrev_co_u32_e32 v10, vcc, s2, v11
	v_subb_co_u32_e32 v11, vcc, v16, v17, vcc
	s_cbranch_execnz .LBB32_38
.LBB32_37:
	v_cvt_f32_u32_e32 v10, s14
	s_sub_i32 s2, 0, s14
	s_mov_b32 s3, 0
	v_rcp_iflag_f32_e32 v10, v10
	v_mul_f32_e32 v10, 0x4f7ffffe, v10
	v_cvt_u32_f32_e32 v10, v10
	v_readfirstlane_b32 s12, v10
	s_mul_i32 s2, s2, s12
	s_mul_hi_u32 s2, s12, s2
	s_add_i32 s12, s12, s2
	s_mul_hi_u32 s2, s18, s12
	s_mul_i32 s15, s2, s14
	s_sub_i32 s15, s18, s15
	s_add_i32 s12, s2, 1
	s_sub_i32 s18, s15, s14
	s_cmp_ge_u32 s15, s14
	s_cselect_b32 s2, s12, s2
	s_cselect_b32 s15, s18, s15
	s_add_i32 s12, s2, 1
	s_cmp_ge_u32 s15, s14
	s_cselect_b32 s2, s12, s2
	v_pk_mov_b32 v[10:11], s[2:3], s[2:3] op_sel:[0,1]
.LBB32_38:
	v_add_co_u32_e32 v10, vcc, v10, v15
	v_addc_co_u32_e32 v11, vcc, 0, v11, vcc
	s_branch .LBB32_41
.LBB32_39:
                                        ; implicit-def: $vgpr10_vgpr11
	s_cbranch_execz .LBB32_41
; %bb.40:
	v_mul_lo_u32 v10, v15, s8
	v_ashrrev_i32_e32 v11, 31, v10
	v_mov_b32_e32 v15, s7
	v_add_co_u32_e32 v10, vcc, s6, v10
	v_addc_co_u32_e32 v11, vcc, v11, v15, vcc
.LBB32_41:
	s_mov_b64 s[2:3], exec
.LBB32_42:
	s_or_b64 exec, exec, s[10:11]
	s_and_b64 vcc, exec, s[4:5]
	s_cbranch_vccz .LBB32_46
.LBB32_43:
	v_mov_b32_dpp v10, v12 quad_perm:[1,0,3,2] row_mask:0xf bank_mask:0xf
	v_cmp_gt_f32_e32 vcc, v12, v10
	v_cndmask_b32_e32 v10, v10, v12, vcc
	s_nop 1
	v_mov_b32_dpp v11, v10 quad_perm:[2,3,0,1] row_mask:0xf bank_mask:0xf
	v_cmp_gt_f32_e32 vcc, v10, v11
	v_cndmask_b32_e32 v10, v11, v10, vcc
	s_nop 1
	v_mov_b32_dpp v11, v10 row_half_mirror row_mask:0xf bank_mask:0xf
	v_cmp_gt_f32_e32 vcc, v10, v11
	v_cndmask_b32_e32 v10, v11, v10, vcc
	s_nop 1
	v_mov_b32_dpp v11, v10 row_mirror row_mask:0xf bank_mask:0xf
	v_cmp_gt_f32_e32 vcc, v10, v11
	v_cndmask_b32_e32 v10, v11, v10, vcc
	s_nop 1
	v_mov_b32_dpp v11, v10 row_bcast:15 row_mask:0xf bank_mask:0xf
	v_cmp_gt_f32_e32 vcc, v10, v11
	v_cndmask_b32_e32 v10, v11, v10, vcc
	s_nop 1
	v_mov_b32_dpp v11, v10 row_bcast:31 row_mask:0xf bank_mask:0xf
	s_and_saveexec_b64 s[2:3], s[0:1]
	s_cbranch_execz .LBB32_45
; %bb.44:
	v_lshrrev_b32_e32 v12, 4, v0
	v_cmp_gt_f32_e32 vcc, v10, v11
	v_and_b32_e32 v12, 60, v12
	v_cndmask_b32_e32 v10, v11, v10, vcc
	ds_write_b32 v12, v10
.LBB32_45:
	s_or_b64 exec, exec, s[2:3]
	s_waitcnt lgkmcnt(0)
	s_barrier
	ds_read_b32 v10, v14
	v_cmp_eq_u32_e64 s[2:3], 0, v0
	s_waitcnt lgkmcnt(0)
	v_mov_b32_dpp v11, v10 quad_perm:[1,0,3,2] row_mask:0xf bank_mask:0xf
	v_cmp_gt_f32_e32 vcc, v10, v11
	v_cndmask_b32_e32 v10, v11, v10, vcc
	s_nop 1
	v_mov_b32_dpp v11, v10 quad_perm:[2,3,0,1] row_mask:0xf bank_mask:0xf
	v_cmp_gt_f32_e32 vcc, v10, v11
	v_cndmask_b32_e32 v10, v11, v10, vcc
	s_nop 1
	v_mov_b32_dpp v11, v10 row_half_mirror row_mask:0xf bank_mask:0xf
	v_cmp_gt_f32_e32 vcc, v10, v11
	v_cndmask_b32_e32 v10, v11, v10, vcc
	s_nop 1
	v_mov_b32_dpp v11, v10 row_mirror row_mask:0xf bank_mask:0xf
	v_cmp_gt_f32_e32 vcc, v10, v11
	v_cndmask_b32_e32 v10, v11, v10, vcc
	v_mul_f32_e32 v13, 0x3b124925, v10
	v_pk_mov_b32 v[10:11], s[6:7], s[6:7] op_sel:[0,1]
.LBB32_46:
	s_and_saveexec_b64 s[0:1], s[2:3]
	s_cbranch_execz .LBB32_48
; %bb.47:
	v_lshlrev_b64 v[10:11], 2, v[10:11]
	v_mov_b32_e32 v0, s21
	v_add_co_u32_e32 v10, vcc, s20, v10
	v_addc_co_u32_e32 v11, vcc, v0, v11, vcc
	global_store_dword v[10:11], v13, off
.LBB32_48:
	s_or_b64 exec, exec, s[0:1]
	s_add_i32 s0, s9, 3
	;;#ASMSTART
	v_rcp_f32 v10, v13
	;;#ASMEND
	v_mov_b32_e32 v11, v10
	;;#ASMSTART
	v_pk_mul_f32 v[8:9], v[8:9], v[10:11]
	;;#ASMEND
	s_ashr_i32 s1, s0, 31
	v_mov_b32_e32 v0, 0xc3e00000
	v_mov_b32_e32 v12, 0x43e00000
	;;#ASMSTART
	v_med3_f32 v8, v8, v0, v12
v_med3_f32 v9, v9, v0, v12
v_cvt_pk_fp8_f32 v13, v8, v9
	;;#ASMEND
	;;#ASMSTART
	v_pk_mul_f32 v[6:7], v[6:7], v[10:11]
	;;#ASMEND
	s_lshr_b32 s1, s1, 30
	;;#ASMSTART
	v_med3_f32 v6, v6, v0, v12
v_med3_f32 v7, v7, v0, v12
v_cvt_pk_fp8_f32 v8, v6, v7
	;;#ASMEND
	s_mov_b32 s5, 0x5040100
	s_add_i32 s0, s0, s1
	v_perm_b32 v7, v8, v13, s5
	s_movk_i32 s5, 0xff
	s_and_b32 s2, s0, -4
	s_ashr_i32 s0, s13, 31
	v_and_b32_e32 v6, 0xffffff00, v8
	v_and_b32_sdwa v8, v7, s5 dst_sel:DWORD dst_unused:UNUSED_PAD src0_sel:WORD_1 src1_sel:DWORD
	s_mul_hi_u32 s1, s13, s6
	s_mul_i32 s0, s0, s6
	s_mov_b32 s4, 0xffff
	v_or_b32_sdwa v6, v8, v6 dst_sel:WORD_1 dst_unused:UNUSED_PAD src0_sel:DWORD src1_sel:DWORD
	;;#ASMSTART
	v_pk_mul_f32 v[4:5], v[4:5], v[10:11]
	;;#ASMEND
	s_add_i32 s1, s1, s0
	s_mul_i32 s0, s13, s6
	v_and_or_b32 v6, v7, s4, v6
	;;#ASMSTART
	v_med3_f32 v4, v4, v0, v12
v_med3_f32 v5, v5, v0, v12
v_cvt_pk_fp8_f32 v7, v4, v5
	;;#ASMEND
	;;#ASMSTART
	v_pk_mul_f32 v[2:3], v[2:3], v[10:11]
	;;#ASMEND
	s_add_u32 s0, s16, s0
	;;#ASMSTART
	v_med3_f32 v2, v2, v0, v12
v_med3_f32 v3, v3, v0, v12
v_cvt_pk_fp8_f32 v0, v2, v3
	;;#ASMEND
	s_addc_u32 s1, s17, s1
	v_lshlrev_b32_e32 v0, 16, v0
	s_and_b32 s1, s1, 0xffff
	s_mov_b32 s3, 0x20000
	v_and_or_b32 v7, v7, s4, v0
	buffer_store_dwordx2 v[6:7], v1, s[0:3], 0 offen
	;;#ASMSTART
	s_nop 0
	;;#ASMEND
.LBB32_49:
	s_endpgm
.LBB32_50:
                                        ; implicit-def: $vgpr10_vgpr11
	s_branch .LBB32_37
	.section	.rodata,"a",@progbits
	.p2align	6, 0x0
	.amdhsa_kernel _ZN5aiter24add_rmsnorm_quant_kernelItDB8_Li1024ELi8ELb1ELb1ELb0ELi1EEEvPT0_PT_PfS5_S5_S5_diiiiiiib
		.amdhsa_group_segment_fixed_size 128
		.amdhsa_private_segment_fixed_size 0
		.amdhsa_kernarg_size 88
		.amdhsa_user_sgpr_count 6
		.amdhsa_user_sgpr_private_segment_buffer 1
		.amdhsa_user_sgpr_dispatch_ptr 0
		.amdhsa_user_sgpr_queue_ptr 0
		.amdhsa_user_sgpr_kernarg_segment_ptr 1
		.amdhsa_user_sgpr_dispatch_id 0
		.amdhsa_user_sgpr_flat_scratch_init 0
		.amdhsa_user_sgpr_kernarg_preload_length 0
		.amdhsa_user_sgpr_kernarg_preload_offset 0
		.amdhsa_user_sgpr_private_segment_size 0
		.amdhsa_uses_dynamic_stack 0
		.amdhsa_system_sgpr_private_segment_wavefront_offset 0
		.amdhsa_system_sgpr_workgroup_id_x 1
		.amdhsa_system_sgpr_workgroup_id_y 0
		.amdhsa_system_sgpr_workgroup_id_z 0
		.amdhsa_system_sgpr_workgroup_info 0
		.amdhsa_system_vgpr_workitem_id 0
		.amdhsa_next_free_vgpr 27
		.amdhsa_next_free_sgpr 40
		.amdhsa_accum_offset 28
		.amdhsa_reserve_vcc 1
		.amdhsa_reserve_flat_scratch 0
		.amdhsa_float_round_mode_32 0
		.amdhsa_float_round_mode_16_64 0
		.amdhsa_float_denorm_mode_32 3
		.amdhsa_float_denorm_mode_16_64 3
		.amdhsa_dx10_clamp 1
		.amdhsa_ieee_mode 1
		.amdhsa_fp16_overflow 0
		.amdhsa_tg_split 0
		.amdhsa_exception_fp_ieee_invalid_op 0
		.amdhsa_exception_fp_denorm_src 0
		.amdhsa_exception_fp_ieee_div_zero 0
		.amdhsa_exception_fp_ieee_overflow 0
		.amdhsa_exception_fp_ieee_underflow 0
		.amdhsa_exception_fp_ieee_inexact 0
		.amdhsa_exception_int_div_zero 0
	.end_amdhsa_kernel
	.section	.text._ZN5aiter24add_rmsnorm_quant_kernelItDB8_Li1024ELi8ELb1ELb1ELb0ELi1EEEvPT0_PT_PfS5_S5_S5_diiiiiiib,"axG",@progbits,_ZN5aiter24add_rmsnorm_quant_kernelItDB8_Li1024ELi8ELb1ELb1ELb0ELi1EEEvPT0_PT_PfS5_S5_S5_diiiiiiib,comdat
.Lfunc_end32:
	.size	_ZN5aiter24add_rmsnorm_quant_kernelItDB8_Li1024ELi8ELb1ELb1ELb0ELi1EEEvPT0_PT_PfS5_S5_S5_diiiiiiib, .Lfunc_end32-_ZN5aiter24add_rmsnorm_quant_kernelItDB8_Li1024ELi8ELb1ELb1ELb0ELi1EEEvPT0_PT_PfS5_S5_S5_diiiiiiib
                                        ; -- End function
	.section	.AMDGPU.csdata,"",@progbits
; Kernel info:
; codeLenInByte = 3476
; NumSgprs: 44
; NumVgprs: 27
; NumAgprs: 0
; TotalNumVgprs: 27
; ScratchSize: 0
; MemoryBound: 0
; FloatMode: 240
; IeeeMode: 1
; LDSByteSize: 128 bytes/workgroup (compile time only)
; SGPRBlocks: 5
; VGPRBlocks: 3
; NumSGPRsForWavesPerEU: 44
; NumVGPRsForWavesPerEU: 27
; AccumOffset: 28
; Occupancy: 8
; WaveLimiterHint : 0
; COMPUTE_PGM_RSRC2:SCRATCH_EN: 0
; COMPUTE_PGM_RSRC2:USER_SGPR: 6
; COMPUTE_PGM_RSRC2:TRAP_HANDLER: 0
; COMPUTE_PGM_RSRC2:TGID_X_EN: 1
; COMPUTE_PGM_RSRC2:TGID_Y_EN: 0
; COMPUTE_PGM_RSRC2:TGID_Z_EN: 0
; COMPUTE_PGM_RSRC2:TIDIG_COMP_CNT: 0
; COMPUTE_PGM_RSRC3_GFX90A:ACCUM_OFFSET: 6
; COMPUTE_PGM_RSRC3_GFX90A:TG_SPLIT: 0
	.section	.text._ZN5aiter24add_rmsnorm_quant_kernelIDF16_aLi64ELi8ELb1ELb1ELb1ELi1EEEvPT0_PT_PfS4_S4_S4_diiiiiiib,"axG",@progbits,_ZN5aiter24add_rmsnorm_quant_kernelIDF16_aLi64ELi8ELb1ELb1ELb1ELi1EEEvPT0_PT_PfS4_S4_S4_diiiiiiib,comdat
	.protected	_ZN5aiter24add_rmsnorm_quant_kernelIDF16_aLi64ELi8ELb1ELb1ELb1ELi1EEEvPT0_PT_PfS4_S4_S4_diiiiiiib ; -- Begin function _ZN5aiter24add_rmsnorm_quant_kernelIDF16_aLi64ELi8ELb1ELb1ELb1ELi1EEEvPT0_PT_PfS4_S4_S4_diiiiiiib
	.globl	_ZN5aiter24add_rmsnorm_quant_kernelIDF16_aLi64ELi8ELb1ELb1ELb1ELi1EEEvPT0_PT_PfS4_S4_S4_diiiiiiib
	.p2align	8
	.type	_ZN5aiter24add_rmsnorm_quant_kernelIDF16_aLi64ELi8ELb1ELb1ELb1ELi1EEEvPT0_PT_PfS4_S4_S4_diiiiiiib,@function
_ZN5aiter24add_rmsnorm_quant_kernelIDF16_aLi64ELi8ELb1ELb1ELb1ELi1EEEvPT0_PT_PfS4_S4_S4_diiiiiiib: ; @_ZN5aiter24add_rmsnorm_quant_kernelIDF16_aLi64ELi8ELb1ELb1ELb1ELi1EEEvPT0_PT_PfS4_S4_S4_diiiiiiib
; %bb.0:
	s_load_dwordx8 s[8:15], s[4:5], 0x38
	s_mov_b32 s7, 0
	s_waitcnt lgkmcnt(0)
	s_ashr_i32 s0, s8, 31
	v_mov_b32_e32 v2, s8
	v_mov_b32_e32 v3, s0
	v_cmp_ge_i64_e32 vcc, s[6:7], v[2:3]
	s_cbranch_vccnz .LBB33_45
; %bb.1:
	s_load_dwordx8 s[16:23], s[4:5], 0x0
	s_load_dwordx8 s[24:31], s[4:5], 0x20
	s_ashr_i32 s0, s10, 31
	s_mul_hi_u32 s1, s10, s6
	s_mul_i32 s0, s0, s6
	s_add_i32 s1, s1, s0
	s_mul_i32 s0, s10, s6
	s_lshl_b64 s[0:1], s[0:1], 1
	s_waitcnt lgkmcnt(0)
	s_add_u32 s0, s22, s0
	s_addc_u32 s1, s23, s1
	s_add_i32 s2, s9, 1
	s_lshr_b32 s3, s2, 31
	s_add_i32 s2, s2, s3
	s_lshl_b32 s2, s2, 1
	s_and_b32 s2, s2, -4
	s_and_b32 s1, s1, 0xffff
	s_mov_b32 s3, 0x20000
	v_lshlrev_b32_e32 v15, 4, v0
	buffer_load_dwordx4 v[2:5], v15, s[0:3], 0 offen glc slc
	s_ashr_i32 s0, s11, 31
	s_mul_hi_u32 s1, s11, s6
	s_mul_i32 s0, s0, s6
	s_add_i32 s1, s1, s0
	s_mul_i32 s0, s11, s6
	s_and_b32 s37, s27, 0xffff
	s_lshl_b64 s[0:1], s[0:1], 1
	s_add_u32 s0, s24, s0
	s_addc_u32 s1, s25, s1
	s_and_b32 s1, s1, 0xffff
	buffer_load_dwordx4 v[6:9], v15, s[0:3], 0 offen glc slc
	s_mov_b32 s36, s26
	s_mov_b32 s38, s2
	;; [unrolled: 1-line block ×3, first 2 shown]
	buffer_load_dwordx4 v[10:13], v15, s[36:39], 0 offen
	v_mbcnt_lo_u32_b32 v14, -1, 0
	v_mbcnt_hi_u32_b32 v14, -1, v14
	v_lshlrev_b32_e32 v16, 2, v14
	v_or_b32_e32 v14, 0xfc, v16
	v_cvt_f32_i32_e32 v17, s9
	s_ashr_i32 s4, s12, 31
	s_mul_hi_u32 s1, s12, s6
	s_mul_i32 s4, s4, s6
	s_add_i32 s1, s1, s4
	s_mov_b32 s10, 0x800000
	s_mul_i32 s0, s12, s6
	s_lshl_b64 s[0:1], s[0:1], 1
	s_add_u32 s0, s18, s0
	s_addc_u32 s1, s19, s1
	s_and_b32 s1, s1, 0xffff
	v_mov_b32_e32 v30, 0x2edbe6ff
	v_lshlrev_b32_e32 v1, 3, v0
	s_cmp_lg_u32 s14, 0
	s_waitcnt vmcnt(2)
	v_cvt_f32_f16_e32 v18, v2
	v_cvt_f32_f16_sdwa v19, v2 dst_sel:DWORD dst_unused:UNUSED_PAD src0_sel:WORD_1
	v_cvt_f32_f16_e32 v2, v3
	v_cvt_f32_f16_sdwa v3, v3 dst_sel:DWORD dst_unused:UNUSED_PAD src0_sel:WORD_1
	;; [unrolled: 2-line block ×4, first 2 shown]
	s_waitcnt vmcnt(1)
	v_cvt_f32_f16_e32 v26, v6
	v_cvt_f32_f16_sdwa v27, v6 dst_sel:DWORD dst_unused:UNUSED_PAD src0_sel:WORD_1
	v_cvt_f32_f16_e32 v6, v7
	v_cvt_f32_f16_sdwa v7, v7 dst_sel:DWORD dst_unused:UNUSED_PAD src0_sel:WORD_1
	v_cvt_f32_f16_e32 v28, v8
	v_cvt_f32_f16_sdwa v29, v8 dst_sel:DWORD dst_unused:UNUSED_PAD src0_sel:WORD_1
	v_cvt_f32_f16_e32 v8, v9
	v_cvt_f32_f16_sdwa v9, v9 dst_sel:DWORD dst_unused:UNUSED_PAD src0_sel:WORD_1
	v_pk_add_f32 v[18:19], v[18:19], v[26:27]
	v_pk_add_f32 v[6:7], v[2:3], v[6:7]
	v_pk_mul_f32 v[2:3], v[18:19], v[18:19]
	v_pk_add_f32 v[8:9], v[4:5], v[8:9]
	v_pk_mul_f32 v[4:5], v[6:7], v[6:7]
	v_add_f32_e32 v2, v2, v3
	v_pk_add_f32 v[20:21], v[20:21], v[28:29]
	v_add_f32_e32 v2, v4, v2
	v_pk_mul_f32 v[26:27], v[20:21], v[20:21]
	v_add_f32_e32 v2, v5, v2
	v_add_f32_e32 v2, v26, v2
	v_pk_mul_f32 v[28:29], v[8:9], v[8:9]
	v_add_f32_e32 v2, v27, v2
	v_add_f32_e32 v2, v28, v2
	;; [unrolled: 1-line block ×3, first 2 shown]
	v_cvt_f16_f32_e32 v33, v7
	v_cvt_f16_f32_e32 v31, v19
	v_mov_b32_dpp v3, v2 quad_perm:[1,0,3,2] row_mask:0xf bank_mask:0xf
	v_add_f32_e32 v2, v2, v3
	v_cvt_f16_f32_e32 v32, v18
	v_cvt_f16_f32_e32 v34, v21
	v_mov_b32_dpp v3, v2 quad_perm:[2,3,0,1] row_mask:0xf bank_mask:0xf
	v_add_f32_e32 v2, v2, v3
	v_cvt_f16_f32_e32 v35, v20
	v_cvt_f16_f32_e32 v36, v9
	v_mov_b32_dpp v3, v2 row_half_mirror row_mask:0xf bank_mask:0xf
	v_add_f32_e32 v2, v2, v3
	v_cvt_f16_f32_e32 v37, v8
	v_pack_b32_f16 v4, v35, v34
	v_mov_b32_dpp v3, v2 row_mirror row_mask:0xf bank_mask:0xf
	v_add_f32_e32 v2, v2, v3
	v_pack_b32_f16 v5, v37, v36
	s_waitcnt vmcnt(0)
	v_cvt_f32_f16_e32 v22, v10
	v_mov_b32_dpp v3, v2 row_bcast:15 row_mask:0xf bank_mask:0xf
	v_add_f32_e32 v2, v2, v3
	v_cvt_f32_f16_sdwa v23, v10 dst_sel:DWORD dst_unused:UNUSED_PAD src0_sel:WORD_1
	v_cvt_f32_f16_e32 v10, v11
	v_mov_b32_dpp v3, v2 row_bcast:31 row_mask:0xf bank_mask:0xf
	v_add_f32_e32 v2, v2, v3
	ds_bpermute_b32 v2, v14, v2
	v_cvt_f16_f32_e32 v3, v6
	v_cvt_f32_f16_sdwa v11, v11 dst_sel:DWORD dst_unused:UNUSED_PAD src0_sel:WORD_1
	v_cvt_f32_f16_e32 v24, v12
	v_cvt_f32_f16_sdwa v25, v12 dst_sel:DWORD dst_unused:UNUSED_PAD src0_sel:WORD_1
	s_waitcnt lgkmcnt(0)
	v_div_scale_f32 v26, s[4:5], v17, v17, v2
	v_rcp_f32_e32 v27, v26
	v_div_scale_f32 v28, vcc, v2, v17, v2
	v_pack_b32_f16 v3, v3, v33
	v_fma_f32 v29, -v26, v27, 1.0
	v_fmac_f32_e32 v27, v29, v27
	v_mul_f32_e32 v29, v28, v27
	v_fma_f32 v33, -v26, v29, v28
	v_fmac_f32_e32 v29, v33, v27
	v_fma_f32 v26, -v26, v29, v28
	v_div_fmas_f32 v26, v26, v27, v29
	v_div_fixup_f32 v2, v26, v17, v2
	v_cvt_f64_f32_e32 v[26:27], v2
	v_add_f64 v[26:27], v[26:27], s[28:29]
	v_cvt_f32_f64_e32 v2, v[26:27]
	v_mul_f32_e32 v17, 0x4b800000, v2
	v_cmp_gt_f32_e32 vcc, s10, v2
	v_cndmask_b32_e32 v2, v2, v17, vcc
	v_rsq_f32_e32 v17, v2
	v_pack_b32_f16 v2, v32, v31
	buffer_store_dwordx4 v[2:5], v15, s[0:3], 0 offen glc slc
	;;#ASMSTART
	s_nop 0
	;;#ASMEND
	v_cvt_f32_f16_e32 v12, v13
	v_mul_f32_e32 v2, 0x45800000, v17
	v_cndmask_b32_e32 v2, v17, v2, vcc
	v_mov_b32_e32 v3, v2
	;;#ASMSTART
	v_pk_mul_f32 v[4:5], v[18:19], v[2:3]
	;;#ASMEND
	;;#ASMSTART
	v_pk_mul_f32 v[6:7], v[6:7], v[2:3]
	;;#ASMEND
	;;#ASMSTART
	v_pk_mul_f32 v[18:19], v[20:21], v[2:3]
	;;#ASMEND
	;;#ASMSTART
	v_pk_mul_f32 v[2:3], v[8:9], v[2:3]
	;;#ASMEND
	;;#ASMSTART
	v_pk_mul_f32 v[8:9], v[4:5], v[22:23]
	;;#ASMEND
	;;#ASMSTART
	v_pk_mul_f32 v[6:7], v[6:7], v[10:11]
	;;#ASMEND
	v_and_b32_e32 v10, 0x7fffffff, v8
	v_cvt_f32_f16_sdwa v13, v13 dst_sel:DWORD dst_unused:UNUSED_PAD src0_sel:WORD_1
	;;#ASMSTART
	v_pk_mul_f32 v[4:5], v[18:19], v[24:25]
	;;#ASMEND
	;;#ASMSTART
	v_pk_mul_f32 v[2:3], v[2:3], v[12:13]
	;;#ASMEND
	v_and_b32_e32 v11, 0x7fffffff, v9
	v_and_b32_e32 v12, 0x7fffffff, v6
	;;#ASMSTART
	v_max3_f32 v10, v30, v10, v11

	;;#ASMEND
	v_and_b32_e32 v11, 0x7fffffff, v7
	;;#ASMSTART
	v_max3_f32 v10, v10, v12, v11

	;;#ASMEND
	v_and_b32_e32 v12, 0x7fffffff, v5
	v_and_b32_e32 v11, 0x7fffffff, v4
	;;#ASMSTART
	v_max3_f32 v10, v10, v11, v12

	;;#ASMEND
	v_and_b32_e32 v12, 0x7fffffff, v3
	v_and_b32_e32 v11, 0x7fffffff, v2
	;;#ASMSTART
	v_max3_f32 v12, v10, v11, v12

	;;#ASMEND
	s_cbranch_scc0 .LBB33_8
; %bb.2:
	s_ashr_i32 s12, s14, 31
	s_lshr_b32 s0, s12, 29
	s_add_i32 s0, s14, s0
	s_ashr_i32 s4, s0, 3
	s_cmp_lt_i32 s4, 16
	s_cbranch_scc1 .LBB33_9
; %bb.3:
	s_cmp_lt_i32 s4, 32
	s_cbranch_scc1 .LBB33_10
; %bb.4:
	;; [unrolled: 3-line block ×3, first 2 shown]
	s_cmp_eq_u32 s4, 64
	v_mov_b32_e32 v10, v12
	s_cbranch_scc0 .LBB33_7
; %bb.6:
	s_nop 0
	v_mov_b32_dpp v10, v12 quad_perm:[1,0,3,2] row_mask:0xf bank_mask:0xf
	v_cmp_gt_f32_e32 vcc, v12, v10
	v_cndmask_b32_e32 v10, v10, v12, vcc
	s_nop 1
	v_mov_b32_dpp v11, v10 quad_perm:[2,3,0,1] row_mask:0xf bank_mask:0xf
	v_cmp_gt_f32_e32 vcc, v10, v11
	v_cndmask_b32_e32 v10, v11, v10, vcc
	s_nop 1
	v_mov_b32_dpp v11, v10 row_ror:4 row_mask:0xf bank_mask:0xf
	v_cmp_gt_f32_e32 vcc, v10, v11
	v_cndmask_b32_e32 v10, v11, v10, vcc
	s_nop 1
	v_mov_b32_dpp v11, v10 row_ror:8 row_mask:0xf bank_mask:0xf
	v_cmp_gt_f32_e32 vcc, v10, v11
	v_cndmask_b32_e32 v10, v11, v10, vcc
	s_nop 1
	v_mov_b32_dpp v11, v10 row_bcast:15 row_mask:0xf bank_mask:0xf
	v_cmp_gt_f32_e32 vcc, v10, v11
	v_cndmask_b32_e32 v10, v11, v10, vcc
	s_nop 1
	v_mov_b32_dpp v11, v10 row_bcast:31 row_mask:0xf bank_mask:0xf
	v_cmp_gt_f32_e32 vcc, v10, v11
	v_cndmask_b32_e32 v10, v11, v10, vcc
	ds_bpermute_b32 v10, v14, v10
.LBB33_7:
	s_mov_b64 s[0:1], 0
	s_branch .LBB33_12
.LBB33_8:
	s_mov_b64 s[0:1], 0
                                        ; implicit-def: $vgpr13
                                        ; implicit-def: $vgpr10_vgpr11
	s_cbranch_execnz .LBB33_41
	s_branch .LBB33_42
.LBB33_9:
                                        ; implicit-def: $vgpr10
	s_branch .LBB33_19
.LBB33_10:
                                        ; implicit-def: $vgpr10
	s_branch .LBB33_16
.LBB33_11:
	s_mov_b64 s[0:1], -1
                                        ; implicit-def: $vgpr10
.LBB33_12:
	s_andn2_b64 vcc, exec, s[0:1]
	s_cbranch_vccnz .LBB33_15
; %bb.13:
	s_cmp_eq_u32 s4, 32
	s_waitcnt lgkmcnt(0)
	v_mov_b32_e32 v10, v12
	s_cbranch_scc0 .LBB33_15
; %bb.14:
	s_nop 0
	v_mov_b32_dpp v10, v12 quad_perm:[1,0,3,2] row_mask:0xf bank_mask:0xf
	v_cmp_gt_f32_e32 vcc, v12, v10
	v_cndmask_b32_e32 v10, v10, v12, vcc
	s_nop 1
	v_mov_b32_dpp v11, v10 quad_perm:[2,3,0,1] row_mask:0xf bank_mask:0xf
	v_cmp_gt_f32_e32 vcc, v10, v11
	v_cndmask_b32_e32 v10, v11, v10, vcc
	s_nop 1
	v_mov_b32_dpp v11, v10 row_half_mirror row_mask:0xf bank_mask:0xf
	v_cmp_gt_f32_e32 vcc, v10, v11
	v_cndmask_b32_e32 v10, v11, v10, vcc
	s_nop 1
	v_mov_b32_dpp v11, v10 row_mirror row_mask:0xf bank_mask:0xf
	v_cmp_gt_f32_e32 vcc, v10, v11
	v_cndmask_b32_e32 v10, v11, v10, vcc
	s_nop 1
	v_mov_b32_dpp v11, v10 row_bcast:15 row_mask:0xa bank_mask:0xf
	v_cmp_gt_f32_e32 vcc, v10, v11
	v_cndmask_b32_e32 v10, v11, v10, vcc
	v_or_b32_e32 v11, 0x7c, v16
	ds_bpermute_b32 v10, v11, v10
.LBB33_15:
	s_cbranch_execnz .LBB33_18
.LBB33_16:
	s_cmp_eq_u32 s4, 16
	s_waitcnt lgkmcnt(0)
	v_mov_b32_e32 v10, v12
	s_cbranch_scc0 .LBB33_18
; %bb.17:
	s_nop 0
	v_mov_b32_dpp v10, v12 quad_perm:[1,0,3,2] row_mask:0xf bank_mask:0xf
	v_cmp_gt_f32_e32 vcc, v12, v10
	v_cndmask_b32_e32 v10, v10, v12, vcc
	s_nop 1
	v_mov_b32_dpp v11, v10 quad_perm:[2,3,0,1] row_mask:0xf bank_mask:0xf
	v_cmp_gt_f32_e32 vcc, v10, v11
	v_cndmask_b32_e32 v10, v11, v10, vcc
	s_nop 1
	v_mov_b32_dpp v11, v10 row_half_mirror row_mask:0xf bank_mask:0xf
	v_cmp_gt_f32_e32 vcc, v10, v11
	v_cndmask_b32_e32 v10, v11, v10, vcc
	s_nop 1
	v_mov_b32_dpp v11, v10 row_mirror row_mask:0xf bank_mask:0xf
	v_cmp_gt_f32_e32 vcc, v10, v11
	v_cndmask_b32_e32 v10, v11, v10, vcc
.LBB33_18:
	s_cbranch_execnz .LBB33_31
.LBB33_19:
	s_cmp_lt_i32 s4, 4
	s_cbranch_scc1 .LBB33_23
; %bb.20:
	s_cmp_lt_i32 s4, 8
	s_cbranch_scc1 .LBB33_24
; %bb.21:
	s_cmp_eq_u32 s4, 8
	s_waitcnt lgkmcnt(0)
	v_mov_b32_e32 v10, v12
	s_cbranch_scc0 .LBB33_25
; %bb.22:
	s_nop 0
	v_mov_b32_dpp v10, v12 quad_perm:[1,0,3,2] row_mask:0xf bank_mask:0xf
	v_cmp_gt_f32_e32 vcc, v12, v10
	v_cndmask_b32_e32 v10, v10, v12, vcc
	s_nop 1
	v_mov_b32_dpp v11, v10 quad_perm:[2,3,0,1] row_mask:0xf bank_mask:0xf
	v_cmp_gt_f32_e32 vcc, v10, v11
	v_cndmask_b32_e32 v10, v11, v10, vcc
	s_nop 1
	v_mov_b32_dpp v11, v10 row_half_mirror row_mask:0xf bank_mask:0xf
	v_cmp_gt_f32_e32 vcc, v10, v11
	v_cndmask_b32_e32 v10, v11, v10, vcc
	s_cbranch_execz .LBB33_26
	s_branch .LBB33_28
.LBB33_23:
                                        ; implicit-def: $vgpr10
	s_branch .LBB33_29
.LBB33_24:
                                        ; implicit-def: $vgpr10
	s_branch .LBB33_26
.LBB33_25:
	s_cbranch_execnz .LBB33_28
.LBB33_26:
	s_cmp_eq_u32 s4, 4
	s_waitcnt lgkmcnt(0)
	v_mov_b32_e32 v10, v12
	s_cbranch_scc0 .LBB33_28
; %bb.27:
	s_nop 0
	v_mov_b32_dpp v10, v12 quad_perm:[1,0,3,2] row_mask:0xf bank_mask:0xf
	v_cmp_gt_f32_e32 vcc, v12, v10
	v_cndmask_b32_e32 v10, v10, v12, vcc
	s_nop 1
	v_mov_b32_dpp v11, v10 quad_perm:[2,3,0,1] row_mask:0xf bank_mask:0xf
	v_cmp_gt_f32_e32 vcc, v10, v11
	v_cndmask_b32_e32 v10, v11, v10, vcc
.LBB33_28:
	s_cbranch_execnz .LBB33_31
.LBB33_29:
	s_cmp_lg_u32 s4, 2
	s_waitcnt lgkmcnt(0)
	v_mov_b32_e32 v10, v12
	s_cbranch_scc1 .LBB33_31
; %bb.30:
	s_nop 0
	v_mov_b32_dpp v10, v12 quad_perm:[1,0,3,2] row_mask:0xf bank_mask:0xf
	v_cmp_gt_f32_e32 vcc, v12, v10
	v_cndmask_b32_e32 v10, v10, v12, vcc
.LBB33_31:
	v_cvt_f32_u32_e32 v11, s4
	s_waitcnt lgkmcnt(0)
	v_mul_f32_e32 v13, 0x3c010204, v10
	s_sub_i32 s0, 0, s4
	v_cmp_gt_u32_e32 vcc, s9, v1
	v_rcp_iflag_f32_e32 v11, v11
	s_mov_b64 s[2:3], 0
	v_mul_f32_e32 v10, 0x4f7ffffe, v11
	v_cvt_u32_f32_e32 v10, v10
	v_mul_lo_u32 v11, s0, v10
	v_mul_hi_u32 v11, v10, v11
	v_add_u32_e32 v10, v10, v11
	v_mul_hi_u32 v10, v0, v10
	v_mul_lo_u32 v11, v10, s4
	v_sub_u32_e32 v11, v0, v11
	v_add_u32_e32 v15, 1, v10
	v_cmp_le_u32_e64 s[0:1], s4, v11
	v_cndmask_b32_e64 v10, v10, v15, s[0:1]
	v_subrev_u32_e32 v15, s4, v11
	v_cndmask_b32_e64 v11, v11, v15, s[0:1]
	v_add_u32_e32 v15, 1, v10
	v_cmp_le_u32_e64 s[0:1], s4, v11
	v_cndmask_b32_e64 v15, v10, v15, s[0:1]
	v_mul_lo_u32 v10, v15, s4
	v_sub_u32_e32 v10, v0, v10
	v_cmp_eq_u32_e64 s[0:1], 0, v10
	s_and_b64 s[4:5], s[0:1], vcc
	s_mov_b64 s[0:1], 0
                                        ; implicit-def: $vgpr10_vgpr11
	s_and_saveexec_b64 s[10:11], s[4:5]
	s_xor_b64 s[4:5], exec, s[10:11]
	s_cbranch_execz .LBB33_40
; %bb.32:
	s_bitcmp0_b32 s15, 0
	s_cbranch_scc0 .LBB33_37
; %bb.33:
	s_ashr_i32 s0, s9, 31
	s_mul_hi_u32 s1, s9, s6
	s_mul_i32 s0, s0, s6
	s_add_i32 s11, s1, s0
	s_mul_i32 s10, s9, s6
	s_mov_b32 s15, s12
	s_or_b64 s[0:1], s[10:11], s[14:15]
	s_mov_b32 s0, 0
	s_cmp_lg_u64 s[0:1], 0
	s_cbranch_scc0 .LBB33_46
; %bb.34:
	s_add_u32 s0, s14, s15
	s_mov_b32 s22, s15
	s_mov_b32 s23, s15
	s_addc_u32 s1, s15, s15
	s_xor_b64 s[24:25], s[0:1], s[22:23]
	v_cvt_f32_u32_e32 v10, s24
	v_cvt_f32_u32_e32 v11, s25
	s_sub_u32 s0, 0, s24
	s_subb_u32 s1, 0, s25
	v_madmk_f32 v10, v11, 0x4f800000, v10
	v_rcp_f32_e32 v10, v10
	v_mul_f32_e32 v10, 0x5f7ffffc, v10
	v_mul_f32_e32 v11, 0x2f800000, v10
	v_trunc_f32_e32 v11, v11
	v_madmk_f32 v10, v11, 0xcf800000, v10
	v_cvt_u32_f32_e32 v11, v11
	v_cvt_u32_f32_e32 v10, v10
	v_readfirstlane_b32 s12, v11
	v_readfirstlane_b32 s15, v10
	s_mul_i32 s26, s0, s12
	s_mul_hi_u32 s28, s0, s15
	s_mul_i32 s27, s1, s15
	s_add_i32 s26, s28, s26
	s_add_i32 s26, s26, s27
	s_mul_i32 s29, s0, s15
	s_mul_hi_u32 s27, s15, s26
	s_mul_i32 s28, s15, s26
	s_mul_hi_u32 s15, s15, s29
	s_add_u32 s15, s15, s28
	s_addc_u32 s27, 0, s27
	s_mul_hi_u32 s30, s12, s29
	s_mul_i32 s29, s12, s29
	s_add_u32 s15, s15, s29
	s_mul_hi_u32 s28, s12, s26
	s_addc_u32 s15, s27, s30
	s_addc_u32 s27, s28, 0
	s_mul_i32 s26, s12, s26
	s_add_u32 s15, s15, s26
	s_addc_u32 s26, 0, s27
	v_add_co_u32_e32 v10, vcc, s15, v10
	s_cmp_lg_u64 vcc, 0
	s_addc_u32 s12, s12, s26
	v_readfirstlane_b32 s26, v10
	s_mul_i32 s15, s0, s12
	s_mul_hi_u32 s27, s0, s26
	s_add_i32 s15, s27, s15
	s_mul_i32 s1, s1, s26
	s_add_i32 s15, s15, s1
	s_mul_i32 s0, s0, s26
	s_mul_hi_u32 s27, s12, s0
	s_mul_i32 s28, s12, s0
	s_mul_i32 s30, s26, s15
	s_mul_hi_u32 s0, s26, s0
	s_mul_hi_u32 s29, s26, s15
	s_add_u32 s0, s0, s30
	s_addc_u32 s26, 0, s29
	s_add_u32 s0, s0, s28
	s_mul_hi_u32 s1, s12, s15
	s_addc_u32 s0, s26, s27
	s_addc_u32 s1, s1, 0
	s_mul_i32 s15, s12, s15
	s_add_u32 s0, s0, s15
	s_addc_u32 s1, 0, s1
	v_add_co_u32_e32 v10, vcc, s0, v10
	s_cmp_lg_u64 vcc, 0
	s_addc_u32 s12, s12, s1
	s_ashr_i32 s26, s11, 31
	s_add_u32 s0, s10, s26
	s_mov_b32 s27, s26
	s_addc_u32 s1, s11, s26
	s_xor_b64 s[28:29], s[0:1], s[26:27]
	v_readfirstlane_b32 s11, v10
	s_mul_i32 s1, s28, s12
	s_mul_hi_u32 s15, s28, s11
	s_mul_hi_u32 s0, s28, s12
	s_add_u32 s1, s15, s1
	s_addc_u32 s0, 0, s0
	s_mul_hi_u32 s30, s29, s11
	s_mul_i32 s11, s29, s11
	s_add_u32 s1, s1, s11
	s_mul_hi_u32 s15, s29, s12
	s_addc_u32 s0, s0, s30
	s_addc_u32 s1, s15, 0
	s_mul_i32 s11, s29, s12
	s_add_u32 s11, s0, s11
	s_addc_u32 s12, 0, s1
	s_mul_i32 s0, s24, s12
	s_mul_hi_u32 s1, s24, s11
	s_add_i32 s0, s1, s0
	s_mul_i32 s1, s25, s11
	s_add_i32 s15, s0, s1
	s_mul_i32 s1, s24, s11
	v_mov_b32_e32 v10, s1
	s_sub_i32 s0, s29, s15
	v_sub_co_u32_e32 v10, vcc, s28, v10
	s_cmp_lg_u64 vcc, 0
	s_subb_u32 s28, s0, s25
	v_subrev_co_u32_e64 v11, s[0:1], s24, v10
	s_cmp_lg_u64 s[0:1], 0
	s_subb_u32 s28, s28, 0
	s_cmp_ge_u32 s28, s25
	s_cselect_b32 s30, -1, 0
	v_cmp_le_u32_e64 s[0:1], s24, v11
	s_cmp_eq_u32 s28, s25
	v_cndmask_b32_e64 v11, 0, -1, s[0:1]
	v_mov_b32_e32 v16, s30
	s_cselect_b64 s[0:1], -1, 0
	v_cndmask_b32_e64 v11, v16, v11, s[0:1]
	s_add_u32 s0, s11, 1
	s_addc_u32 s28, s12, 0
	s_add_u32 s1, s11, 2
	s_addc_u32 s30, s12, 0
	v_mov_b32_e32 v16, s0
	v_mov_b32_e32 v17, s1
	v_cmp_ne_u32_e64 s[0:1], 0, v11
	v_cndmask_b32_e64 v11, v16, v17, s[0:1]
	v_mov_b32_e32 v16, s28
	v_mov_b32_e32 v17, s30
	s_cmp_lg_u64 vcc, 0
	v_cndmask_b32_e64 v16, v16, v17, s[0:1]
	s_subb_u32 s0, s29, s15
	s_cmp_ge_u32 s0, s25
	s_cselect_b32 s1, -1, 0
	v_cmp_le_u32_e32 vcc, s24, v10
	s_cmp_eq_u32 s0, s25
	v_cndmask_b32_e64 v10, 0, -1, vcc
	v_mov_b32_e32 v17, s1
	s_cselect_b64 vcc, -1, 0
	v_cndmask_b32_e32 v10, v17, v10, vcc
	v_mov_b32_e32 v17, s12
	v_cmp_ne_u32_e32 vcc, 0, v10
	v_cndmask_b32_e32 v10, v17, v16, vcc
	v_mov_b32_e32 v16, s11
	v_cndmask_b32_e32 v11, v16, v11, vcc
	s_xor_b64 s[0:1], s[26:27], s[22:23]
	v_xor_b32_e32 v11, s0, v11
	v_xor_b32_e32 v16, s1, v10
	v_mov_b32_e32 v17, s1
	v_subrev_co_u32_e32 v10, vcc, s0, v11
	v_subb_co_u32_e32 v11, vcc, v16, v17, vcc
	s_cbranch_execnz .LBB33_36
.LBB33_35:
	v_cvt_f32_u32_e32 v10, s14
	s_sub_i32 s0, 0, s14
	s_mov_b32 s1, 0
	v_rcp_iflag_f32_e32 v10, v10
	v_mul_f32_e32 v10, 0x4f7ffffe, v10
	v_cvt_u32_f32_e32 v10, v10
	v_readfirstlane_b32 s11, v10
	s_mul_i32 s0, s0, s11
	s_mul_hi_u32 s0, s11, s0
	s_add_i32 s11, s11, s0
	s_mul_hi_u32 s0, s10, s11
	s_mul_i32 s12, s0, s14
	s_sub_i32 s10, s10, s12
	s_add_i32 s11, s0, 1
	s_sub_i32 s12, s10, s14
	s_cmp_ge_u32 s10, s14
	s_cselect_b32 s0, s11, s0
	s_cselect_b32 s10, s12, s10
	s_add_i32 s11, s0, 1
	s_cmp_ge_u32 s10, s14
	s_cselect_b32 s0, s11, s0
	v_pk_mov_b32 v[10:11], s[0:1], s[0:1] op_sel:[0,1]
.LBB33_36:
	v_add_co_u32_e32 v10, vcc, v10, v15
	v_addc_co_u32_e32 v11, vcc, 0, v11, vcc
	s_branch .LBB33_39
.LBB33_37:
                                        ; implicit-def: $vgpr10_vgpr11
	s_cbranch_execz .LBB33_39
; %bb.38:
	v_mul_lo_u32 v10, v15, s8
	v_ashrrev_i32_e32 v11, 31, v10
	v_mov_b32_e32 v15, s7
	v_add_co_u32_e32 v10, vcc, s6, v10
	v_addc_co_u32_e32 v11, vcc, v11, v15, vcc
.LBB33_39:
	s_mov_b64 s[0:1], exec
.LBB33_40:
	s_or_b64 exec, exec, s[4:5]
	s_and_b64 vcc, exec, s[2:3]
	s_cbranch_vccz .LBB33_42
.LBB33_41:
	v_mov_b32_dpp v10, v12 quad_perm:[1,0,3,2] row_mask:0xf bank_mask:0xf
	v_cmp_gt_f32_e32 vcc, v12, v10
	v_cndmask_b32_e32 v10, v10, v12, vcc
	s_andn2_b64 s[0:1], s[0:1], exec
	s_nop 0
	v_mov_b32_dpp v11, v10 quad_perm:[2,3,0,1] row_mask:0xf bank_mask:0xf
	v_cmp_gt_f32_e32 vcc, v10, v11
	v_cndmask_b32_e32 v10, v11, v10, vcc
	s_nop 1
	v_mov_b32_dpp v11, v10 row_half_mirror row_mask:0xf bank_mask:0xf
	v_cmp_gt_f32_e32 vcc, v10, v11
	v_cndmask_b32_e32 v10, v11, v10, vcc
	s_nop 1
	v_mov_b32_dpp v11, v10 row_mirror row_mask:0xf bank_mask:0xf
	v_cmp_gt_f32_e32 vcc, v10, v11
	v_cndmask_b32_e32 v10, v11, v10, vcc
	s_nop 1
	v_mov_b32_dpp v11, v10 row_bcast:15 row_mask:0xf bank_mask:0xf
	v_cmp_gt_f32_e32 vcc, v10, v11
	v_cndmask_b32_e32 v10, v11, v10, vcc
	s_nop 1
	v_mov_b32_dpp v11, v10 row_bcast:31 row_mask:0xf bank_mask:0xf
	v_cmp_gt_f32_e32 vcc, v10, v11
	v_cndmask_b32_e32 v10, v11, v10, vcc
	ds_bpermute_b32 v10, v14, v10
	v_cmp_eq_u32_e32 vcc, 0, v0
	s_and_b64 s[2:3], vcc, exec
	s_or_b64 s[0:1], s[0:1], s[2:3]
	s_waitcnt lgkmcnt(0)
	v_mul_f32_e32 v13, 0x3c010204, v10
	v_pk_mov_b32 v[10:11], s[6:7], s[6:7] op_sel:[0,1]
.LBB33_42:
	s_and_saveexec_b64 s[2:3], s[0:1]
	s_cbranch_execz .LBB33_44
; %bb.43:
	v_lshlrev_b64 v[10:11], 2, v[10:11]
	v_mov_b32_e32 v0, s21
	v_add_co_u32_e32 v10, vcc, s20, v10
	v_addc_co_u32_e32 v11, vcc, v0, v11, vcc
	global_store_dword v[10:11], v13, off
.LBB33_44:
	s_or_b64 exec, exec, s[2:3]
	s_add_i32 s0, s9, 3
	s_ashr_i32 s1, s0, 31
	s_lshr_b32 s1, s1, 30
	;;#ASMSTART
	v_rcp_f32 v10, v13
	;;#ASMEND
	v_mov_b32_e32 v11, v10
	;;#ASMSTART
	v_pk_mul_f32 v[8:9], v[8:9], v[10:11]
	;;#ASMEND
	;;#ASMSTART
	v_pk_mul_f32 v[6:7], v[6:7], v[10:11]
	;;#ASMEND
	s_add_i32 s0, s0, s1
	v_cvt_i32_f32_e32 v0, v8
	v_cvt_i32_f32_sdwa v8, v9 dst_sel:BYTE_1 dst_unused:UNUSED_PAD src0_sel:DWORD
	v_cvt_i32_f32_e32 v6, v6
	v_cvt_i32_f32_sdwa v7, v7 dst_sel:BYTE_1 dst_unused:UNUSED_PAD src0_sel:DWORD
	;;#ASMSTART
	v_pk_mul_f32 v[4:5], v[4:5], v[10:11]
	;;#ASMEND
	;;#ASMSTART
	v_pk_mul_f32 v[2:3], v[2:3], v[10:11]
	;;#ASMEND
	s_and_b32 s2, s0, -4
	s_ashr_i32 s0, s13, 31
	v_cvt_i32_f32_e32 v4, v4
	v_cvt_i32_f32_sdwa v5, v5 dst_sel:BYTE_1 dst_unused:UNUSED_PAD src0_sel:DWORD
	v_cvt_i32_f32_e32 v9, v2
	v_cvt_i32_f32_sdwa v3, v3 dst_sel:BYTE_1 dst_unused:UNUSED_PAD src0_sel:DWORD
	s_mul_hi_u32 s1, s13, s6
	s_mul_i32 s0, s0, s6
	s_add_i32 s1, s1, s0
	s_mul_i32 s0, s13, s6
	s_add_u32 s0, s16, s0
	v_or_b32_sdwa v0, v0, v8 dst_sel:DWORD dst_unused:UNUSED_PAD src0_sel:BYTE_0 src1_sel:DWORD
	v_or_b32_sdwa v2, v6, v7 dst_sel:WORD_1 dst_unused:UNUSED_PAD src0_sel:BYTE_0 src1_sel:DWORD
	s_addc_u32 s1, s17, s1
	v_or_b32_sdwa v2, v0, v2 dst_sel:DWORD dst_unused:UNUSED_PAD src0_sel:WORD_0 src1_sel:DWORD
	v_or_b32_sdwa v0, v4, v5 dst_sel:DWORD dst_unused:UNUSED_PAD src0_sel:BYTE_0 src1_sel:DWORD
	v_or_b32_sdwa v3, v9, v3 dst_sel:WORD_1 dst_unused:UNUSED_PAD src0_sel:BYTE_0 src1_sel:DWORD
	s_and_b32 s1, s1, 0xffff
	s_mov_b32 s3, 0x20000
	v_or_b32_sdwa v3, v0, v3 dst_sel:DWORD dst_unused:UNUSED_PAD src0_sel:WORD_0 src1_sel:DWORD
	buffer_store_dwordx2 v[2:3], v1, s[0:3], 0 offen
	;;#ASMSTART
	s_nop 0
	;;#ASMEND
.LBB33_45:
	s_endpgm
.LBB33_46:
                                        ; implicit-def: $vgpr10_vgpr11
	s_branch .LBB33_35
	.section	.rodata,"a",@progbits
	.p2align	6, 0x0
	.amdhsa_kernel _ZN5aiter24add_rmsnorm_quant_kernelIDF16_aLi64ELi8ELb1ELb1ELb1ELi1EEEvPT0_PT_PfS4_S4_S4_diiiiiiib
		.amdhsa_group_segment_fixed_size 0
		.amdhsa_private_segment_fixed_size 0
		.amdhsa_kernarg_size 88
		.amdhsa_user_sgpr_count 6
		.amdhsa_user_sgpr_private_segment_buffer 1
		.amdhsa_user_sgpr_dispatch_ptr 0
		.amdhsa_user_sgpr_queue_ptr 0
		.amdhsa_user_sgpr_kernarg_segment_ptr 1
		.amdhsa_user_sgpr_dispatch_id 0
		.amdhsa_user_sgpr_flat_scratch_init 0
		.amdhsa_user_sgpr_kernarg_preload_length 0
		.amdhsa_user_sgpr_kernarg_preload_offset 0
		.amdhsa_user_sgpr_private_segment_size 0
		.amdhsa_uses_dynamic_stack 0
		.amdhsa_system_sgpr_private_segment_wavefront_offset 0
		.amdhsa_system_sgpr_workgroup_id_x 1
		.amdhsa_system_sgpr_workgroup_id_y 0
		.amdhsa_system_sgpr_workgroup_id_z 0
		.amdhsa_system_sgpr_workgroup_info 0
		.amdhsa_system_vgpr_workitem_id 0
		.amdhsa_next_free_vgpr 38
		.amdhsa_next_free_sgpr 40
		.amdhsa_accum_offset 40
		.amdhsa_reserve_vcc 1
		.amdhsa_reserve_flat_scratch 0
		.amdhsa_float_round_mode_32 0
		.amdhsa_float_round_mode_16_64 0
		.amdhsa_float_denorm_mode_32 3
		.amdhsa_float_denorm_mode_16_64 3
		.amdhsa_dx10_clamp 1
		.amdhsa_ieee_mode 1
		.amdhsa_fp16_overflow 0
		.amdhsa_tg_split 0
		.amdhsa_exception_fp_ieee_invalid_op 0
		.amdhsa_exception_fp_denorm_src 0
		.amdhsa_exception_fp_ieee_div_zero 0
		.amdhsa_exception_fp_ieee_overflow 0
		.amdhsa_exception_fp_ieee_underflow 0
		.amdhsa_exception_fp_ieee_inexact 0
		.amdhsa_exception_int_div_zero 0
	.end_amdhsa_kernel
	.section	.text._ZN5aiter24add_rmsnorm_quant_kernelIDF16_aLi64ELi8ELb1ELb1ELb1ELi1EEEvPT0_PT_PfS4_S4_S4_diiiiiiib,"axG",@progbits,_ZN5aiter24add_rmsnorm_quant_kernelIDF16_aLi64ELi8ELb1ELb1ELb1ELi1EEEvPT0_PT_PfS4_S4_S4_diiiiiiib,comdat
.Lfunc_end33:
	.size	_ZN5aiter24add_rmsnorm_quant_kernelIDF16_aLi64ELi8ELb1ELb1ELb1ELi1EEEvPT0_PT_PfS4_S4_S4_diiiiiiib, .Lfunc_end33-_ZN5aiter24add_rmsnorm_quant_kernelIDF16_aLi64ELi8ELb1ELb1ELb1ELi1EEEvPT0_PT_PfS4_S4_S4_diiiiiiib
                                        ; -- End function
	.section	.AMDGPU.csdata,"",@progbits
; Kernel info:
; codeLenInByte = 3096
; NumSgprs: 44
; NumVgprs: 38
; NumAgprs: 0
; TotalNumVgprs: 38
; ScratchSize: 0
; MemoryBound: 0
; FloatMode: 240
; IeeeMode: 1
; LDSByteSize: 0 bytes/workgroup (compile time only)
; SGPRBlocks: 5
; VGPRBlocks: 4
; NumSGPRsForWavesPerEU: 44
; NumVGPRsForWavesPerEU: 38
; AccumOffset: 40
; Occupancy: 8
; WaveLimiterHint : 0
; COMPUTE_PGM_RSRC2:SCRATCH_EN: 0
; COMPUTE_PGM_RSRC2:USER_SGPR: 6
; COMPUTE_PGM_RSRC2:TRAP_HANDLER: 0
; COMPUTE_PGM_RSRC2:TGID_X_EN: 1
; COMPUTE_PGM_RSRC2:TGID_Y_EN: 0
; COMPUTE_PGM_RSRC2:TGID_Z_EN: 0
; COMPUTE_PGM_RSRC2:TIDIG_COMP_CNT: 0
; COMPUTE_PGM_RSRC3_GFX90A:ACCUM_OFFSET: 9
; COMPUTE_PGM_RSRC3_GFX90A:TG_SPLIT: 0
	.section	.text._ZN5aiter24add_rmsnorm_quant_kernelItaLi64ELi8ELb1ELb1ELb1ELi1EEEvPT0_PT_PfS4_S4_S4_diiiiiiib,"axG",@progbits,_ZN5aiter24add_rmsnorm_quant_kernelItaLi64ELi8ELb1ELb1ELb1ELi1EEEvPT0_PT_PfS4_S4_S4_diiiiiiib,comdat
	.protected	_ZN5aiter24add_rmsnorm_quant_kernelItaLi64ELi8ELb1ELb1ELb1ELi1EEEvPT0_PT_PfS4_S4_S4_diiiiiiib ; -- Begin function _ZN5aiter24add_rmsnorm_quant_kernelItaLi64ELi8ELb1ELb1ELb1ELi1EEEvPT0_PT_PfS4_S4_S4_diiiiiiib
	.globl	_ZN5aiter24add_rmsnorm_quant_kernelItaLi64ELi8ELb1ELb1ELb1ELi1EEEvPT0_PT_PfS4_S4_S4_diiiiiiib
	.p2align	8
	.type	_ZN5aiter24add_rmsnorm_quant_kernelItaLi64ELi8ELb1ELb1ELb1ELi1EEEvPT0_PT_PfS4_S4_S4_diiiiiiib,@function
_ZN5aiter24add_rmsnorm_quant_kernelItaLi64ELi8ELb1ELb1ELb1ELi1EEEvPT0_PT_PfS4_S4_S4_diiiiiiib: ; @_ZN5aiter24add_rmsnorm_quant_kernelItaLi64ELi8ELb1ELb1ELb1ELi1EEEvPT0_PT_PfS4_S4_S4_diiiiiiib
; %bb.0:
	s_load_dwordx8 s[8:15], s[4:5], 0x38
	s_mov_b32 s7, 0
	s_waitcnt lgkmcnt(0)
	s_ashr_i32 s0, s8, 31
	v_mov_b32_e32 v2, s8
	v_mov_b32_e32 v3, s0
	v_cmp_ge_i64_e32 vcc, s[6:7], v[2:3]
	s_cbranch_vccnz .LBB34_45
; %bb.1:
	s_load_dwordx8 s[16:23], s[4:5], 0x0
	s_load_dwordx8 s[24:31], s[4:5], 0x20
	s_ashr_i32 s0, s10, 31
	s_mul_hi_u32 s1, s10, s6
	s_mul_i32 s0, s0, s6
	s_add_i32 s1, s1, s0
	s_mul_i32 s0, s10, s6
	s_lshl_b64 s[0:1], s[0:1], 1
	s_waitcnt lgkmcnt(0)
	s_add_u32 s0, s22, s0
	s_addc_u32 s1, s23, s1
	s_add_i32 s2, s9, 1
	s_lshr_b32 s3, s2, 31
	s_add_i32 s2, s2, s3
	s_lshl_b32 s2, s2, 1
	s_and_b32 s2, s2, -4
	s_and_b32 s1, s1, 0xffff
	s_mov_b32 s3, 0x20000
	v_lshlrev_b32_e32 v15, 4, v0
	buffer_load_dwordx4 v[6:9], v15, s[0:3], 0 offen glc slc
	s_ashr_i32 s0, s11, 31
	s_mul_hi_u32 s1, s11, s6
	s_mul_i32 s0, s0, s6
	s_add_i32 s1, s1, s0
	s_mul_i32 s0, s11, s6
	s_and_b32 s37, s27, 0xffff
	s_lshl_b64 s[0:1], s[0:1], 1
	s_add_u32 s0, s24, s0
	s_addc_u32 s1, s25, s1
	s_mov_b32 s36, s26
	s_mov_b32 s38, s2
	;; [unrolled: 1-line block ×3, first 2 shown]
	s_and_b32 s1, s1, 0xffff
	buffer_load_dwordx4 v[2:5], v15, s[36:39], 0 offen
	buffer_load_dwordx4 v[10:13], v15, s[0:3], 0 offen glc slc
	v_mbcnt_lo_u32_b32 v14, -1, 0
	v_mbcnt_hi_u32_b32 v14, -1, v14
	v_lshlrev_b32_e32 v16, 2, v14
	v_or_b32_e32 v14, 0xfc, v16
	v_cvt_f32_i32_e32 v17, s9
	s_ashr_i32 s4, s12, 31
	s_mul_hi_u32 s1, s12, s6
	s_mul_i32 s4, s4, s6
	s_add_i32 s1, s1, s4
	s_mov_b32 s11, 0x800000
	s_mul_i32 s0, s12, s6
	s_lshl_b64 s[0:1], s[0:1], 1
	s_add_u32 s0, s18, s0
	s_mov_b32 s10, 0x7060302
	s_addc_u32 s1, s19, s1
	s_and_b32 s1, s1, 0xffff
	v_mov_b32_e32 v34, 0x2edbe6ff
	v_lshlrev_b32_e32 v1, 3, v0
	s_cmp_lg_u32 s14, 0
	s_waitcnt vmcnt(2)
	v_cvt_f32_u32_sdwa v19, v6 dst_sel:DWORD dst_unused:UNUSED_PAD src0_sel:WORD_1
	v_cvt_f32_u32_sdwa v18, v6 dst_sel:DWORD dst_unused:UNUSED_PAD src0_sel:WORD_0
	v_cvt_f32_u32_sdwa v21, v7 dst_sel:DWORD dst_unused:UNUSED_PAD src0_sel:WORD_1
	v_cvt_f32_u32_sdwa v20, v7 dst_sel:DWORD dst_unused:UNUSED_PAD src0_sel:WORD_0
	;; [unrolled: 2-line block ×4, first 2 shown]
	s_waitcnt vmcnt(1)
	v_cvt_f32_u32_sdwa v9, v2 dst_sel:DWORD dst_unused:UNUSED_PAD src0_sel:WORD_1
	v_cvt_f32_u32_sdwa v8, v2 dst_sel:DWORD dst_unused:UNUSED_PAD src0_sel:WORD_0
	v_cvt_f32_u32_sdwa v25, v3 dst_sel:DWORD dst_unused:UNUSED_PAD src0_sel:WORD_1
	v_cvt_f32_u32_sdwa v24, v3 dst_sel:DWORD dst_unused:UNUSED_PAD src0_sel:WORD_0
	s_waitcnt vmcnt(0)
	v_cvt_f32_u32_sdwa v3, v10 dst_sel:DWORD dst_unused:UNUSED_PAD src0_sel:WORD_1
	v_cvt_f32_u32_sdwa v2, v10 dst_sel:DWORD dst_unused:UNUSED_PAD src0_sel:WORD_0
	v_cvt_f32_u32_sdwa v31, v11 dst_sel:DWORD dst_unused:UNUSED_PAD src0_sel:WORD_1
	v_cvt_f32_u32_sdwa v30, v11 dst_sel:DWORD dst_unused:UNUSED_PAD src0_sel:WORD_0
	;; [unrolled: 2-line block ×4, first 2 shown]
	v_pk_add_f32 v[12:13], v[18:19], v[2:3]
	v_pk_add_f32 v[18:19], v[20:21], v[30:31]
	v_pk_mul_f32 v[2:3], v[12:13], v[12:13]
	v_pk_mul_f32 v[20:21], v[18:19], v[18:19]
	v_add_f32_e32 v2, v2, v3
	v_pk_add_f32 v[6:7], v[6:7], v[10:11]
	v_add_f32_e32 v2, v20, v2
	v_pk_add_f32 v[10:11], v[22:23], v[32:33]
	v_pk_mul_f32 v[22:23], v[6:7], v[6:7]
	v_add_f32_e32 v2, v21, v2
	v_add_f32_e32 v2, v22, v2
	v_pk_mul_f32 v[30:31], v[10:11], v[10:11]
	v_add_f32_e32 v2, v23, v2
	v_add_f32_e32 v2, v30, v2
	;; [unrolled: 1-line block ×3, first 2 shown]
	v_cvt_f32_u32_sdwa v27, v4 dst_sel:DWORD dst_unused:UNUSED_PAD src0_sel:WORD_1
	v_cvt_f32_u32_sdwa v26, v4 dst_sel:DWORD dst_unused:UNUSED_PAD src0_sel:WORD_0
	v_mov_b32_dpp v3, v2 quad_perm:[1,0,3,2] row_mask:0xf bank_mask:0xf
	v_add_f32_e32 v2, v2, v3
	v_cvt_f32_u32_sdwa v29, v5 dst_sel:DWORD dst_unused:UNUSED_PAD src0_sel:WORD_1
	v_cvt_f32_u32_sdwa v28, v5 dst_sel:DWORD dst_unused:UNUSED_PAD src0_sel:WORD_0
	v_mov_b32_dpp v3, v2 quad_perm:[2,3,0,1] row_mask:0xf bank_mask:0xf
	v_add_f32_e32 v2, v2, v3
	v_perm_b32 v5, v11, v10, s10
	v_perm_b32 v4, v7, v6, s10
	v_mov_b32_dpp v3, v2 row_half_mirror row_mask:0xf bank_mask:0xf
	v_add_f32_e32 v2, v2, v3
	s_nop 1
	v_mov_b32_dpp v3, v2 row_mirror row_mask:0xf bank_mask:0xf
	v_add_f32_e32 v2, v2, v3
	s_nop 1
	v_mov_b32_dpp v3, v2 row_bcast:15 row_mask:0xf bank_mask:0xf
	v_add_f32_e32 v2, v2, v3
	s_nop 1
	v_mov_b32_dpp v3, v2 row_bcast:31 row_mask:0xf bank_mask:0xf
	v_add_f32_e32 v2, v2, v3
	ds_bpermute_b32 v2, v14, v2
	v_perm_b32 v3, v19, v18, s10
	s_waitcnt lgkmcnt(0)
	v_div_scale_f32 v20, s[4:5], v17, v17, v2
	v_rcp_f32_e32 v21, v20
	v_div_scale_f32 v22, vcc, v2, v17, v2
	v_fma_f32 v23, -v20, v21, 1.0
	v_fmac_f32_e32 v21, v23, v21
	v_mul_f32_e32 v23, v22, v21
	v_fma_f32 v30, -v20, v23, v22
	v_fmac_f32_e32 v23, v30, v21
	v_fma_f32 v20, -v20, v23, v22
	v_div_fmas_f32 v20, v20, v21, v23
	v_div_fixup_f32 v2, v20, v17, v2
	v_cvt_f64_f32_e32 v[20:21], v2
	v_add_f64 v[20:21], v[20:21], s[28:29]
	v_cvt_f32_f64_e32 v2, v[20:21]
	v_mul_f32_e32 v17, 0x4b800000, v2
	v_cmp_gt_f32_e32 vcc, s11, v2
	v_cndmask_b32_e32 v2, v2, v17, vcc
	v_rsq_f32_e32 v17, v2
	v_perm_b32 v2, v13, v12, s10
	buffer_store_dwordx4 v[2:5], v15, s[0:3], 0 offen glc slc
	;;#ASMSTART
	s_nop 0
	;;#ASMEND
	s_nop 0
	v_mul_f32_e32 v2, 0x45800000, v17
	v_cndmask_b32_e32 v2, v17, v2, vcc
	v_mov_b32_e32 v3, v2
	;;#ASMSTART
	v_pk_mul_f32 v[4:5], v[12:13], v[2:3]
	;;#ASMEND
	;;#ASMSTART
	v_pk_mul_f32 v[12:13], v[18:19], v[2:3]
	;;#ASMEND
	;; [unrolled: 3-line block ×5, first 2 shown]
	v_and_b32_e32 v10, 0x7fffffff, v8
	;;#ASMSTART
	v_pk_mul_f32 v[6:7], v[12:13], v[24:25]
	;;#ASMEND
	;;#ASMSTART
	v_pk_mul_f32 v[4:5], v[18:19], v[26:27]
	;;#ASMEND
	;; [unrolled: 3-line block ×3, first 2 shown]
	v_and_b32_e32 v11, 0x7fffffff, v9
	;;#ASMSTART
	v_max3_f32 v10, v34, v10, v11

	;;#ASMEND
	v_and_b32_e32 v12, 0x7fffffff, v6
	v_and_b32_e32 v13, 0x7fffffff, v7
	;;#ASMSTART
	v_max3_f32 v10, v10, v12, v13

	;;#ASMEND
	v_and_b32_e32 v15, 0x7fffffff, v4
	v_and_b32_e32 v17, 0x7fffffff, v5
	;; [unrolled: 1-line block ×4, first 2 shown]
	;;#ASMSTART
	v_max3_f32 v10, v10, v15, v17

	;;#ASMEND
	;;#ASMSTART
	v_max3_f32 v12, v10, v18, v19

	;;#ASMEND
	s_cbranch_scc0 .LBB34_8
; %bb.2:
	s_ashr_i32 s12, s14, 31
	s_lshr_b32 s0, s12, 29
	s_add_i32 s0, s14, s0
	s_ashr_i32 s4, s0, 3
	s_cmp_lt_i32 s4, 16
	s_cbranch_scc1 .LBB34_9
; %bb.3:
	s_cmp_lt_i32 s4, 32
	s_cbranch_scc1 .LBB34_10
; %bb.4:
	;; [unrolled: 3-line block ×3, first 2 shown]
	s_cmp_eq_u32 s4, 64
	v_mov_b32_e32 v10, v12
	s_cbranch_scc0 .LBB34_7
; %bb.6:
	s_nop 0
	v_mov_b32_dpp v10, v12 quad_perm:[1,0,3,2] row_mask:0xf bank_mask:0xf
	v_cmp_gt_f32_e32 vcc, v12, v10
	v_cndmask_b32_e32 v10, v10, v12, vcc
	s_nop 1
	v_mov_b32_dpp v11, v10 quad_perm:[2,3,0,1] row_mask:0xf bank_mask:0xf
	v_cmp_gt_f32_e32 vcc, v10, v11
	v_cndmask_b32_e32 v10, v11, v10, vcc
	s_nop 1
	v_mov_b32_dpp v11, v10 row_ror:4 row_mask:0xf bank_mask:0xf
	v_cmp_gt_f32_e32 vcc, v10, v11
	v_cndmask_b32_e32 v10, v11, v10, vcc
	s_nop 1
	v_mov_b32_dpp v11, v10 row_ror:8 row_mask:0xf bank_mask:0xf
	v_cmp_gt_f32_e32 vcc, v10, v11
	v_cndmask_b32_e32 v10, v11, v10, vcc
	s_nop 1
	v_mov_b32_dpp v11, v10 row_bcast:15 row_mask:0xf bank_mask:0xf
	v_cmp_gt_f32_e32 vcc, v10, v11
	v_cndmask_b32_e32 v10, v11, v10, vcc
	s_nop 1
	v_mov_b32_dpp v11, v10 row_bcast:31 row_mask:0xf bank_mask:0xf
	v_cmp_gt_f32_e32 vcc, v10, v11
	v_cndmask_b32_e32 v10, v11, v10, vcc
	ds_bpermute_b32 v10, v14, v10
.LBB34_7:
	s_mov_b64 s[0:1], 0
	s_branch .LBB34_12
.LBB34_8:
	s_mov_b64 s[0:1], 0
                                        ; implicit-def: $vgpr13
                                        ; implicit-def: $vgpr10_vgpr11
	s_cbranch_execnz .LBB34_41
	s_branch .LBB34_42
.LBB34_9:
                                        ; implicit-def: $vgpr10
	s_branch .LBB34_19
.LBB34_10:
                                        ; implicit-def: $vgpr10
	s_branch .LBB34_16
.LBB34_11:
	s_mov_b64 s[0:1], -1
                                        ; implicit-def: $vgpr10
.LBB34_12:
	s_andn2_b64 vcc, exec, s[0:1]
	s_cbranch_vccnz .LBB34_15
; %bb.13:
	s_cmp_eq_u32 s4, 32
	s_waitcnt lgkmcnt(0)
	v_mov_b32_e32 v10, v12
	s_cbranch_scc0 .LBB34_15
; %bb.14:
	s_nop 0
	v_mov_b32_dpp v10, v12 quad_perm:[1,0,3,2] row_mask:0xf bank_mask:0xf
	v_cmp_gt_f32_e32 vcc, v12, v10
	v_cndmask_b32_e32 v10, v10, v12, vcc
	s_nop 1
	v_mov_b32_dpp v11, v10 quad_perm:[2,3,0,1] row_mask:0xf bank_mask:0xf
	v_cmp_gt_f32_e32 vcc, v10, v11
	v_cndmask_b32_e32 v10, v11, v10, vcc
	s_nop 1
	v_mov_b32_dpp v11, v10 row_half_mirror row_mask:0xf bank_mask:0xf
	v_cmp_gt_f32_e32 vcc, v10, v11
	v_cndmask_b32_e32 v10, v11, v10, vcc
	s_nop 1
	v_mov_b32_dpp v11, v10 row_mirror row_mask:0xf bank_mask:0xf
	v_cmp_gt_f32_e32 vcc, v10, v11
	v_cndmask_b32_e32 v10, v11, v10, vcc
	s_nop 1
	v_mov_b32_dpp v11, v10 row_bcast:15 row_mask:0xa bank_mask:0xf
	v_cmp_gt_f32_e32 vcc, v10, v11
	v_cndmask_b32_e32 v10, v11, v10, vcc
	v_or_b32_e32 v11, 0x7c, v16
	ds_bpermute_b32 v10, v11, v10
.LBB34_15:
	s_cbranch_execnz .LBB34_18
.LBB34_16:
	s_cmp_eq_u32 s4, 16
	s_waitcnt lgkmcnt(0)
	v_mov_b32_e32 v10, v12
	s_cbranch_scc0 .LBB34_18
; %bb.17:
	s_nop 0
	v_mov_b32_dpp v10, v12 quad_perm:[1,0,3,2] row_mask:0xf bank_mask:0xf
	v_cmp_gt_f32_e32 vcc, v12, v10
	v_cndmask_b32_e32 v10, v10, v12, vcc
	s_nop 1
	v_mov_b32_dpp v11, v10 quad_perm:[2,3,0,1] row_mask:0xf bank_mask:0xf
	v_cmp_gt_f32_e32 vcc, v10, v11
	v_cndmask_b32_e32 v10, v11, v10, vcc
	s_nop 1
	v_mov_b32_dpp v11, v10 row_half_mirror row_mask:0xf bank_mask:0xf
	v_cmp_gt_f32_e32 vcc, v10, v11
	v_cndmask_b32_e32 v10, v11, v10, vcc
	s_nop 1
	v_mov_b32_dpp v11, v10 row_mirror row_mask:0xf bank_mask:0xf
	v_cmp_gt_f32_e32 vcc, v10, v11
	v_cndmask_b32_e32 v10, v11, v10, vcc
.LBB34_18:
	s_cbranch_execnz .LBB34_31
.LBB34_19:
	s_cmp_lt_i32 s4, 4
	s_cbranch_scc1 .LBB34_23
; %bb.20:
	s_cmp_lt_i32 s4, 8
	s_cbranch_scc1 .LBB34_24
; %bb.21:
	s_cmp_eq_u32 s4, 8
	s_waitcnt lgkmcnt(0)
	v_mov_b32_e32 v10, v12
	s_cbranch_scc0 .LBB34_25
; %bb.22:
	s_nop 0
	v_mov_b32_dpp v10, v12 quad_perm:[1,0,3,2] row_mask:0xf bank_mask:0xf
	v_cmp_gt_f32_e32 vcc, v12, v10
	v_cndmask_b32_e32 v10, v10, v12, vcc
	s_nop 1
	v_mov_b32_dpp v11, v10 quad_perm:[2,3,0,1] row_mask:0xf bank_mask:0xf
	v_cmp_gt_f32_e32 vcc, v10, v11
	v_cndmask_b32_e32 v10, v11, v10, vcc
	s_nop 1
	v_mov_b32_dpp v11, v10 row_half_mirror row_mask:0xf bank_mask:0xf
	v_cmp_gt_f32_e32 vcc, v10, v11
	v_cndmask_b32_e32 v10, v11, v10, vcc
	s_cbranch_execz .LBB34_26
	s_branch .LBB34_28
.LBB34_23:
                                        ; implicit-def: $vgpr10
	s_branch .LBB34_29
.LBB34_24:
                                        ; implicit-def: $vgpr10
	s_branch .LBB34_26
.LBB34_25:
	s_cbranch_execnz .LBB34_28
.LBB34_26:
	s_cmp_eq_u32 s4, 4
	s_waitcnt lgkmcnt(0)
	v_mov_b32_e32 v10, v12
	s_cbranch_scc0 .LBB34_28
; %bb.27:
	s_nop 0
	v_mov_b32_dpp v10, v12 quad_perm:[1,0,3,2] row_mask:0xf bank_mask:0xf
	v_cmp_gt_f32_e32 vcc, v12, v10
	v_cndmask_b32_e32 v10, v10, v12, vcc
	s_nop 1
	v_mov_b32_dpp v11, v10 quad_perm:[2,3,0,1] row_mask:0xf bank_mask:0xf
	v_cmp_gt_f32_e32 vcc, v10, v11
	v_cndmask_b32_e32 v10, v11, v10, vcc
.LBB34_28:
	s_cbranch_execnz .LBB34_31
.LBB34_29:
	s_cmp_lg_u32 s4, 2
	s_waitcnt lgkmcnt(0)
	v_mov_b32_e32 v10, v12
	s_cbranch_scc1 .LBB34_31
; %bb.30:
	s_nop 0
	v_mov_b32_dpp v10, v12 quad_perm:[1,0,3,2] row_mask:0xf bank_mask:0xf
	v_cmp_gt_f32_e32 vcc, v12, v10
	v_cndmask_b32_e32 v10, v10, v12, vcc
.LBB34_31:
	v_cvt_f32_u32_e32 v11, s4
	s_waitcnt lgkmcnt(0)
	v_mul_f32_e32 v13, 0x3c010204, v10
	s_sub_i32 s0, 0, s4
	v_cmp_gt_u32_e32 vcc, s9, v1
	v_rcp_iflag_f32_e32 v11, v11
	s_mov_b64 s[2:3], 0
	v_mul_f32_e32 v10, 0x4f7ffffe, v11
	v_cvt_u32_f32_e32 v10, v10
	v_mul_lo_u32 v11, s0, v10
	v_mul_hi_u32 v11, v10, v11
	v_add_u32_e32 v10, v10, v11
	v_mul_hi_u32 v10, v0, v10
	v_mul_lo_u32 v11, v10, s4
	v_sub_u32_e32 v11, v0, v11
	v_add_u32_e32 v15, 1, v10
	v_cmp_le_u32_e64 s[0:1], s4, v11
	v_cndmask_b32_e64 v10, v10, v15, s[0:1]
	v_subrev_u32_e32 v15, s4, v11
	v_cndmask_b32_e64 v11, v11, v15, s[0:1]
	v_add_u32_e32 v15, 1, v10
	v_cmp_le_u32_e64 s[0:1], s4, v11
	v_cndmask_b32_e64 v15, v10, v15, s[0:1]
	v_mul_lo_u32 v10, v15, s4
	v_sub_u32_e32 v10, v0, v10
	v_cmp_eq_u32_e64 s[0:1], 0, v10
	s_and_b64 s[4:5], s[0:1], vcc
	s_mov_b64 s[0:1], 0
                                        ; implicit-def: $vgpr10_vgpr11
	s_and_saveexec_b64 s[10:11], s[4:5]
	s_xor_b64 s[4:5], exec, s[10:11]
	s_cbranch_execz .LBB34_40
; %bb.32:
	s_bitcmp0_b32 s15, 0
	s_cbranch_scc0 .LBB34_37
; %bb.33:
	s_ashr_i32 s0, s9, 31
	s_mul_hi_u32 s1, s9, s6
	s_mul_i32 s0, s0, s6
	s_add_i32 s11, s1, s0
	s_mul_i32 s10, s9, s6
	s_mov_b32 s15, s12
	s_or_b64 s[0:1], s[10:11], s[14:15]
	s_mov_b32 s0, 0
	s_cmp_lg_u64 s[0:1], 0
	s_cbranch_scc0 .LBB34_46
; %bb.34:
	s_add_u32 s0, s14, s15
	s_mov_b32 s22, s15
	s_mov_b32 s23, s15
	s_addc_u32 s1, s15, s15
	s_xor_b64 s[24:25], s[0:1], s[22:23]
	v_cvt_f32_u32_e32 v10, s24
	v_cvt_f32_u32_e32 v11, s25
	s_sub_u32 s0, 0, s24
	s_subb_u32 s1, 0, s25
	v_madmk_f32 v10, v11, 0x4f800000, v10
	v_rcp_f32_e32 v10, v10
	v_mul_f32_e32 v10, 0x5f7ffffc, v10
	v_mul_f32_e32 v11, 0x2f800000, v10
	v_trunc_f32_e32 v11, v11
	v_madmk_f32 v10, v11, 0xcf800000, v10
	v_cvt_u32_f32_e32 v11, v11
	v_cvt_u32_f32_e32 v10, v10
	v_readfirstlane_b32 s12, v11
	v_readfirstlane_b32 s15, v10
	s_mul_i32 s26, s0, s12
	s_mul_hi_u32 s28, s0, s15
	s_mul_i32 s27, s1, s15
	s_add_i32 s26, s28, s26
	s_add_i32 s26, s26, s27
	s_mul_i32 s29, s0, s15
	s_mul_hi_u32 s27, s15, s26
	s_mul_i32 s28, s15, s26
	s_mul_hi_u32 s15, s15, s29
	s_add_u32 s15, s15, s28
	s_addc_u32 s27, 0, s27
	s_mul_hi_u32 s30, s12, s29
	s_mul_i32 s29, s12, s29
	s_add_u32 s15, s15, s29
	s_mul_hi_u32 s28, s12, s26
	s_addc_u32 s15, s27, s30
	s_addc_u32 s27, s28, 0
	s_mul_i32 s26, s12, s26
	s_add_u32 s15, s15, s26
	s_addc_u32 s26, 0, s27
	v_add_co_u32_e32 v10, vcc, s15, v10
	s_cmp_lg_u64 vcc, 0
	s_addc_u32 s12, s12, s26
	v_readfirstlane_b32 s26, v10
	s_mul_i32 s15, s0, s12
	s_mul_hi_u32 s27, s0, s26
	s_add_i32 s15, s27, s15
	s_mul_i32 s1, s1, s26
	s_add_i32 s15, s15, s1
	s_mul_i32 s0, s0, s26
	s_mul_hi_u32 s27, s12, s0
	s_mul_i32 s28, s12, s0
	s_mul_i32 s30, s26, s15
	s_mul_hi_u32 s0, s26, s0
	s_mul_hi_u32 s29, s26, s15
	s_add_u32 s0, s0, s30
	s_addc_u32 s26, 0, s29
	s_add_u32 s0, s0, s28
	s_mul_hi_u32 s1, s12, s15
	s_addc_u32 s0, s26, s27
	s_addc_u32 s1, s1, 0
	s_mul_i32 s15, s12, s15
	s_add_u32 s0, s0, s15
	s_addc_u32 s1, 0, s1
	v_add_co_u32_e32 v10, vcc, s0, v10
	s_cmp_lg_u64 vcc, 0
	s_addc_u32 s12, s12, s1
	s_ashr_i32 s26, s11, 31
	s_add_u32 s0, s10, s26
	s_mov_b32 s27, s26
	s_addc_u32 s1, s11, s26
	s_xor_b64 s[28:29], s[0:1], s[26:27]
	v_readfirstlane_b32 s11, v10
	s_mul_i32 s1, s28, s12
	s_mul_hi_u32 s15, s28, s11
	s_mul_hi_u32 s0, s28, s12
	s_add_u32 s1, s15, s1
	s_addc_u32 s0, 0, s0
	s_mul_hi_u32 s30, s29, s11
	s_mul_i32 s11, s29, s11
	s_add_u32 s1, s1, s11
	s_mul_hi_u32 s15, s29, s12
	s_addc_u32 s0, s0, s30
	s_addc_u32 s1, s15, 0
	s_mul_i32 s11, s29, s12
	s_add_u32 s11, s0, s11
	s_addc_u32 s12, 0, s1
	s_mul_i32 s0, s24, s12
	s_mul_hi_u32 s1, s24, s11
	s_add_i32 s0, s1, s0
	s_mul_i32 s1, s25, s11
	s_add_i32 s15, s0, s1
	s_mul_i32 s1, s24, s11
	v_mov_b32_e32 v10, s1
	s_sub_i32 s0, s29, s15
	v_sub_co_u32_e32 v10, vcc, s28, v10
	s_cmp_lg_u64 vcc, 0
	s_subb_u32 s28, s0, s25
	v_subrev_co_u32_e64 v11, s[0:1], s24, v10
	s_cmp_lg_u64 s[0:1], 0
	s_subb_u32 s28, s28, 0
	s_cmp_ge_u32 s28, s25
	s_cselect_b32 s30, -1, 0
	v_cmp_le_u32_e64 s[0:1], s24, v11
	s_cmp_eq_u32 s28, s25
	v_cndmask_b32_e64 v11, 0, -1, s[0:1]
	v_mov_b32_e32 v16, s30
	s_cselect_b64 s[0:1], -1, 0
	v_cndmask_b32_e64 v11, v16, v11, s[0:1]
	s_add_u32 s0, s11, 1
	s_addc_u32 s28, s12, 0
	s_add_u32 s1, s11, 2
	s_addc_u32 s30, s12, 0
	v_mov_b32_e32 v16, s0
	v_mov_b32_e32 v17, s1
	v_cmp_ne_u32_e64 s[0:1], 0, v11
	v_cndmask_b32_e64 v11, v16, v17, s[0:1]
	v_mov_b32_e32 v16, s28
	v_mov_b32_e32 v17, s30
	s_cmp_lg_u64 vcc, 0
	v_cndmask_b32_e64 v16, v16, v17, s[0:1]
	s_subb_u32 s0, s29, s15
	s_cmp_ge_u32 s0, s25
	s_cselect_b32 s1, -1, 0
	v_cmp_le_u32_e32 vcc, s24, v10
	s_cmp_eq_u32 s0, s25
	v_cndmask_b32_e64 v10, 0, -1, vcc
	v_mov_b32_e32 v17, s1
	s_cselect_b64 vcc, -1, 0
	v_cndmask_b32_e32 v10, v17, v10, vcc
	v_mov_b32_e32 v17, s12
	v_cmp_ne_u32_e32 vcc, 0, v10
	v_cndmask_b32_e32 v10, v17, v16, vcc
	v_mov_b32_e32 v16, s11
	v_cndmask_b32_e32 v11, v16, v11, vcc
	s_xor_b64 s[0:1], s[26:27], s[22:23]
	v_xor_b32_e32 v11, s0, v11
	v_xor_b32_e32 v16, s1, v10
	v_mov_b32_e32 v17, s1
	v_subrev_co_u32_e32 v10, vcc, s0, v11
	v_subb_co_u32_e32 v11, vcc, v16, v17, vcc
	s_cbranch_execnz .LBB34_36
.LBB34_35:
	v_cvt_f32_u32_e32 v10, s14
	s_sub_i32 s0, 0, s14
	s_mov_b32 s1, 0
	v_rcp_iflag_f32_e32 v10, v10
	v_mul_f32_e32 v10, 0x4f7ffffe, v10
	v_cvt_u32_f32_e32 v10, v10
	v_readfirstlane_b32 s11, v10
	s_mul_i32 s0, s0, s11
	s_mul_hi_u32 s0, s11, s0
	s_add_i32 s11, s11, s0
	s_mul_hi_u32 s0, s10, s11
	s_mul_i32 s12, s0, s14
	s_sub_i32 s10, s10, s12
	s_add_i32 s11, s0, 1
	s_sub_i32 s12, s10, s14
	s_cmp_ge_u32 s10, s14
	s_cselect_b32 s0, s11, s0
	s_cselect_b32 s10, s12, s10
	s_add_i32 s11, s0, 1
	s_cmp_ge_u32 s10, s14
	s_cselect_b32 s0, s11, s0
	v_pk_mov_b32 v[10:11], s[0:1], s[0:1] op_sel:[0,1]
.LBB34_36:
	v_add_co_u32_e32 v10, vcc, v10, v15
	v_addc_co_u32_e32 v11, vcc, 0, v11, vcc
	s_branch .LBB34_39
.LBB34_37:
                                        ; implicit-def: $vgpr10_vgpr11
	s_cbranch_execz .LBB34_39
; %bb.38:
	v_mul_lo_u32 v10, v15, s8
	v_ashrrev_i32_e32 v11, 31, v10
	v_mov_b32_e32 v15, s7
	v_add_co_u32_e32 v10, vcc, s6, v10
	v_addc_co_u32_e32 v11, vcc, v11, v15, vcc
.LBB34_39:
	s_mov_b64 s[0:1], exec
.LBB34_40:
	s_or_b64 exec, exec, s[4:5]
	s_and_b64 vcc, exec, s[2:3]
	s_cbranch_vccz .LBB34_42
.LBB34_41:
	v_mov_b32_dpp v10, v12 quad_perm:[1,0,3,2] row_mask:0xf bank_mask:0xf
	v_cmp_gt_f32_e32 vcc, v12, v10
	v_cndmask_b32_e32 v10, v10, v12, vcc
	s_andn2_b64 s[0:1], s[0:1], exec
	s_nop 0
	v_mov_b32_dpp v11, v10 quad_perm:[2,3,0,1] row_mask:0xf bank_mask:0xf
	v_cmp_gt_f32_e32 vcc, v10, v11
	v_cndmask_b32_e32 v10, v11, v10, vcc
	s_nop 1
	v_mov_b32_dpp v11, v10 row_half_mirror row_mask:0xf bank_mask:0xf
	v_cmp_gt_f32_e32 vcc, v10, v11
	v_cndmask_b32_e32 v10, v11, v10, vcc
	s_nop 1
	v_mov_b32_dpp v11, v10 row_mirror row_mask:0xf bank_mask:0xf
	v_cmp_gt_f32_e32 vcc, v10, v11
	v_cndmask_b32_e32 v10, v11, v10, vcc
	s_nop 1
	v_mov_b32_dpp v11, v10 row_bcast:15 row_mask:0xf bank_mask:0xf
	v_cmp_gt_f32_e32 vcc, v10, v11
	v_cndmask_b32_e32 v10, v11, v10, vcc
	s_nop 1
	v_mov_b32_dpp v11, v10 row_bcast:31 row_mask:0xf bank_mask:0xf
	v_cmp_gt_f32_e32 vcc, v10, v11
	v_cndmask_b32_e32 v10, v11, v10, vcc
	ds_bpermute_b32 v10, v14, v10
	v_cmp_eq_u32_e32 vcc, 0, v0
	s_and_b64 s[2:3], vcc, exec
	s_or_b64 s[0:1], s[0:1], s[2:3]
	s_waitcnt lgkmcnt(0)
	v_mul_f32_e32 v13, 0x3c010204, v10
	v_pk_mov_b32 v[10:11], s[6:7], s[6:7] op_sel:[0,1]
.LBB34_42:
	s_and_saveexec_b64 s[2:3], s[0:1]
	s_cbranch_execz .LBB34_44
; %bb.43:
	v_lshlrev_b64 v[10:11], 2, v[10:11]
	v_mov_b32_e32 v0, s21
	v_add_co_u32_e32 v10, vcc, s20, v10
	v_addc_co_u32_e32 v11, vcc, v0, v11, vcc
	global_store_dword v[10:11], v13, off
.LBB34_44:
	s_or_b64 exec, exec, s[2:3]
	s_add_i32 s0, s9, 3
	s_ashr_i32 s1, s0, 31
	s_lshr_b32 s1, s1, 30
	;;#ASMSTART
	v_rcp_f32 v10, v13
	;;#ASMEND
	v_mov_b32_e32 v11, v10
	;;#ASMSTART
	v_pk_mul_f32 v[8:9], v[8:9], v[10:11]
	;;#ASMEND
	;;#ASMSTART
	v_pk_mul_f32 v[6:7], v[6:7], v[10:11]
	;;#ASMEND
	s_add_i32 s0, s0, s1
	v_cvt_i32_f32_e32 v0, v8
	v_cvt_i32_f32_sdwa v8, v9 dst_sel:BYTE_1 dst_unused:UNUSED_PAD src0_sel:DWORD
	v_cvt_i32_f32_e32 v6, v6
	v_cvt_i32_f32_sdwa v7, v7 dst_sel:BYTE_1 dst_unused:UNUSED_PAD src0_sel:DWORD
	;;#ASMSTART
	v_pk_mul_f32 v[4:5], v[4:5], v[10:11]
	;;#ASMEND
	;;#ASMSTART
	v_pk_mul_f32 v[2:3], v[2:3], v[10:11]
	;;#ASMEND
	s_and_b32 s2, s0, -4
	s_ashr_i32 s0, s13, 31
	v_cvt_i32_f32_e32 v4, v4
	v_cvt_i32_f32_sdwa v5, v5 dst_sel:BYTE_1 dst_unused:UNUSED_PAD src0_sel:DWORD
	v_cvt_i32_f32_e32 v9, v2
	v_cvt_i32_f32_sdwa v3, v3 dst_sel:BYTE_1 dst_unused:UNUSED_PAD src0_sel:DWORD
	s_mul_hi_u32 s1, s13, s6
	s_mul_i32 s0, s0, s6
	s_add_i32 s1, s1, s0
	s_mul_i32 s0, s13, s6
	s_add_u32 s0, s16, s0
	v_or_b32_sdwa v0, v0, v8 dst_sel:DWORD dst_unused:UNUSED_PAD src0_sel:BYTE_0 src1_sel:DWORD
	v_or_b32_sdwa v2, v6, v7 dst_sel:WORD_1 dst_unused:UNUSED_PAD src0_sel:BYTE_0 src1_sel:DWORD
	s_addc_u32 s1, s17, s1
	v_or_b32_sdwa v2, v0, v2 dst_sel:DWORD dst_unused:UNUSED_PAD src0_sel:WORD_0 src1_sel:DWORD
	v_or_b32_sdwa v0, v4, v5 dst_sel:DWORD dst_unused:UNUSED_PAD src0_sel:BYTE_0 src1_sel:DWORD
	v_or_b32_sdwa v3, v9, v3 dst_sel:WORD_1 dst_unused:UNUSED_PAD src0_sel:BYTE_0 src1_sel:DWORD
	s_and_b32 s1, s1, 0xffff
	s_mov_b32 s3, 0x20000
	v_or_b32_sdwa v3, v0, v3 dst_sel:DWORD dst_unused:UNUSED_PAD src0_sel:WORD_0 src1_sel:DWORD
	buffer_store_dwordx2 v[2:3], v1, s[0:3], 0 offen
	;;#ASMSTART
	s_nop 0
	;;#ASMEND
.LBB34_45:
	s_endpgm
.LBB34_46:
                                        ; implicit-def: $vgpr10_vgpr11
	s_branch .LBB34_35
	.section	.rodata,"a",@progbits
	.p2align	6, 0x0
	.amdhsa_kernel _ZN5aiter24add_rmsnorm_quant_kernelItaLi64ELi8ELb1ELb1ELb1ELi1EEEvPT0_PT_PfS4_S4_S4_diiiiiiib
		.amdhsa_group_segment_fixed_size 0
		.amdhsa_private_segment_fixed_size 0
		.amdhsa_kernarg_size 88
		.amdhsa_user_sgpr_count 6
		.amdhsa_user_sgpr_private_segment_buffer 1
		.amdhsa_user_sgpr_dispatch_ptr 0
		.amdhsa_user_sgpr_queue_ptr 0
		.amdhsa_user_sgpr_kernarg_segment_ptr 1
		.amdhsa_user_sgpr_dispatch_id 0
		.amdhsa_user_sgpr_flat_scratch_init 0
		.amdhsa_user_sgpr_kernarg_preload_length 0
		.amdhsa_user_sgpr_kernarg_preload_offset 0
		.amdhsa_user_sgpr_private_segment_size 0
		.amdhsa_uses_dynamic_stack 0
		.amdhsa_system_sgpr_private_segment_wavefront_offset 0
		.amdhsa_system_sgpr_workgroup_id_x 1
		.amdhsa_system_sgpr_workgroup_id_y 0
		.amdhsa_system_sgpr_workgroup_id_z 0
		.amdhsa_system_sgpr_workgroup_info 0
		.amdhsa_system_vgpr_workitem_id 0
		.amdhsa_next_free_vgpr 35
		.amdhsa_next_free_sgpr 40
		.amdhsa_accum_offset 36
		.amdhsa_reserve_vcc 1
		.amdhsa_reserve_flat_scratch 0
		.amdhsa_float_round_mode_32 0
		.amdhsa_float_round_mode_16_64 0
		.amdhsa_float_denorm_mode_32 3
		.amdhsa_float_denorm_mode_16_64 3
		.amdhsa_dx10_clamp 1
		.amdhsa_ieee_mode 1
		.amdhsa_fp16_overflow 0
		.amdhsa_tg_split 0
		.amdhsa_exception_fp_ieee_invalid_op 0
		.amdhsa_exception_fp_denorm_src 0
		.amdhsa_exception_fp_ieee_div_zero 0
		.amdhsa_exception_fp_ieee_overflow 0
		.amdhsa_exception_fp_ieee_underflow 0
		.amdhsa_exception_fp_ieee_inexact 0
		.amdhsa_exception_int_div_zero 0
	.end_amdhsa_kernel
	.section	.text._ZN5aiter24add_rmsnorm_quant_kernelItaLi64ELi8ELb1ELb1ELb1ELi1EEEvPT0_PT_PfS4_S4_S4_diiiiiiib,"axG",@progbits,_ZN5aiter24add_rmsnorm_quant_kernelItaLi64ELi8ELb1ELb1ELb1ELi1EEEvPT0_PT_PfS4_S4_S4_diiiiiiib,comdat
.Lfunc_end34:
	.size	_ZN5aiter24add_rmsnorm_quant_kernelItaLi64ELi8ELb1ELb1ELb1ELi1EEEvPT0_PT_PfS4_S4_S4_diiiiiiib, .Lfunc_end34-_ZN5aiter24add_rmsnorm_quant_kernelItaLi64ELi8ELb1ELb1ELb1ELi1EEEvPT0_PT_PfS4_S4_S4_diiiiiiib
                                        ; -- End function
	.section	.AMDGPU.csdata,"",@progbits
; Kernel info:
; codeLenInByte = 3136
; NumSgprs: 44
; NumVgprs: 35
; NumAgprs: 0
; TotalNumVgprs: 35
; ScratchSize: 0
; MemoryBound: 0
; FloatMode: 240
; IeeeMode: 1
; LDSByteSize: 0 bytes/workgroup (compile time only)
; SGPRBlocks: 5
; VGPRBlocks: 4
; NumSGPRsForWavesPerEU: 44
; NumVGPRsForWavesPerEU: 35
; AccumOffset: 36
; Occupancy: 8
; WaveLimiterHint : 0
; COMPUTE_PGM_RSRC2:SCRATCH_EN: 0
; COMPUTE_PGM_RSRC2:USER_SGPR: 6
; COMPUTE_PGM_RSRC2:TRAP_HANDLER: 0
; COMPUTE_PGM_RSRC2:TGID_X_EN: 1
; COMPUTE_PGM_RSRC2:TGID_Y_EN: 0
; COMPUTE_PGM_RSRC2:TGID_Z_EN: 0
; COMPUTE_PGM_RSRC2:TIDIG_COMP_CNT: 0
; COMPUTE_PGM_RSRC3_GFX90A:ACCUM_OFFSET: 8
; COMPUTE_PGM_RSRC3_GFX90A:TG_SPLIT: 0
	.section	.text._ZN5aiter24add_rmsnorm_quant_kernelIDF16_aLi64ELi8ELb1ELb1ELb0ELi1EEEvPT0_PT_PfS4_S4_S4_diiiiiiib,"axG",@progbits,_ZN5aiter24add_rmsnorm_quant_kernelIDF16_aLi64ELi8ELb1ELb1ELb0ELi1EEEvPT0_PT_PfS4_S4_S4_diiiiiiib,comdat
	.protected	_ZN5aiter24add_rmsnorm_quant_kernelIDF16_aLi64ELi8ELb1ELb1ELb0ELi1EEEvPT0_PT_PfS4_S4_S4_diiiiiiib ; -- Begin function _ZN5aiter24add_rmsnorm_quant_kernelIDF16_aLi64ELi8ELb1ELb1ELb0ELi1EEEvPT0_PT_PfS4_S4_S4_diiiiiiib
	.globl	_ZN5aiter24add_rmsnorm_quant_kernelIDF16_aLi64ELi8ELb1ELb1ELb0ELi1EEEvPT0_PT_PfS4_S4_S4_diiiiiiib
	.p2align	8
	.type	_ZN5aiter24add_rmsnorm_quant_kernelIDF16_aLi64ELi8ELb1ELb1ELb0ELi1EEEvPT0_PT_PfS4_S4_S4_diiiiiiib,@function
_ZN5aiter24add_rmsnorm_quant_kernelIDF16_aLi64ELi8ELb1ELb1ELb0ELi1EEEvPT0_PT_PfS4_S4_S4_diiiiiiib: ; @_ZN5aiter24add_rmsnorm_quant_kernelIDF16_aLi64ELi8ELb1ELb1ELb0ELi1EEEvPT0_PT_PfS4_S4_S4_diiiiiiib
; %bb.0:
	s_load_dwordx8 s[8:15], s[4:5], 0x38
	s_mov_b32 s7, 0
	s_waitcnt lgkmcnt(0)
	s_ashr_i32 s0, s8, 31
	v_mov_b32_e32 v2, s8
	v_mov_b32_e32 v3, s0
	v_cmp_ge_i64_e32 vcc, s[6:7], v[2:3]
	s_cbranch_vccnz .LBB35_45
; %bb.1:
	s_load_dwordx8 s[16:23], s[4:5], 0x0
	s_load_dwordx8 s[24:31], s[4:5], 0x20
	s_ashr_i32 s0, s10, 31
	s_mul_hi_u32 s1, s10, s6
	s_mul_i32 s0, s0, s6
	s_add_i32 s1, s1, s0
	s_mul_i32 s0, s10, s6
	s_lshl_b64 s[0:1], s[0:1], 1
	s_waitcnt lgkmcnt(0)
	s_add_u32 s0, s22, s0
	s_addc_u32 s1, s23, s1
	s_add_i32 s2, s9, 1
	s_lshr_b32 s3, s2, 31
	s_add_i32 s2, s2, s3
	s_lshl_b32 s2, s2, 1
	s_and_b32 s2, s2, -4
	s_and_b32 s1, s1, 0xffff
	s_mov_b32 s3, 0x20000
	v_lshlrev_b32_e32 v15, 4, v0
	buffer_load_dwordx4 v[2:5], v15, s[0:3], 0 offen glc slc
	s_ashr_i32 s0, s11, 31
	s_mul_hi_u32 s1, s11, s6
	s_mul_i32 s0, s0, s6
	s_add_i32 s1, s1, s0
	s_mul_i32 s0, s11, s6
	s_and_b32 s37, s27, 0xffff
	s_lshl_b64 s[0:1], s[0:1], 1
	s_add_u32 s0, s24, s0
	s_addc_u32 s1, s25, s1
	s_and_b32 s1, s1, 0xffff
	buffer_load_dwordx4 v[6:9], v15, s[0:3], 0 offen glc slc
	s_mov_b32 s36, s26
	s_mov_b32 s38, s2
	;; [unrolled: 1-line block ×3, first 2 shown]
	buffer_load_dwordx4 v[10:13], v15, s[36:39], 0 offen
	v_mbcnt_lo_u32_b32 v14, -1, 0
	v_mbcnt_hi_u32_b32 v14, -1, v14
	v_lshlrev_b32_e32 v16, 2, v14
	v_or_b32_e32 v14, 0xfc, v16
	v_cvt_f32_i32_e32 v17, s9
	s_ashr_i32 s4, s12, 31
	s_mul_hi_u32 s1, s12, s6
	s_mul_i32 s4, s4, s6
	s_add_i32 s1, s1, s4
	s_mov_b32 s10, 0x800000
	s_mul_i32 s0, s12, s6
	s_lshl_b64 s[0:1], s[0:1], 1
	s_add_u32 s0, s18, s0
	s_addc_u32 s1, s19, s1
	s_and_b32 s1, s1, 0xffff
	v_mov_b32_e32 v30, 0x2edbe6ff
	v_lshlrev_b32_e32 v1, 3, v0
	s_cmp_lg_u32 s14, 0
	s_waitcnt vmcnt(2)
	v_cvt_f32_f16_e32 v18, v2
	v_cvt_f32_f16_sdwa v19, v2 dst_sel:DWORD dst_unused:UNUSED_PAD src0_sel:WORD_1
	v_cvt_f32_f16_e32 v2, v3
	v_cvt_f32_f16_sdwa v3, v3 dst_sel:DWORD dst_unused:UNUSED_PAD src0_sel:WORD_1
	;; [unrolled: 2-line block ×4, first 2 shown]
	s_waitcnt vmcnt(1)
	v_cvt_f32_f16_e32 v26, v6
	v_cvt_f32_f16_sdwa v27, v6 dst_sel:DWORD dst_unused:UNUSED_PAD src0_sel:WORD_1
	v_cvt_f32_f16_e32 v6, v7
	v_cvt_f32_f16_sdwa v7, v7 dst_sel:DWORD dst_unused:UNUSED_PAD src0_sel:WORD_1
	;; [unrolled: 2-line block ×4, first 2 shown]
	v_pk_add_f32 v[18:19], v[18:19], v[26:27]
	v_pk_add_f32 v[6:7], v[2:3], v[6:7]
	v_pk_mul_f32 v[2:3], v[18:19], v[18:19]
	v_pk_add_f32 v[8:9], v[4:5], v[8:9]
	v_pk_mul_f32 v[4:5], v[6:7], v[6:7]
	v_add_f32_e32 v2, v2, v3
	v_pk_add_f32 v[20:21], v[20:21], v[28:29]
	v_add_f32_e32 v2, v4, v2
	v_pk_mul_f32 v[26:27], v[20:21], v[20:21]
	v_add_f32_e32 v2, v5, v2
	v_add_f32_e32 v2, v26, v2
	v_pk_mul_f32 v[28:29], v[8:9], v[8:9]
	v_add_f32_e32 v2, v27, v2
	v_add_f32_e32 v2, v28, v2
	;; [unrolled: 1-line block ×3, first 2 shown]
	v_cvt_f16_f32_e32 v33, v7
	v_cvt_f16_f32_e32 v31, v19
	v_mov_b32_dpp v3, v2 quad_perm:[1,0,3,2] row_mask:0xf bank_mask:0xf
	v_add_f32_e32 v2, v2, v3
	v_cvt_f16_f32_e32 v32, v18
	v_cvt_f16_f32_e32 v34, v21
	v_mov_b32_dpp v3, v2 quad_perm:[2,3,0,1] row_mask:0xf bank_mask:0xf
	v_add_f32_e32 v2, v2, v3
	v_cvt_f16_f32_e32 v35, v20
	v_cvt_f16_f32_e32 v36, v9
	v_mov_b32_dpp v3, v2 row_half_mirror row_mask:0xf bank_mask:0xf
	v_add_f32_e32 v2, v2, v3
	v_cvt_f16_f32_e32 v37, v8
	v_pack_b32_f16 v4, v35, v34
	v_mov_b32_dpp v3, v2 row_mirror row_mask:0xf bank_mask:0xf
	v_add_f32_e32 v2, v2, v3
	v_pack_b32_f16 v5, v37, v36
	s_waitcnt vmcnt(0)
	v_cvt_f32_f16_e32 v22, v10
	v_mov_b32_dpp v3, v2 row_bcast:15 row_mask:0xf bank_mask:0xf
	v_add_f32_e32 v2, v2, v3
	v_cvt_f32_f16_sdwa v23, v10 dst_sel:DWORD dst_unused:UNUSED_PAD src0_sel:WORD_1
	v_cvt_f32_f16_e32 v10, v11
	v_mov_b32_dpp v3, v2 row_bcast:31 row_mask:0xf bank_mask:0xf
	v_add_f32_e32 v2, v2, v3
	ds_bpermute_b32 v2, v14, v2
	v_cvt_f16_f32_e32 v3, v6
	v_cvt_f32_f16_sdwa v11, v11 dst_sel:DWORD dst_unused:UNUSED_PAD src0_sel:WORD_1
	v_cvt_f32_f16_e32 v24, v12
	v_cvt_f32_f16_sdwa v25, v12 dst_sel:DWORD dst_unused:UNUSED_PAD src0_sel:WORD_1
	s_waitcnt lgkmcnt(0)
	v_div_scale_f32 v26, s[4:5], v17, v17, v2
	v_rcp_f32_e32 v27, v26
	v_div_scale_f32 v28, vcc, v2, v17, v2
	v_pack_b32_f16 v3, v3, v33
	v_fma_f32 v29, -v26, v27, 1.0
	v_fmac_f32_e32 v27, v29, v27
	v_mul_f32_e32 v29, v28, v27
	v_fma_f32 v33, -v26, v29, v28
	v_fmac_f32_e32 v29, v33, v27
	v_fma_f32 v26, -v26, v29, v28
	v_div_fmas_f32 v26, v26, v27, v29
	v_div_fixup_f32 v2, v26, v17, v2
	v_cvt_f64_f32_e32 v[26:27], v2
	v_add_f64 v[26:27], v[26:27], s[28:29]
	v_cvt_f32_f64_e32 v2, v[26:27]
	v_mul_f32_e32 v17, 0x4b800000, v2
	v_cmp_gt_f32_e32 vcc, s10, v2
	v_cndmask_b32_e32 v2, v2, v17, vcc
	v_rsq_f32_e32 v17, v2
	v_pack_b32_f16 v2, v32, v31
	buffer_store_dwordx4 v[2:5], v15, s[0:3], 0 offen glc slc
	;;#ASMSTART
	s_nop 0
	;;#ASMEND
	v_cvt_f32_f16_e32 v12, v13
	v_mul_f32_e32 v2, 0x45800000, v17
	v_cndmask_b32_e32 v2, v17, v2, vcc
	v_mov_b32_e32 v3, v2
	;;#ASMSTART
	v_pk_mul_f32 v[4:5], v[18:19], v[2:3]
	;;#ASMEND
	;;#ASMSTART
	v_pk_mul_f32 v[6:7], v[6:7], v[2:3]
	;;#ASMEND
	;; [unrolled: 3-line block ×6, first 2 shown]
	v_and_b32_e32 v10, 0x7fffffff, v8
	v_cvt_f32_f16_sdwa v13, v13 dst_sel:DWORD dst_unused:UNUSED_PAD src0_sel:WORD_1
	;;#ASMSTART
	v_pk_mul_f32 v[4:5], v[18:19], v[24:25]
	;;#ASMEND
	;;#ASMSTART
	v_pk_mul_f32 v[2:3], v[2:3], v[12:13]
	;;#ASMEND
	v_and_b32_e32 v11, 0x7fffffff, v9
	v_and_b32_e32 v12, 0x7fffffff, v6
	;;#ASMSTART
	v_max3_f32 v10, v30, v10, v11

	;;#ASMEND
	v_and_b32_e32 v11, 0x7fffffff, v7
	;;#ASMSTART
	v_max3_f32 v10, v10, v12, v11

	;;#ASMEND
	v_and_b32_e32 v12, 0x7fffffff, v5
	v_and_b32_e32 v11, 0x7fffffff, v4
	;;#ASMSTART
	v_max3_f32 v10, v10, v11, v12

	;;#ASMEND
	v_and_b32_e32 v12, 0x7fffffff, v3
	v_and_b32_e32 v11, 0x7fffffff, v2
	;;#ASMSTART
	v_max3_f32 v12, v10, v11, v12

	;;#ASMEND
	s_cbranch_scc0 .LBB35_8
; %bb.2:
	s_ashr_i32 s12, s14, 31
	s_lshr_b32 s0, s12, 29
	s_add_i32 s0, s14, s0
	s_ashr_i32 s4, s0, 3
	s_cmp_lt_i32 s4, 16
	s_cbranch_scc1 .LBB35_9
; %bb.3:
	s_cmp_lt_i32 s4, 32
	s_cbranch_scc1 .LBB35_10
; %bb.4:
	s_cmp_lt_i32 s4, 64
	s_cbranch_scc1 .LBB35_11
; %bb.5:
	s_cmp_eq_u32 s4, 64
	v_mov_b32_e32 v10, v12
	s_cbranch_scc0 .LBB35_7
; %bb.6:
	s_nop 0
	v_mov_b32_dpp v10, v12 quad_perm:[1,0,3,2] row_mask:0xf bank_mask:0xf
	v_cmp_gt_f32_e32 vcc, v12, v10
	v_cndmask_b32_e32 v10, v10, v12, vcc
	s_nop 1
	v_mov_b32_dpp v11, v10 quad_perm:[2,3,0,1] row_mask:0xf bank_mask:0xf
	v_cmp_gt_f32_e32 vcc, v10, v11
	v_cndmask_b32_e32 v10, v11, v10, vcc
	s_nop 1
	v_mov_b32_dpp v11, v10 row_ror:4 row_mask:0xf bank_mask:0xf
	v_cmp_gt_f32_e32 vcc, v10, v11
	v_cndmask_b32_e32 v10, v11, v10, vcc
	s_nop 1
	v_mov_b32_dpp v11, v10 row_ror:8 row_mask:0xf bank_mask:0xf
	v_cmp_gt_f32_e32 vcc, v10, v11
	v_cndmask_b32_e32 v10, v11, v10, vcc
	s_nop 1
	v_mov_b32_dpp v11, v10 row_bcast:15 row_mask:0xf bank_mask:0xf
	v_cmp_gt_f32_e32 vcc, v10, v11
	v_cndmask_b32_e32 v10, v11, v10, vcc
	s_nop 1
	v_mov_b32_dpp v11, v10 row_bcast:31 row_mask:0xf bank_mask:0xf
	v_cmp_gt_f32_e32 vcc, v10, v11
	v_cndmask_b32_e32 v10, v11, v10, vcc
	ds_bpermute_b32 v10, v14, v10
.LBB35_7:
	s_mov_b64 s[0:1], 0
	s_branch .LBB35_12
.LBB35_8:
	s_mov_b64 s[0:1], 0
                                        ; implicit-def: $vgpr13
                                        ; implicit-def: $vgpr10_vgpr11
	s_cbranch_execnz .LBB35_41
	s_branch .LBB35_42
.LBB35_9:
                                        ; implicit-def: $vgpr10
	s_branch .LBB35_19
.LBB35_10:
                                        ; implicit-def: $vgpr10
	s_branch .LBB35_16
.LBB35_11:
	s_mov_b64 s[0:1], -1
                                        ; implicit-def: $vgpr10
.LBB35_12:
	s_andn2_b64 vcc, exec, s[0:1]
	s_cbranch_vccnz .LBB35_15
; %bb.13:
	s_cmp_eq_u32 s4, 32
	s_waitcnt lgkmcnt(0)
	v_mov_b32_e32 v10, v12
	s_cbranch_scc0 .LBB35_15
; %bb.14:
	s_nop 0
	v_mov_b32_dpp v10, v12 quad_perm:[1,0,3,2] row_mask:0xf bank_mask:0xf
	v_cmp_gt_f32_e32 vcc, v12, v10
	v_cndmask_b32_e32 v10, v10, v12, vcc
	s_nop 1
	v_mov_b32_dpp v11, v10 quad_perm:[2,3,0,1] row_mask:0xf bank_mask:0xf
	v_cmp_gt_f32_e32 vcc, v10, v11
	v_cndmask_b32_e32 v10, v11, v10, vcc
	s_nop 1
	v_mov_b32_dpp v11, v10 row_half_mirror row_mask:0xf bank_mask:0xf
	v_cmp_gt_f32_e32 vcc, v10, v11
	v_cndmask_b32_e32 v10, v11, v10, vcc
	s_nop 1
	v_mov_b32_dpp v11, v10 row_mirror row_mask:0xf bank_mask:0xf
	v_cmp_gt_f32_e32 vcc, v10, v11
	v_cndmask_b32_e32 v10, v11, v10, vcc
	s_nop 1
	v_mov_b32_dpp v11, v10 row_bcast:15 row_mask:0xa bank_mask:0xf
	v_cmp_gt_f32_e32 vcc, v10, v11
	v_cndmask_b32_e32 v10, v11, v10, vcc
	v_or_b32_e32 v11, 0x7c, v16
	ds_bpermute_b32 v10, v11, v10
.LBB35_15:
	s_cbranch_execnz .LBB35_18
.LBB35_16:
	s_cmp_eq_u32 s4, 16
	s_waitcnt lgkmcnt(0)
	v_mov_b32_e32 v10, v12
	s_cbranch_scc0 .LBB35_18
; %bb.17:
	s_nop 0
	v_mov_b32_dpp v10, v12 quad_perm:[1,0,3,2] row_mask:0xf bank_mask:0xf
	v_cmp_gt_f32_e32 vcc, v12, v10
	v_cndmask_b32_e32 v10, v10, v12, vcc
	s_nop 1
	v_mov_b32_dpp v11, v10 quad_perm:[2,3,0,1] row_mask:0xf bank_mask:0xf
	v_cmp_gt_f32_e32 vcc, v10, v11
	v_cndmask_b32_e32 v10, v11, v10, vcc
	s_nop 1
	v_mov_b32_dpp v11, v10 row_half_mirror row_mask:0xf bank_mask:0xf
	v_cmp_gt_f32_e32 vcc, v10, v11
	v_cndmask_b32_e32 v10, v11, v10, vcc
	s_nop 1
	v_mov_b32_dpp v11, v10 row_mirror row_mask:0xf bank_mask:0xf
	v_cmp_gt_f32_e32 vcc, v10, v11
	v_cndmask_b32_e32 v10, v11, v10, vcc
.LBB35_18:
	s_cbranch_execnz .LBB35_31
.LBB35_19:
	s_cmp_lt_i32 s4, 4
	s_cbranch_scc1 .LBB35_23
; %bb.20:
	s_cmp_lt_i32 s4, 8
	s_cbranch_scc1 .LBB35_24
; %bb.21:
	s_cmp_eq_u32 s4, 8
	s_waitcnt lgkmcnt(0)
	v_mov_b32_e32 v10, v12
	s_cbranch_scc0 .LBB35_25
; %bb.22:
	s_nop 0
	v_mov_b32_dpp v10, v12 quad_perm:[1,0,3,2] row_mask:0xf bank_mask:0xf
	v_cmp_gt_f32_e32 vcc, v12, v10
	v_cndmask_b32_e32 v10, v10, v12, vcc
	s_nop 1
	v_mov_b32_dpp v11, v10 quad_perm:[2,3,0,1] row_mask:0xf bank_mask:0xf
	v_cmp_gt_f32_e32 vcc, v10, v11
	v_cndmask_b32_e32 v10, v11, v10, vcc
	s_nop 1
	v_mov_b32_dpp v11, v10 row_half_mirror row_mask:0xf bank_mask:0xf
	v_cmp_gt_f32_e32 vcc, v10, v11
	v_cndmask_b32_e32 v10, v11, v10, vcc
	s_cbranch_execz .LBB35_26
	s_branch .LBB35_28
.LBB35_23:
                                        ; implicit-def: $vgpr10
	s_branch .LBB35_29
.LBB35_24:
                                        ; implicit-def: $vgpr10
	s_branch .LBB35_26
.LBB35_25:
	s_cbranch_execnz .LBB35_28
.LBB35_26:
	s_cmp_eq_u32 s4, 4
	s_waitcnt lgkmcnt(0)
	v_mov_b32_e32 v10, v12
	s_cbranch_scc0 .LBB35_28
; %bb.27:
	s_nop 0
	v_mov_b32_dpp v10, v12 quad_perm:[1,0,3,2] row_mask:0xf bank_mask:0xf
	v_cmp_gt_f32_e32 vcc, v12, v10
	v_cndmask_b32_e32 v10, v10, v12, vcc
	s_nop 1
	v_mov_b32_dpp v11, v10 quad_perm:[2,3,0,1] row_mask:0xf bank_mask:0xf
	v_cmp_gt_f32_e32 vcc, v10, v11
	v_cndmask_b32_e32 v10, v11, v10, vcc
.LBB35_28:
	s_cbranch_execnz .LBB35_31
.LBB35_29:
	s_cmp_lg_u32 s4, 2
	s_waitcnt lgkmcnt(0)
	v_mov_b32_e32 v10, v12
	s_cbranch_scc1 .LBB35_31
; %bb.30:
	s_nop 0
	v_mov_b32_dpp v10, v12 quad_perm:[1,0,3,2] row_mask:0xf bank_mask:0xf
	v_cmp_gt_f32_e32 vcc, v12, v10
	v_cndmask_b32_e32 v10, v10, v12, vcc
.LBB35_31:
	v_cvt_f32_u32_e32 v11, s4
	s_waitcnt lgkmcnt(0)
	v_mul_f32_e32 v13, 0x3c010204, v10
	s_sub_i32 s0, 0, s4
	v_cmp_gt_u32_e32 vcc, s9, v1
	v_rcp_iflag_f32_e32 v11, v11
	s_mov_b64 s[2:3], 0
	v_mul_f32_e32 v10, 0x4f7ffffe, v11
	v_cvt_u32_f32_e32 v10, v10
	v_mul_lo_u32 v11, s0, v10
	v_mul_hi_u32 v11, v10, v11
	v_add_u32_e32 v10, v10, v11
	v_mul_hi_u32 v10, v0, v10
	v_mul_lo_u32 v11, v10, s4
	v_sub_u32_e32 v11, v0, v11
	v_add_u32_e32 v15, 1, v10
	v_cmp_le_u32_e64 s[0:1], s4, v11
	v_cndmask_b32_e64 v10, v10, v15, s[0:1]
	v_subrev_u32_e32 v15, s4, v11
	v_cndmask_b32_e64 v11, v11, v15, s[0:1]
	v_add_u32_e32 v15, 1, v10
	v_cmp_le_u32_e64 s[0:1], s4, v11
	v_cndmask_b32_e64 v15, v10, v15, s[0:1]
	v_mul_lo_u32 v10, v15, s4
	v_sub_u32_e32 v10, v0, v10
	v_cmp_eq_u32_e64 s[0:1], 0, v10
	s_and_b64 s[4:5], s[0:1], vcc
	s_mov_b64 s[0:1], 0
                                        ; implicit-def: $vgpr10_vgpr11
	s_and_saveexec_b64 s[10:11], s[4:5]
	s_xor_b64 s[4:5], exec, s[10:11]
	s_cbranch_execz .LBB35_40
; %bb.32:
	s_bitcmp0_b32 s15, 0
	s_cbranch_scc0 .LBB35_37
; %bb.33:
	s_ashr_i32 s0, s9, 31
	s_mul_hi_u32 s1, s9, s6
	s_mul_i32 s0, s0, s6
	s_add_i32 s11, s1, s0
	s_mul_i32 s10, s9, s6
	s_mov_b32 s15, s12
	s_or_b64 s[0:1], s[10:11], s[14:15]
	s_mov_b32 s0, 0
	s_cmp_lg_u64 s[0:1], 0
	s_cbranch_scc0 .LBB35_46
; %bb.34:
	s_add_u32 s0, s14, s15
	s_mov_b32 s22, s15
	s_mov_b32 s23, s15
	s_addc_u32 s1, s15, s15
	s_xor_b64 s[24:25], s[0:1], s[22:23]
	v_cvt_f32_u32_e32 v10, s24
	v_cvt_f32_u32_e32 v11, s25
	s_sub_u32 s0, 0, s24
	s_subb_u32 s1, 0, s25
	v_madmk_f32 v10, v11, 0x4f800000, v10
	v_rcp_f32_e32 v10, v10
	v_mul_f32_e32 v10, 0x5f7ffffc, v10
	v_mul_f32_e32 v11, 0x2f800000, v10
	v_trunc_f32_e32 v11, v11
	v_madmk_f32 v10, v11, 0xcf800000, v10
	v_cvt_u32_f32_e32 v11, v11
	v_cvt_u32_f32_e32 v10, v10
	v_readfirstlane_b32 s12, v11
	v_readfirstlane_b32 s15, v10
	s_mul_i32 s26, s0, s12
	s_mul_hi_u32 s28, s0, s15
	s_mul_i32 s27, s1, s15
	s_add_i32 s26, s28, s26
	s_add_i32 s26, s26, s27
	s_mul_i32 s29, s0, s15
	s_mul_hi_u32 s27, s15, s26
	s_mul_i32 s28, s15, s26
	s_mul_hi_u32 s15, s15, s29
	s_add_u32 s15, s15, s28
	s_addc_u32 s27, 0, s27
	s_mul_hi_u32 s30, s12, s29
	s_mul_i32 s29, s12, s29
	s_add_u32 s15, s15, s29
	s_mul_hi_u32 s28, s12, s26
	s_addc_u32 s15, s27, s30
	s_addc_u32 s27, s28, 0
	s_mul_i32 s26, s12, s26
	s_add_u32 s15, s15, s26
	s_addc_u32 s26, 0, s27
	v_add_co_u32_e32 v10, vcc, s15, v10
	s_cmp_lg_u64 vcc, 0
	s_addc_u32 s12, s12, s26
	v_readfirstlane_b32 s26, v10
	s_mul_i32 s15, s0, s12
	s_mul_hi_u32 s27, s0, s26
	s_add_i32 s15, s27, s15
	s_mul_i32 s1, s1, s26
	s_add_i32 s15, s15, s1
	s_mul_i32 s0, s0, s26
	s_mul_hi_u32 s27, s12, s0
	s_mul_i32 s28, s12, s0
	s_mul_i32 s30, s26, s15
	s_mul_hi_u32 s0, s26, s0
	s_mul_hi_u32 s29, s26, s15
	s_add_u32 s0, s0, s30
	s_addc_u32 s26, 0, s29
	s_add_u32 s0, s0, s28
	s_mul_hi_u32 s1, s12, s15
	s_addc_u32 s0, s26, s27
	s_addc_u32 s1, s1, 0
	s_mul_i32 s15, s12, s15
	s_add_u32 s0, s0, s15
	s_addc_u32 s1, 0, s1
	v_add_co_u32_e32 v10, vcc, s0, v10
	s_cmp_lg_u64 vcc, 0
	s_addc_u32 s12, s12, s1
	s_ashr_i32 s26, s11, 31
	s_add_u32 s0, s10, s26
	s_mov_b32 s27, s26
	s_addc_u32 s1, s11, s26
	s_xor_b64 s[28:29], s[0:1], s[26:27]
	v_readfirstlane_b32 s11, v10
	s_mul_i32 s1, s28, s12
	s_mul_hi_u32 s15, s28, s11
	s_mul_hi_u32 s0, s28, s12
	s_add_u32 s1, s15, s1
	s_addc_u32 s0, 0, s0
	s_mul_hi_u32 s30, s29, s11
	s_mul_i32 s11, s29, s11
	s_add_u32 s1, s1, s11
	s_mul_hi_u32 s15, s29, s12
	s_addc_u32 s0, s0, s30
	s_addc_u32 s1, s15, 0
	s_mul_i32 s11, s29, s12
	s_add_u32 s11, s0, s11
	s_addc_u32 s12, 0, s1
	s_mul_i32 s0, s24, s12
	s_mul_hi_u32 s1, s24, s11
	s_add_i32 s0, s1, s0
	s_mul_i32 s1, s25, s11
	s_add_i32 s15, s0, s1
	s_mul_i32 s1, s24, s11
	v_mov_b32_e32 v10, s1
	s_sub_i32 s0, s29, s15
	v_sub_co_u32_e32 v10, vcc, s28, v10
	s_cmp_lg_u64 vcc, 0
	s_subb_u32 s28, s0, s25
	v_subrev_co_u32_e64 v11, s[0:1], s24, v10
	s_cmp_lg_u64 s[0:1], 0
	s_subb_u32 s28, s28, 0
	s_cmp_ge_u32 s28, s25
	s_cselect_b32 s30, -1, 0
	v_cmp_le_u32_e64 s[0:1], s24, v11
	s_cmp_eq_u32 s28, s25
	v_cndmask_b32_e64 v11, 0, -1, s[0:1]
	v_mov_b32_e32 v16, s30
	s_cselect_b64 s[0:1], -1, 0
	v_cndmask_b32_e64 v11, v16, v11, s[0:1]
	s_add_u32 s0, s11, 1
	s_addc_u32 s28, s12, 0
	s_add_u32 s1, s11, 2
	s_addc_u32 s30, s12, 0
	v_mov_b32_e32 v16, s0
	v_mov_b32_e32 v17, s1
	v_cmp_ne_u32_e64 s[0:1], 0, v11
	v_cndmask_b32_e64 v11, v16, v17, s[0:1]
	v_mov_b32_e32 v16, s28
	v_mov_b32_e32 v17, s30
	s_cmp_lg_u64 vcc, 0
	v_cndmask_b32_e64 v16, v16, v17, s[0:1]
	s_subb_u32 s0, s29, s15
	s_cmp_ge_u32 s0, s25
	s_cselect_b32 s1, -1, 0
	v_cmp_le_u32_e32 vcc, s24, v10
	s_cmp_eq_u32 s0, s25
	v_cndmask_b32_e64 v10, 0, -1, vcc
	v_mov_b32_e32 v17, s1
	s_cselect_b64 vcc, -1, 0
	v_cndmask_b32_e32 v10, v17, v10, vcc
	v_mov_b32_e32 v17, s12
	v_cmp_ne_u32_e32 vcc, 0, v10
	v_cndmask_b32_e32 v10, v17, v16, vcc
	v_mov_b32_e32 v16, s11
	v_cndmask_b32_e32 v11, v16, v11, vcc
	s_xor_b64 s[0:1], s[26:27], s[22:23]
	v_xor_b32_e32 v11, s0, v11
	v_xor_b32_e32 v16, s1, v10
	v_mov_b32_e32 v17, s1
	v_subrev_co_u32_e32 v10, vcc, s0, v11
	v_subb_co_u32_e32 v11, vcc, v16, v17, vcc
	s_cbranch_execnz .LBB35_36
.LBB35_35:
	v_cvt_f32_u32_e32 v10, s14
	s_sub_i32 s0, 0, s14
	s_mov_b32 s1, 0
	v_rcp_iflag_f32_e32 v10, v10
	v_mul_f32_e32 v10, 0x4f7ffffe, v10
	v_cvt_u32_f32_e32 v10, v10
	v_readfirstlane_b32 s11, v10
	s_mul_i32 s0, s0, s11
	s_mul_hi_u32 s0, s11, s0
	s_add_i32 s11, s11, s0
	s_mul_hi_u32 s0, s10, s11
	s_mul_i32 s12, s0, s14
	s_sub_i32 s10, s10, s12
	s_add_i32 s11, s0, 1
	s_sub_i32 s12, s10, s14
	s_cmp_ge_u32 s10, s14
	s_cselect_b32 s0, s11, s0
	s_cselect_b32 s10, s12, s10
	s_add_i32 s11, s0, 1
	s_cmp_ge_u32 s10, s14
	s_cselect_b32 s0, s11, s0
	v_pk_mov_b32 v[10:11], s[0:1], s[0:1] op_sel:[0,1]
.LBB35_36:
	v_add_co_u32_e32 v10, vcc, v10, v15
	v_addc_co_u32_e32 v11, vcc, 0, v11, vcc
	s_branch .LBB35_39
.LBB35_37:
                                        ; implicit-def: $vgpr10_vgpr11
	s_cbranch_execz .LBB35_39
; %bb.38:
	v_mul_lo_u32 v10, v15, s8
	v_ashrrev_i32_e32 v11, 31, v10
	v_mov_b32_e32 v15, s7
	v_add_co_u32_e32 v10, vcc, s6, v10
	v_addc_co_u32_e32 v11, vcc, v11, v15, vcc
.LBB35_39:
	s_mov_b64 s[0:1], exec
.LBB35_40:
	s_or_b64 exec, exec, s[4:5]
	s_and_b64 vcc, exec, s[2:3]
	s_cbranch_vccz .LBB35_42
.LBB35_41:
	v_mov_b32_dpp v10, v12 quad_perm:[1,0,3,2] row_mask:0xf bank_mask:0xf
	v_cmp_gt_f32_e32 vcc, v12, v10
	v_cndmask_b32_e32 v10, v10, v12, vcc
	s_andn2_b64 s[0:1], s[0:1], exec
	s_nop 0
	v_mov_b32_dpp v11, v10 quad_perm:[2,3,0,1] row_mask:0xf bank_mask:0xf
	v_cmp_gt_f32_e32 vcc, v10, v11
	v_cndmask_b32_e32 v10, v11, v10, vcc
	s_nop 1
	v_mov_b32_dpp v11, v10 row_half_mirror row_mask:0xf bank_mask:0xf
	v_cmp_gt_f32_e32 vcc, v10, v11
	v_cndmask_b32_e32 v10, v11, v10, vcc
	s_nop 1
	v_mov_b32_dpp v11, v10 row_mirror row_mask:0xf bank_mask:0xf
	v_cmp_gt_f32_e32 vcc, v10, v11
	v_cndmask_b32_e32 v10, v11, v10, vcc
	s_nop 1
	v_mov_b32_dpp v11, v10 row_bcast:15 row_mask:0xf bank_mask:0xf
	v_cmp_gt_f32_e32 vcc, v10, v11
	v_cndmask_b32_e32 v10, v11, v10, vcc
	s_nop 1
	v_mov_b32_dpp v11, v10 row_bcast:31 row_mask:0xf bank_mask:0xf
	v_cmp_gt_f32_e32 vcc, v10, v11
	v_cndmask_b32_e32 v10, v11, v10, vcc
	ds_bpermute_b32 v10, v14, v10
	v_cmp_eq_u32_e32 vcc, 0, v0
	s_and_b64 s[2:3], vcc, exec
	s_or_b64 s[0:1], s[0:1], s[2:3]
	s_waitcnt lgkmcnt(0)
	v_mul_f32_e32 v13, 0x3c010204, v10
	v_pk_mov_b32 v[10:11], s[6:7], s[6:7] op_sel:[0,1]
.LBB35_42:
	s_and_saveexec_b64 s[2:3], s[0:1]
	s_cbranch_execz .LBB35_44
; %bb.43:
	v_lshlrev_b64 v[10:11], 2, v[10:11]
	v_mov_b32_e32 v0, s21
	v_add_co_u32_e32 v10, vcc, s20, v10
	v_addc_co_u32_e32 v11, vcc, v0, v11, vcc
	global_store_dword v[10:11], v13, off
.LBB35_44:
	s_or_b64 exec, exec, s[2:3]
	s_add_i32 s0, s9, 3
	s_ashr_i32 s1, s0, 31
	s_lshr_b32 s1, s1, 30
	;;#ASMSTART
	v_rcp_f32 v10, v13
	;;#ASMEND
	v_mov_b32_e32 v11, v10
	;;#ASMSTART
	v_pk_mul_f32 v[8:9], v[8:9], v[10:11]
	;;#ASMEND
	;;#ASMSTART
	v_pk_mul_f32 v[6:7], v[6:7], v[10:11]
	;;#ASMEND
	s_add_i32 s0, s0, s1
	v_cvt_i32_f32_e32 v0, v8
	v_cvt_i32_f32_sdwa v8, v9 dst_sel:BYTE_1 dst_unused:UNUSED_PAD src0_sel:DWORD
	v_cvt_i32_f32_e32 v6, v6
	v_cvt_i32_f32_sdwa v7, v7 dst_sel:BYTE_1 dst_unused:UNUSED_PAD src0_sel:DWORD
	;;#ASMSTART
	v_pk_mul_f32 v[4:5], v[4:5], v[10:11]
	;;#ASMEND
	;;#ASMSTART
	v_pk_mul_f32 v[2:3], v[2:3], v[10:11]
	;;#ASMEND
	s_and_b32 s2, s0, -4
	s_ashr_i32 s0, s13, 31
	v_cvt_i32_f32_e32 v4, v4
	v_cvt_i32_f32_sdwa v5, v5 dst_sel:BYTE_1 dst_unused:UNUSED_PAD src0_sel:DWORD
	v_cvt_i32_f32_e32 v9, v2
	v_cvt_i32_f32_sdwa v3, v3 dst_sel:BYTE_1 dst_unused:UNUSED_PAD src0_sel:DWORD
	s_mul_hi_u32 s1, s13, s6
	s_mul_i32 s0, s0, s6
	s_add_i32 s1, s1, s0
	s_mul_i32 s0, s13, s6
	s_add_u32 s0, s16, s0
	v_or_b32_sdwa v0, v0, v8 dst_sel:DWORD dst_unused:UNUSED_PAD src0_sel:BYTE_0 src1_sel:DWORD
	v_or_b32_sdwa v2, v6, v7 dst_sel:WORD_1 dst_unused:UNUSED_PAD src0_sel:BYTE_0 src1_sel:DWORD
	s_addc_u32 s1, s17, s1
	v_or_b32_sdwa v2, v0, v2 dst_sel:DWORD dst_unused:UNUSED_PAD src0_sel:WORD_0 src1_sel:DWORD
	v_or_b32_sdwa v0, v4, v5 dst_sel:DWORD dst_unused:UNUSED_PAD src0_sel:BYTE_0 src1_sel:DWORD
	v_or_b32_sdwa v3, v9, v3 dst_sel:WORD_1 dst_unused:UNUSED_PAD src0_sel:BYTE_0 src1_sel:DWORD
	s_and_b32 s1, s1, 0xffff
	s_mov_b32 s3, 0x20000
	v_or_b32_sdwa v3, v0, v3 dst_sel:DWORD dst_unused:UNUSED_PAD src0_sel:WORD_0 src1_sel:DWORD
	buffer_store_dwordx2 v[2:3], v1, s[0:3], 0 offen
	;;#ASMSTART
	s_nop 0
	;;#ASMEND
.LBB35_45:
	s_endpgm
.LBB35_46:
                                        ; implicit-def: $vgpr10_vgpr11
	s_branch .LBB35_35
	.section	.rodata,"a",@progbits
	.p2align	6, 0x0
	.amdhsa_kernel _ZN5aiter24add_rmsnorm_quant_kernelIDF16_aLi64ELi8ELb1ELb1ELb0ELi1EEEvPT0_PT_PfS4_S4_S4_diiiiiiib
		.amdhsa_group_segment_fixed_size 0
		.amdhsa_private_segment_fixed_size 0
		.amdhsa_kernarg_size 88
		.amdhsa_user_sgpr_count 6
		.amdhsa_user_sgpr_private_segment_buffer 1
		.amdhsa_user_sgpr_dispatch_ptr 0
		.amdhsa_user_sgpr_queue_ptr 0
		.amdhsa_user_sgpr_kernarg_segment_ptr 1
		.amdhsa_user_sgpr_dispatch_id 0
		.amdhsa_user_sgpr_flat_scratch_init 0
		.amdhsa_user_sgpr_kernarg_preload_length 0
		.amdhsa_user_sgpr_kernarg_preload_offset 0
		.amdhsa_user_sgpr_private_segment_size 0
		.amdhsa_uses_dynamic_stack 0
		.amdhsa_system_sgpr_private_segment_wavefront_offset 0
		.amdhsa_system_sgpr_workgroup_id_x 1
		.amdhsa_system_sgpr_workgroup_id_y 0
		.amdhsa_system_sgpr_workgroup_id_z 0
		.amdhsa_system_sgpr_workgroup_info 0
		.amdhsa_system_vgpr_workitem_id 0
		.amdhsa_next_free_vgpr 38
		.amdhsa_next_free_sgpr 40
		.amdhsa_accum_offset 40
		.amdhsa_reserve_vcc 1
		.amdhsa_reserve_flat_scratch 0
		.amdhsa_float_round_mode_32 0
		.amdhsa_float_round_mode_16_64 0
		.amdhsa_float_denorm_mode_32 3
		.amdhsa_float_denorm_mode_16_64 3
		.amdhsa_dx10_clamp 1
		.amdhsa_ieee_mode 1
		.amdhsa_fp16_overflow 0
		.amdhsa_tg_split 0
		.amdhsa_exception_fp_ieee_invalid_op 0
		.amdhsa_exception_fp_denorm_src 0
		.amdhsa_exception_fp_ieee_div_zero 0
		.amdhsa_exception_fp_ieee_overflow 0
		.amdhsa_exception_fp_ieee_underflow 0
		.amdhsa_exception_fp_ieee_inexact 0
		.amdhsa_exception_int_div_zero 0
	.end_amdhsa_kernel
	.section	.text._ZN5aiter24add_rmsnorm_quant_kernelIDF16_aLi64ELi8ELb1ELb1ELb0ELi1EEEvPT0_PT_PfS4_S4_S4_diiiiiiib,"axG",@progbits,_ZN5aiter24add_rmsnorm_quant_kernelIDF16_aLi64ELi8ELb1ELb1ELb0ELi1EEEvPT0_PT_PfS4_S4_S4_diiiiiiib,comdat
.Lfunc_end35:
	.size	_ZN5aiter24add_rmsnorm_quant_kernelIDF16_aLi64ELi8ELb1ELb1ELb0ELi1EEEvPT0_PT_PfS4_S4_S4_diiiiiiib, .Lfunc_end35-_ZN5aiter24add_rmsnorm_quant_kernelIDF16_aLi64ELi8ELb1ELb1ELb0ELi1EEEvPT0_PT_PfS4_S4_S4_diiiiiiib
                                        ; -- End function
	.section	.AMDGPU.csdata,"",@progbits
; Kernel info:
; codeLenInByte = 3096
; NumSgprs: 44
; NumVgprs: 38
; NumAgprs: 0
; TotalNumVgprs: 38
; ScratchSize: 0
; MemoryBound: 0
; FloatMode: 240
; IeeeMode: 1
; LDSByteSize: 0 bytes/workgroup (compile time only)
; SGPRBlocks: 5
; VGPRBlocks: 4
; NumSGPRsForWavesPerEU: 44
; NumVGPRsForWavesPerEU: 38
; AccumOffset: 40
; Occupancy: 8
; WaveLimiterHint : 0
; COMPUTE_PGM_RSRC2:SCRATCH_EN: 0
; COMPUTE_PGM_RSRC2:USER_SGPR: 6
; COMPUTE_PGM_RSRC2:TRAP_HANDLER: 0
; COMPUTE_PGM_RSRC2:TGID_X_EN: 1
; COMPUTE_PGM_RSRC2:TGID_Y_EN: 0
; COMPUTE_PGM_RSRC2:TGID_Z_EN: 0
; COMPUTE_PGM_RSRC2:TIDIG_COMP_CNT: 0
; COMPUTE_PGM_RSRC3_GFX90A:ACCUM_OFFSET: 9
; COMPUTE_PGM_RSRC3_GFX90A:TG_SPLIT: 0
	.section	.text._ZN5aiter24add_rmsnorm_quant_kernelItaLi64ELi8ELb1ELb1ELb0ELi1EEEvPT0_PT_PfS4_S4_S4_diiiiiiib,"axG",@progbits,_ZN5aiter24add_rmsnorm_quant_kernelItaLi64ELi8ELb1ELb1ELb0ELi1EEEvPT0_PT_PfS4_S4_S4_diiiiiiib,comdat
	.protected	_ZN5aiter24add_rmsnorm_quant_kernelItaLi64ELi8ELb1ELb1ELb0ELi1EEEvPT0_PT_PfS4_S4_S4_diiiiiiib ; -- Begin function _ZN5aiter24add_rmsnorm_quant_kernelItaLi64ELi8ELb1ELb1ELb0ELi1EEEvPT0_PT_PfS4_S4_S4_diiiiiiib
	.globl	_ZN5aiter24add_rmsnorm_quant_kernelItaLi64ELi8ELb1ELb1ELb0ELi1EEEvPT0_PT_PfS4_S4_S4_diiiiiiib
	.p2align	8
	.type	_ZN5aiter24add_rmsnorm_quant_kernelItaLi64ELi8ELb1ELb1ELb0ELi1EEEvPT0_PT_PfS4_S4_S4_diiiiiiib,@function
_ZN5aiter24add_rmsnorm_quant_kernelItaLi64ELi8ELb1ELb1ELb0ELi1EEEvPT0_PT_PfS4_S4_S4_diiiiiiib: ; @_ZN5aiter24add_rmsnorm_quant_kernelItaLi64ELi8ELb1ELb1ELb0ELi1EEEvPT0_PT_PfS4_S4_S4_diiiiiiib
; %bb.0:
	s_load_dwordx8 s[8:15], s[4:5], 0x38
	s_mov_b32 s7, 0
	s_waitcnt lgkmcnt(0)
	s_ashr_i32 s0, s8, 31
	v_mov_b32_e32 v2, s8
	v_mov_b32_e32 v3, s0
	v_cmp_ge_i64_e32 vcc, s[6:7], v[2:3]
	s_cbranch_vccnz .LBB36_45
; %bb.1:
	s_load_dwordx8 s[16:23], s[4:5], 0x0
	s_load_dwordx8 s[24:31], s[4:5], 0x20
	s_ashr_i32 s0, s10, 31
	s_mul_hi_u32 s1, s10, s6
	s_mul_i32 s0, s0, s6
	s_add_i32 s1, s1, s0
	s_mul_i32 s0, s10, s6
	s_lshl_b64 s[0:1], s[0:1], 1
	s_waitcnt lgkmcnt(0)
	s_add_u32 s0, s22, s0
	s_addc_u32 s1, s23, s1
	s_add_i32 s2, s9, 1
	s_lshr_b32 s3, s2, 31
	s_add_i32 s2, s2, s3
	s_lshl_b32 s2, s2, 1
	s_and_b32 s2, s2, -4
	s_and_b32 s1, s1, 0xffff
	s_mov_b32 s3, 0x20000
	v_lshlrev_b32_e32 v15, 4, v0
	buffer_load_dwordx4 v[6:9], v15, s[0:3], 0 offen glc slc
	s_ashr_i32 s0, s11, 31
	s_mul_hi_u32 s1, s11, s6
	s_mul_i32 s0, s0, s6
	s_add_i32 s1, s1, s0
	s_mul_i32 s0, s11, s6
	s_and_b32 s37, s27, 0xffff
	s_lshl_b64 s[0:1], s[0:1], 1
	s_add_u32 s0, s24, s0
	s_addc_u32 s1, s25, s1
	s_mov_b32 s36, s26
	s_mov_b32 s38, s2
	;; [unrolled: 1-line block ×3, first 2 shown]
	s_and_b32 s1, s1, 0xffff
	buffer_load_dwordx4 v[2:5], v15, s[36:39], 0 offen
	buffer_load_dwordx4 v[10:13], v15, s[0:3], 0 offen glc slc
	v_mbcnt_lo_u32_b32 v14, -1, 0
	v_mbcnt_hi_u32_b32 v14, -1, v14
	v_lshlrev_b32_e32 v16, 2, v14
	v_or_b32_e32 v14, 0xfc, v16
	v_cvt_f32_i32_e32 v17, s9
	s_ashr_i32 s4, s12, 31
	s_mul_hi_u32 s1, s12, s6
	s_mul_i32 s4, s4, s6
	s_add_i32 s1, s1, s4
	s_mov_b32 s11, 0x800000
	s_mul_i32 s0, s12, s6
	s_lshl_b64 s[0:1], s[0:1], 1
	s_add_u32 s0, s18, s0
	s_mov_b32 s10, 0x7060302
	s_addc_u32 s1, s19, s1
	s_and_b32 s1, s1, 0xffff
	v_mov_b32_e32 v34, 0x2edbe6ff
	v_lshlrev_b32_e32 v1, 3, v0
	s_cmp_lg_u32 s14, 0
	s_waitcnt vmcnt(2)
	v_cvt_f32_u32_sdwa v19, v6 dst_sel:DWORD dst_unused:UNUSED_PAD src0_sel:WORD_1
	v_cvt_f32_u32_sdwa v18, v6 dst_sel:DWORD dst_unused:UNUSED_PAD src0_sel:WORD_0
	v_cvt_f32_u32_sdwa v21, v7 dst_sel:DWORD dst_unused:UNUSED_PAD src0_sel:WORD_1
	v_cvt_f32_u32_sdwa v20, v7 dst_sel:DWORD dst_unused:UNUSED_PAD src0_sel:WORD_0
	;; [unrolled: 2-line block ×4, first 2 shown]
	s_waitcnt vmcnt(1)
	v_cvt_f32_u32_sdwa v9, v2 dst_sel:DWORD dst_unused:UNUSED_PAD src0_sel:WORD_1
	v_cvt_f32_u32_sdwa v8, v2 dst_sel:DWORD dst_unused:UNUSED_PAD src0_sel:WORD_0
	v_cvt_f32_u32_sdwa v25, v3 dst_sel:DWORD dst_unused:UNUSED_PAD src0_sel:WORD_1
	v_cvt_f32_u32_sdwa v24, v3 dst_sel:DWORD dst_unused:UNUSED_PAD src0_sel:WORD_0
	s_waitcnt vmcnt(0)
	v_cvt_f32_u32_sdwa v3, v10 dst_sel:DWORD dst_unused:UNUSED_PAD src0_sel:WORD_1
	v_cvt_f32_u32_sdwa v2, v10 dst_sel:DWORD dst_unused:UNUSED_PAD src0_sel:WORD_0
	v_cvt_f32_u32_sdwa v31, v11 dst_sel:DWORD dst_unused:UNUSED_PAD src0_sel:WORD_1
	v_cvt_f32_u32_sdwa v30, v11 dst_sel:DWORD dst_unused:UNUSED_PAD src0_sel:WORD_0
	;; [unrolled: 2-line block ×4, first 2 shown]
	v_pk_add_f32 v[12:13], v[18:19], v[2:3]
	v_pk_add_f32 v[18:19], v[20:21], v[30:31]
	v_pk_mul_f32 v[2:3], v[12:13], v[12:13]
	v_pk_mul_f32 v[20:21], v[18:19], v[18:19]
	v_add_f32_e32 v2, v2, v3
	v_pk_add_f32 v[6:7], v[6:7], v[10:11]
	v_add_f32_e32 v2, v20, v2
	v_pk_add_f32 v[10:11], v[22:23], v[32:33]
	v_pk_mul_f32 v[22:23], v[6:7], v[6:7]
	v_add_f32_e32 v2, v21, v2
	v_add_f32_e32 v2, v22, v2
	v_pk_mul_f32 v[30:31], v[10:11], v[10:11]
	v_add_f32_e32 v2, v23, v2
	v_add_f32_e32 v2, v30, v2
	v_add_f32_e32 v2, v31, v2
	v_cvt_f32_u32_sdwa v27, v4 dst_sel:DWORD dst_unused:UNUSED_PAD src0_sel:WORD_1
	v_cvt_f32_u32_sdwa v26, v4 dst_sel:DWORD dst_unused:UNUSED_PAD src0_sel:WORD_0
	v_mov_b32_dpp v3, v2 quad_perm:[1,0,3,2] row_mask:0xf bank_mask:0xf
	v_add_f32_e32 v2, v2, v3
	v_cvt_f32_u32_sdwa v29, v5 dst_sel:DWORD dst_unused:UNUSED_PAD src0_sel:WORD_1
	v_cvt_f32_u32_sdwa v28, v5 dst_sel:DWORD dst_unused:UNUSED_PAD src0_sel:WORD_0
	v_mov_b32_dpp v3, v2 quad_perm:[2,3,0,1] row_mask:0xf bank_mask:0xf
	v_add_f32_e32 v2, v2, v3
	v_perm_b32 v5, v11, v10, s10
	v_perm_b32 v4, v7, v6, s10
	v_mov_b32_dpp v3, v2 row_half_mirror row_mask:0xf bank_mask:0xf
	v_add_f32_e32 v2, v2, v3
	s_nop 1
	v_mov_b32_dpp v3, v2 row_mirror row_mask:0xf bank_mask:0xf
	v_add_f32_e32 v2, v2, v3
	s_nop 1
	v_mov_b32_dpp v3, v2 row_bcast:15 row_mask:0xf bank_mask:0xf
	v_add_f32_e32 v2, v2, v3
	s_nop 1
	v_mov_b32_dpp v3, v2 row_bcast:31 row_mask:0xf bank_mask:0xf
	v_add_f32_e32 v2, v2, v3
	ds_bpermute_b32 v2, v14, v2
	v_perm_b32 v3, v19, v18, s10
	s_waitcnt lgkmcnt(0)
	v_div_scale_f32 v20, s[4:5], v17, v17, v2
	v_rcp_f32_e32 v21, v20
	v_div_scale_f32 v22, vcc, v2, v17, v2
	v_fma_f32 v23, -v20, v21, 1.0
	v_fmac_f32_e32 v21, v23, v21
	v_mul_f32_e32 v23, v22, v21
	v_fma_f32 v30, -v20, v23, v22
	v_fmac_f32_e32 v23, v30, v21
	v_fma_f32 v20, -v20, v23, v22
	v_div_fmas_f32 v20, v20, v21, v23
	v_div_fixup_f32 v2, v20, v17, v2
	v_cvt_f64_f32_e32 v[20:21], v2
	v_add_f64 v[20:21], v[20:21], s[28:29]
	v_cvt_f32_f64_e32 v2, v[20:21]
	v_mul_f32_e32 v17, 0x4b800000, v2
	v_cmp_gt_f32_e32 vcc, s11, v2
	v_cndmask_b32_e32 v2, v2, v17, vcc
	v_rsq_f32_e32 v17, v2
	v_perm_b32 v2, v13, v12, s10
	buffer_store_dwordx4 v[2:5], v15, s[0:3], 0 offen glc slc
	;;#ASMSTART
	s_nop 0
	;;#ASMEND
	s_nop 0
	v_mul_f32_e32 v2, 0x45800000, v17
	v_cndmask_b32_e32 v2, v17, v2, vcc
	v_mov_b32_e32 v3, v2
	;;#ASMSTART
	v_pk_mul_f32 v[4:5], v[12:13], v[2:3]
	;;#ASMEND
	;;#ASMSTART
	v_pk_mul_f32 v[12:13], v[18:19], v[2:3]
	;;#ASMEND
	;; [unrolled: 3-line block ×5, first 2 shown]
	v_and_b32_e32 v10, 0x7fffffff, v8
	;;#ASMSTART
	v_pk_mul_f32 v[6:7], v[12:13], v[24:25]
	;;#ASMEND
	;;#ASMSTART
	v_pk_mul_f32 v[4:5], v[18:19], v[26:27]
	;;#ASMEND
	;; [unrolled: 3-line block ×3, first 2 shown]
	v_and_b32_e32 v11, 0x7fffffff, v9
	;;#ASMSTART
	v_max3_f32 v10, v34, v10, v11

	;;#ASMEND
	v_and_b32_e32 v12, 0x7fffffff, v6
	v_and_b32_e32 v13, 0x7fffffff, v7
	;;#ASMSTART
	v_max3_f32 v10, v10, v12, v13

	;;#ASMEND
	v_and_b32_e32 v15, 0x7fffffff, v4
	v_and_b32_e32 v17, 0x7fffffff, v5
	v_and_b32_e32 v18, 0x7fffffff, v2
	v_and_b32_e32 v19, 0x7fffffff, v3
	;;#ASMSTART
	v_max3_f32 v10, v10, v15, v17

	;;#ASMEND
	;;#ASMSTART
	v_max3_f32 v12, v10, v18, v19

	;;#ASMEND
	s_cbranch_scc0 .LBB36_8
; %bb.2:
	s_ashr_i32 s12, s14, 31
	s_lshr_b32 s0, s12, 29
	s_add_i32 s0, s14, s0
	s_ashr_i32 s4, s0, 3
	s_cmp_lt_i32 s4, 16
	s_cbranch_scc1 .LBB36_9
; %bb.3:
	s_cmp_lt_i32 s4, 32
	s_cbranch_scc1 .LBB36_10
; %bb.4:
	;; [unrolled: 3-line block ×3, first 2 shown]
	s_cmp_eq_u32 s4, 64
	v_mov_b32_e32 v10, v12
	s_cbranch_scc0 .LBB36_7
; %bb.6:
	s_nop 0
	v_mov_b32_dpp v10, v12 quad_perm:[1,0,3,2] row_mask:0xf bank_mask:0xf
	v_cmp_gt_f32_e32 vcc, v12, v10
	v_cndmask_b32_e32 v10, v10, v12, vcc
	s_nop 1
	v_mov_b32_dpp v11, v10 quad_perm:[2,3,0,1] row_mask:0xf bank_mask:0xf
	v_cmp_gt_f32_e32 vcc, v10, v11
	v_cndmask_b32_e32 v10, v11, v10, vcc
	s_nop 1
	v_mov_b32_dpp v11, v10 row_ror:4 row_mask:0xf bank_mask:0xf
	v_cmp_gt_f32_e32 vcc, v10, v11
	v_cndmask_b32_e32 v10, v11, v10, vcc
	s_nop 1
	v_mov_b32_dpp v11, v10 row_ror:8 row_mask:0xf bank_mask:0xf
	v_cmp_gt_f32_e32 vcc, v10, v11
	v_cndmask_b32_e32 v10, v11, v10, vcc
	s_nop 1
	v_mov_b32_dpp v11, v10 row_bcast:15 row_mask:0xf bank_mask:0xf
	v_cmp_gt_f32_e32 vcc, v10, v11
	v_cndmask_b32_e32 v10, v11, v10, vcc
	s_nop 1
	v_mov_b32_dpp v11, v10 row_bcast:31 row_mask:0xf bank_mask:0xf
	v_cmp_gt_f32_e32 vcc, v10, v11
	v_cndmask_b32_e32 v10, v11, v10, vcc
	ds_bpermute_b32 v10, v14, v10
.LBB36_7:
	s_mov_b64 s[0:1], 0
	s_branch .LBB36_12
.LBB36_8:
	s_mov_b64 s[0:1], 0
                                        ; implicit-def: $vgpr13
                                        ; implicit-def: $vgpr10_vgpr11
	s_cbranch_execnz .LBB36_41
	s_branch .LBB36_42
.LBB36_9:
                                        ; implicit-def: $vgpr10
	s_branch .LBB36_19
.LBB36_10:
                                        ; implicit-def: $vgpr10
	s_branch .LBB36_16
.LBB36_11:
	s_mov_b64 s[0:1], -1
                                        ; implicit-def: $vgpr10
.LBB36_12:
	s_andn2_b64 vcc, exec, s[0:1]
	s_cbranch_vccnz .LBB36_15
; %bb.13:
	s_cmp_eq_u32 s4, 32
	s_waitcnt lgkmcnt(0)
	v_mov_b32_e32 v10, v12
	s_cbranch_scc0 .LBB36_15
; %bb.14:
	s_nop 0
	v_mov_b32_dpp v10, v12 quad_perm:[1,0,3,2] row_mask:0xf bank_mask:0xf
	v_cmp_gt_f32_e32 vcc, v12, v10
	v_cndmask_b32_e32 v10, v10, v12, vcc
	s_nop 1
	v_mov_b32_dpp v11, v10 quad_perm:[2,3,0,1] row_mask:0xf bank_mask:0xf
	v_cmp_gt_f32_e32 vcc, v10, v11
	v_cndmask_b32_e32 v10, v11, v10, vcc
	s_nop 1
	v_mov_b32_dpp v11, v10 row_half_mirror row_mask:0xf bank_mask:0xf
	v_cmp_gt_f32_e32 vcc, v10, v11
	v_cndmask_b32_e32 v10, v11, v10, vcc
	s_nop 1
	v_mov_b32_dpp v11, v10 row_mirror row_mask:0xf bank_mask:0xf
	v_cmp_gt_f32_e32 vcc, v10, v11
	v_cndmask_b32_e32 v10, v11, v10, vcc
	s_nop 1
	v_mov_b32_dpp v11, v10 row_bcast:15 row_mask:0xa bank_mask:0xf
	v_cmp_gt_f32_e32 vcc, v10, v11
	v_cndmask_b32_e32 v10, v11, v10, vcc
	v_or_b32_e32 v11, 0x7c, v16
	ds_bpermute_b32 v10, v11, v10
.LBB36_15:
	s_cbranch_execnz .LBB36_18
.LBB36_16:
	s_cmp_eq_u32 s4, 16
	s_waitcnt lgkmcnt(0)
	v_mov_b32_e32 v10, v12
	s_cbranch_scc0 .LBB36_18
; %bb.17:
	s_nop 0
	v_mov_b32_dpp v10, v12 quad_perm:[1,0,3,2] row_mask:0xf bank_mask:0xf
	v_cmp_gt_f32_e32 vcc, v12, v10
	v_cndmask_b32_e32 v10, v10, v12, vcc
	s_nop 1
	v_mov_b32_dpp v11, v10 quad_perm:[2,3,0,1] row_mask:0xf bank_mask:0xf
	v_cmp_gt_f32_e32 vcc, v10, v11
	v_cndmask_b32_e32 v10, v11, v10, vcc
	s_nop 1
	v_mov_b32_dpp v11, v10 row_half_mirror row_mask:0xf bank_mask:0xf
	v_cmp_gt_f32_e32 vcc, v10, v11
	v_cndmask_b32_e32 v10, v11, v10, vcc
	s_nop 1
	v_mov_b32_dpp v11, v10 row_mirror row_mask:0xf bank_mask:0xf
	v_cmp_gt_f32_e32 vcc, v10, v11
	v_cndmask_b32_e32 v10, v11, v10, vcc
.LBB36_18:
	s_cbranch_execnz .LBB36_31
.LBB36_19:
	s_cmp_lt_i32 s4, 4
	s_cbranch_scc1 .LBB36_23
; %bb.20:
	s_cmp_lt_i32 s4, 8
	s_cbranch_scc1 .LBB36_24
; %bb.21:
	s_cmp_eq_u32 s4, 8
	s_waitcnt lgkmcnt(0)
	v_mov_b32_e32 v10, v12
	s_cbranch_scc0 .LBB36_25
; %bb.22:
	s_nop 0
	v_mov_b32_dpp v10, v12 quad_perm:[1,0,3,2] row_mask:0xf bank_mask:0xf
	v_cmp_gt_f32_e32 vcc, v12, v10
	v_cndmask_b32_e32 v10, v10, v12, vcc
	s_nop 1
	v_mov_b32_dpp v11, v10 quad_perm:[2,3,0,1] row_mask:0xf bank_mask:0xf
	v_cmp_gt_f32_e32 vcc, v10, v11
	v_cndmask_b32_e32 v10, v11, v10, vcc
	s_nop 1
	v_mov_b32_dpp v11, v10 row_half_mirror row_mask:0xf bank_mask:0xf
	v_cmp_gt_f32_e32 vcc, v10, v11
	v_cndmask_b32_e32 v10, v11, v10, vcc
	s_cbranch_execz .LBB36_26
	s_branch .LBB36_28
.LBB36_23:
                                        ; implicit-def: $vgpr10
	s_branch .LBB36_29
.LBB36_24:
                                        ; implicit-def: $vgpr10
	s_branch .LBB36_26
.LBB36_25:
	s_cbranch_execnz .LBB36_28
.LBB36_26:
	s_cmp_eq_u32 s4, 4
	s_waitcnt lgkmcnt(0)
	v_mov_b32_e32 v10, v12
	s_cbranch_scc0 .LBB36_28
; %bb.27:
	s_nop 0
	v_mov_b32_dpp v10, v12 quad_perm:[1,0,3,2] row_mask:0xf bank_mask:0xf
	v_cmp_gt_f32_e32 vcc, v12, v10
	v_cndmask_b32_e32 v10, v10, v12, vcc
	s_nop 1
	v_mov_b32_dpp v11, v10 quad_perm:[2,3,0,1] row_mask:0xf bank_mask:0xf
	v_cmp_gt_f32_e32 vcc, v10, v11
	v_cndmask_b32_e32 v10, v11, v10, vcc
.LBB36_28:
	s_cbranch_execnz .LBB36_31
.LBB36_29:
	s_cmp_lg_u32 s4, 2
	s_waitcnt lgkmcnt(0)
	v_mov_b32_e32 v10, v12
	s_cbranch_scc1 .LBB36_31
; %bb.30:
	s_nop 0
	v_mov_b32_dpp v10, v12 quad_perm:[1,0,3,2] row_mask:0xf bank_mask:0xf
	v_cmp_gt_f32_e32 vcc, v12, v10
	v_cndmask_b32_e32 v10, v10, v12, vcc
.LBB36_31:
	v_cvt_f32_u32_e32 v11, s4
	s_waitcnt lgkmcnt(0)
	v_mul_f32_e32 v13, 0x3c010204, v10
	s_sub_i32 s0, 0, s4
	v_cmp_gt_u32_e32 vcc, s9, v1
	v_rcp_iflag_f32_e32 v11, v11
	s_mov_b64 s[2:3], 0
	v_mul_f32_e32 v10, 0x4f7ffffe, v11
	v_cvt_u32_f32_e32 v10, v10
	v_mul_lo_u32 v11, s0, v10
	v_mul_hi_u32 v11, v10, v11
	v_add_u32_e32 v10, v10, v11
	v_mul_hi_u32 v10, v0, v10
	v_mul_lo_u32 v11, v10, s4
	v_sub_u32_e32 v11, v0, v11
	v_add_u32_e32 v15, 1, v10
	v_cmp_le_u32_e64 s[0:1], s4, v11
	v_cndmask_b32_e64 v10, v10, v15, s[0:1]
	v_subrev_u32_e32 v15, s4, v11
	v_cndmask_b32_e64 v11, v11, v15, s[0:1]
	v_add_u32_e32 v15, 1, v10
	v_cmp_le_u32_e64 s[0:1], s4, v11
	v_cndmask_b32_e64 v15, v10, v15, s[0:1]
	v_mul_lo_u32 v10, v15, s4
	v_sub_u32_e32 v10, v0, v10
	v_cmp_eq_u32_e64 s[0:1], 0, v10
	s_and_b64 s[4:5], s[0:1], vcc
	s_mov_b64 s[0:1], 0
                                        ; implicit-def: $vgpr10_vgpr11
	s_and_saveexec_b64 s[10:11], s[4:5]
	s_xor_b64 s[4:5], exec, s[10:11]
	s_cbranch_execz .LBB36_40
; %bb.32:
	s_bitcmp0_b32 s15, 0
	s_cbranch_scc0 .LBB36_37
; %bb.33:
	s_ashr_i32 s0, s9, 31
	s_mul_hi_u32 s1, s9, s6
	s_mul_i32 s0, s0, s6
	s_add_i32 s11, s1, s0
	s_mul_i32 s10, s9, s6
	s_mov_b32 s15, s12
	s_or_b64 s[0:1], s[10:11], s[14:15]
	s_mov_b32 s0, 0
	s_cmp_lg_u64 s[0:1], 0
	s_cbranch_scc0 .LBB36_46
; %bb.34:
	s_add_u32 s0, s14, s15
	s_mov_b32 s22, s15
	s_mov_b32 s23, s15
	s_addc_u32 s1, s15, s15
	s_xor_b64 s[24:25], s[0:1], s[22:23]
	v_cvt_f32_u32_e32 v10, s24
	v_cvt_f32_u32_e32 v11, s25
	s_sub_u32 s0, 0, s24
	s_subb_u32 s1, 0, s25
	v_madmk_f32 v10, v11, 0x4f800000, v10
	v_rcp_f32_e32 v10, v10
	v_mul_f32_e32 v10, 0x5f7ffffc, v10
	v_mul_f32_e32 v11, 0x2f800000, v10
	v_trunc_f32_e32 v11, v11
	v_madmk_f32 v10, v11, 0xcf800000, v10
	v_cvt_u32_f32_e32 v11, v11
	v_cvt_u32_f32_e32 v10, v10
	v_readfirstlane_b32 s12, v11
	v_readfirstlane_b32 s15, v10
	s_mul_i32 s26, s0, s12
	s_mul_hi_u32 s28, s0, s15
	s_mul_i32 s27, s1, s15
	s_add_i32 s26, s28, s26
	s_add_i32 s26, s26, s27
	s_mul_i32 s29, s0, s15
	s_mul_hi_u32 s27, s15, s26
	s_mul_i32 s28, s15, s26
	s_mul_hi_u32 s15, s15, s29
	s_add_u32 s15, s15, s28
	s_addc_u32 s27, 0, s27
	s_mul_hi_u32 s30, s12, s29
	s_mul_i32 s29, s12, s29
	s_add_u32 s15, s15, s29
	s_mul_hi_u32 s28, s12, s26
	s_addc_u32 s15, s27, s30
	s_addc_u32 s27, s28, 0
	s_mul_i32 s26, s12, s26
	s_add_u32 s15, s15, s26
	s_addc_u32 s26, 0, s27
	v_add_co_u32_e32 v10, vcc, s15, v10
	s_cmp_lg_u64 vcc, 0
	s_addc_u32 s12, s12, s26
	v_readfirstlane_b32 s26, v10
	s_mul_i32 s15, s0, s12
	s_mul_hi_u32 s27, s0, s26
	s_add_i32 s15, s27, s15
	s_mul_i32 s1, s1, s26
	s_add_i32 s15, s15, s1
	s_mul_i32 s0, s0, s26
	s_mul_hi_u32 s27, s12, s0
	s_mul_i32 s28, s12, s0
	s_mul_i32 s30, s26, s15
	s_mul_hi_u32 s0, s26, s0
	s_mul_hi_u32 s29, s26, s15
	s_add_u32 s0, s0, s30
	s_addc_u32 s26, 0, s29
	s_add_u32 s0, s0, s28
	s_mul_hi_u32 s1, s12, s15
	s_addc_u32 s0, s26, s27
	s_addc_u32 s1, s1, 0
	s_mul_i32 s15, s12, s15
	s_add_u32 s0, s0, s15
	s_addc_u32 s1, 0, s1
	v_add_co_u32_e32 v10, vcc, s0, v10
	s_cmp_lg_u64 vcc, 0
	s_addc_u32 s12, s12, s1
	s_ashr_i32 s26, s11, 31
	s_add_u32 s0, s10, s26
	s_mov_b32 s27, s26
	s_addc_u32 s1, s11, s26
	s_xor_b64 s[28:29], s[0:1], s[26:27]
	v_readfirstlane_b32 s11, v10
	s_mul_i32 s1, s28, s12
	s_mul_hi_u32 s15, s28, s11
	s_mul_hi_u32 s0, s28, s12
	s_add_u32 s1, s15, s1
	s_addc_u32 s0, 0, s0
	s_mul_hi_u32 s30, s29, s11
	s_mul_i32 s11, s29, s11
	s_add_u32 s1, s1, s11
	s_mul_hi_u32 s15, s29, s12
	s_addc_u32 s0, s0, s30
	s_addc_u32 s1, s15, 0
	s_mul_i32 s11, s29, s12
	s_add_u32 s11, s0, s11
	s_addc_u32 s12, 0, s1
	s_mul_i32 s0, s24, s12
	s_mul_hi_u32 s1, s24, s11
	s_add_i32 s0, s1, s0
	s_mul_i32 s1, s25, s11
	s_add_i32 s15, s0, s1
	s_mul_i32 s1, s24, s11
	v_mov_b32_e32 v10, s1
	s_sub_i32 s0, s29, s15
	v_sub_co_u32_e32 v10, vcc, s28, v10
	s_cmp_lg_u64 vcc, 0
	s_subb_u32 s28, s0, s25
	v_subrev_co_u32_e64 v11, s[0:1], s24, v10
	s_cmp_lg_u64 s[0:1], 0
	s_subb_u32 s28, s28, 0
	s_cmp_ge_u32 s28, s25
	s_cselect_b32 s30, -1, 0
	v_cmp_le_u32_e64 s[0:1], s24, v11
	s_cmp_eq_u32 s28, s25
	v_cndmask_b32_e64 v11, 0, -1, s[0:1]
	v_mov_b32_e32 v16, s30
	s_cselect_b64 s[0:1], -1, 0
	v_cndmask_b32_e64 v11, v16, v11, s[0:1]
	s_add_u32 s0, s11, 1
	s_addc_u32 s28, s12, 0
	s_add_u32 s1, s11, 2
	s_addc_u32 s30, s12, 0
	v_mov_b32_e32 v16, s0
	v_mov_b32_e32 v17, s1
	v_cmp_ne_u32_e64 s[0:1], 0, v11
	v_cndmask_b32_e64 v11, v16, v17, s[0:1]
	v_mov_b32_e32 v16, s28
	v_mov_b32_e32 v17, s30
	s_cmp_lg_u64 vcc, 0
	v_cndmask_b32_e64 v16, v16, v17, s[0:1]
	s_subb_u32 s0, s29, s15
	s_cmp_ge_u32 s0, s25
	s_cselect_b32 s1, -1, 0
	v_cmp_le_u32_e32 vcc, s24, v10
	s_cmp_eq_u32 s0, s25
	v_cndmask_b32_e64 v10, 0, -1, vcc
	v_mov_b32_e32 v17, s1
	s_cselect_b64 vcc, -1, 0
	v_cndmask_b32_e32 v10, v17, v10, vcc
	v_mov_b32_e32 v17, s12
	v_cmp_ne_u32_e32 vcc, 0, v10
	v_cndmask_b32_e32 v10, v17, v16, vcc
	v_mov_b32_e32 v16, s11
	v_cndmask_b32_e32 v11, v16, v11, vcc
	s_xor_b64 s[0:1], s[26:27], s[22:23]
	v_xor_b32_e32 v11, s0, v11
	v_xor_b32_e32 v16, s1, v10
	v_mov_b32_e32 v17, s1
	v_subrev_co_u32_e32 v10, vcc, s0, v11
	v_subb_co_u32_e32 v11, vcc, v16, v17, vcc
	s_cbranch_execnz .LBB36_36
.LBB36_35:
	v_cvt_f32_u32_e32 v10, s14
	s_sub_i32 s0, 0, s14
	s_mov_b32 s1, 0
	v_rcp_iflag_f32_e32 v10, v10
	v_mul_f32_e32 v10, 0x4f7ffffe, v10
	v_cvt_u32_f32_e32 v10, v10
	v_readfirstlane_b32 s11, v10
	s_mul_i32 s0, s0, s11
	s_mul_hi_u32 s0, s11, s0
	s_add_i32 s11, s11, s0
	s_mul_hi_u32 s0, s10, s11
	s_mul_i32 s12, s0, s14
	s_sub_i32 s10, s10, s12
	s_add_i32 s11, s0, 1
	s_sub_i32 s12, s10, s14
	s_cmp_ge_u32 s10, s14
	s_cselect_b32 s0, s11, s0
	s_cselect_b32 s10, s12, s10
	s_add_i32 s11, s0, 1
	s_cmp_ge_u32 s10, s14
	s_cselect_b32 s0, s11, s0
	v_pk_mov_b32 v[10:11], s[0:1], s[0:1] op_sel:[0,1]
.LBB36_36:
	v_add_co_u32_e32 v10, vcc, v10, v15
	v_addc_co_u32_e32 v11, vcc, 0, v11, vcc
	s_branch .LBB36_39
.LBB36_37:
                                        ; implicit-def: $vgpr10_vgpr11
	s_cbranch_execz .LBB36_39
; %bb.38:
	v_mul_lo_u32 v10, v15, s8
	v_ashrrev_i32_e32 v11, 31, v10
	v_mov_b32_e32 v15, s7
	v_add_co_u32_e32 v10, vcc, s6, v10
	v_addc_co_u32_e32 v11, vcc, v11, v15, vcc
.LBB36_39:
	s_mov_b64 s[0:1], exec
.LBB36_40:
	s_or_b64 exec, exec, s[4:5]
	s_and_b64 vcc, exec, s[2:3]
	s_cbranch_vccz .LBB36_42
.LBB36_41:
	v_mov_b32_dpp v10, v12 quad_perm:[1,0,3,2] row_mask:0xf bank_mask:0xf
	v_cmp_gt_f32_e32 vcc, v12, v10
	v_cndmask_b32_e32 v10, v10, v12, vcc
	s_andn2_b64 s[0:1], s[0:1], exec
	s_nop 0
	v_mov_b32_dpp v11, v10 quad_perm:[2,3,0,1] row_mask:0xf bank_mask:0xf
	v_cmp_gt_f32_e32 vcc, v10, v11
	v_cndmask_b32_e32 v10, v11, v10, vcc
	s_nop 1
	v_mov_b32_dpp v11, v10 row_half_mirror row_mask:0xf bank_mask:0xf
	v_cmp_gt_f32_e32 vcc, v10, v11
	v_cndmask_b32_e32 v10, v11, v10, vcc
	s_nop 1
	v_mov_b32_dpp v11, v10 row_mirror row_mask:0xf bank_mask:0xf
	v_cmp_gt_f32_e32 vcc, v10, v11
	v_cndmask_b32_e32 v10, v11, v10, vcc
	s_nop 1
	v_mov_b32_dpp v11, v10 row_bcast:15 row_mask:0xf bank_mask:0xf
	v_cmp_gt_f32_e32 vcc, v10, v11
	v_cndmask_b32_e32 v10, v11, v10, vcc
	s_nop 1
	v_mov_b32_dpp v11, v10 row_bcast:31 row_mask:0xf bank_mask:0xf
	v_cmp_gt_f32_e32 vcc, v10, v11
	v_cndmask_b32_e32 v10, v11, v10, vcc
	ds_bpermute_b32 v10, v14, v10
	v_cmp_eq_u32_e32 vcc, 0, v0
	s_and_b64 s[2:3], vcc, exec
	s_or_b64 s[0:1], s[0:1], s[2:3]
	s_waitcnt lgkmcnt(0)
	v_mul_f32_e32 v13, 0x3c010204, v10
	v_pk_mov_b32 v[10:11], s[6:7], s[6:7] op_sel:[0,1]
.LBB36_42:
	s_and_saveexec_b64 s[2:3], s[0:1]
	s_cbranch_execz .LBB36_44
; %bb.43:
	v_lshlrev_b64 v[10:11], 2, v[10:11]
	v_mov_b32_e32 v0, s21
	v_add_co_u32_e32 v10, vcc, s20, v10
	v_addc_co_u32_e32 v11, vcc, v0, v11, vcc
	global_store_dword v[10:11], v13, off
.LBB36_44:
	s_or_b64 exec, exec, s[2:3]
	s_add_i32 s0, s9, 3
	s_ashr_i32 s1, s0, 31
	s_lshr_b32 s1, s1, 30
	;;#ASMSTART
	v_rcp_f32 v10, v13
	;;#ASMEND
	v_mov_b32_e32 v11, v10
	;;#ASMSTART
	v_pk_mul_f32 v[8:9], v[8:9], v[10:11]
	;;#ASMEND
	;;#ASMSTART
	v_pk_mul_f32 v[6:7], v[6:7], v[10:11]
	;;#ASMEND
	s_add_i32 s0, s0, s1
	v_cvt_i32_f32_e32 v0, v8
	v_cvt_i32_f32_sdwa v8, v9 dst_sel:BYTE_1 dst_unused:UNUSED_PAD src0_sel:DWORD
	v_cvt_i32_f32_e32 v6, v6
	v_cvt_i32_f32_sdwa v7, v7 dst_sel:BYTE_1 dst_unused:UNUSED_PAD src0_sel:DWORD
	;;#ASMSTART
	v_pk_mul_f32 v[4:5], v[4:5], v[10:11]
	;;#ASMEND
	;;#ASMSTART
	v_pk_mul_f32 v[2:3], v[2:3], v[10:11]
	;;#ASMEND
	s_and_b32 s2, s0, -4
	s_ashr_i32 s0, s13, 31
	v_cvt_i32_f32_e32 v4, v4
	v_cvt_i32_f32_sdwa v5, v5 dst_sel:BYTE_1 dst_unused:UNUSED_PAD src0_sel:DWORD
	v_cvt_i32_f32_e32 v9, v2
	v_cvt_i32_f32_sdwa v3, v3 dst_sel:BYTE_1 dst_unused:UNUSED_PAD src0_sel:DWORD
	s_mul_hi_u32 s1, s13, s6
	s_mul_i32 s0, s0, s6
	s_add_i32 s1, s1, s0
	s_mul_i32 s0, s13, s6
	s_add_u32 s0, s16, s0
	v_or_b32_sdwa v0, v0, v8 dst_sel:DWORD dst_unused:UNUSED_PAD src0_sel:BYTE_0 src1_sel:DWORD
	v_or_b32_sdwa v2, v6, v7 dst_sel:WORD_1 dst_unused:UNUSED_PAD src0_sel:BYTE_0 src1_sel:DWORD
	s_addc_u32 s1, s17, s1
	v_or_b32_sdwa v2, v0, v2 dst_sel:DWORD dst_unused:UNUSED_PAD src0_sel:WORD_0 src1_sel:DWORD
	v_or_b32_sdwa v0, v4, v5 dst_sel:DWORD dst_unused:UNUSED_PAD src0_sel:BYTE_0 src1_sel:DWORD
	v_or_b32_sdwa v3, v9, v3 dst_sel:WORD_1 dst_unused:UNUSED_PAD src0_sel:BYTE_0 src1_sel:DWORD
	s_and_b32 s1, s1, 0xffff
	s_mov_b32 s3, 0x20000
	v_or_b32_sdwa v3, v0, v3 dst_sel:DWORD dst_unused:UNUSED_PAD src0_sel:WORD_0 src1_sel:DWORD
	buffer_store_dwordx2 v[2:3], v1, s[0:3], 0 offen
	;;#ASMSTART
	s_nop 0
	;;#ASMEND
.LBB36_45:
	s_endpgm
.LBB36_46:
                                        ; implicit-def: $vgpr10_vgpr11
	s_branch .LBB36_35
	.section	.rodata,"a",@progbits
	.p2align	6, 0x0
	.amdhsa_kernel _ZN5aiter24add_rmsnorm_quant_kernelItaLi64ELi8ELb1ELb1ELb0ELi1EEEvPT0_PT_PfS4_S4_S4_diiiiiiib
		.amdhsa_group_segment_fixed_size 0
		.amdhsa_private_segment_fixed_size 0
		.amdhsa_kernarg_size 88
		.amdhsa_user_sgpr_count 6
		.amdhsa_user_sgpr_private_segment_buffer 1
		.amdhsa_user_sgpr_dispatch_ptr 0
		.amdhsa_user_sgpr_queue_ptr 0
		.amdhsa_user_sgpr_kernarg_segment_ptr 1
		.amdhsa_user_sgpr_dispatch_id 0
		.amdhsa_user_sgpr_flat_scratch_init 0
		.amdhsa_user_sgpr_kernarg_preload_length 0
		.amdhsa_user_sgpr_kernarg_preload_offset 0
		.amdhsa_user_sgpr_private_segment_size 0
		.amdhsa_uses_dynamic_stack 0
		.amdhsa_system_sgpr_private_segment_wavefront_offset 0
		.amdhsa_system_sgpr_workgroup_id_x 1
		.amdhsa_system_sgpr_workgroup_id_y 0
		.amdhsa_system_sgpr_workgroup_id_z 0
		.amdhsa_system_sgpr_workgroup_info 0
		.amdhsa_system_vgpr_workitem_id 0
		.amdhsa_next_free_vgpr 35
		.amdhsa_next_free_sgpr 40
		.amdhsa_accum_offset 36
		.amdhsa_reserve_vcc 1
		.amdhsa_reserve_flat_scratch 0
		.amdhsa_float_round_mode_32 0
		.amdhsa_float_round_mode_16_64 0
		.amdhsa_float_denorm_mode_32 3
		.amdhsa_float_denorm_mode_16_64 3
		.amdhsa_dx10_clamp 1
		.amdhsa_ieee_mode 1
		.amdhsa_fp16_overflow 0
		.amdhsa_tg_split 0
		.amdhsa_exception_fp_ieee_invalid_op 0
		.amdhsa_exception_fp_denorm_src 0
		.amdhsa_exception_fp_ieee_div_zero 0
		.amdhsa_exception_fp_ieee_overflow 0
		.amdhsa_exception_fp_ieee_underflow 0
		.amdhsa_exception_fp_ieee_inexact 0
		.amdhsa_exception_int_div_zero 0
	.end_amdhsa_kernel
	.section	.text._ZN5aiter24add_rmsnorm_quant_kernelItaLi64ELi8ELb1ELb1ELb0ELi1EEEvPT0_PT_PfS4_S4_S4_diiiiiiib,"axG",@progbits,_ZN5aiter24add_rmsnorm_quant_kernelItaLi64ELi8ELb1ELb1ELb0ELi1EEEvPT0_PT_PfS4_S4_S4_diiiiiiib,comdat
.Lfunc_end36:
	.size	_ZN5aiter24add_rmsnorm_quant_kernelItaLi64ELi8ELb1ELb1ELb0ELi1EEEvPT0_PT_PfS4_S4_S4_diiiiiiib, .Lfunc_end36-_ZN5aiter24add_rmsnorm_quant_kernelItaLi64ELi8ELb1ELb1ELb0ELi1EEEvPT0_PT_PfS4_S4_S4_diiiiiiib
                                        ; -- End function
	.section	.AMDGPU.csdata,"",@progbits
; Kernel info:
; codeLenInByte = 3136
; NumSgprs: 44
; NumVgprs: 35
; NumAgprs: 0
; TotalNumVgprs: 35
; ScratchSize: 0
; MemoryBound: 0
; FloatMode: 240
; IeeeMode: 1
; LDSByteSize: 0 bytes/workgroup (compile time only)
; SGPRBlocks: 5
; VGPRBlocks: 4
; NumSGPRsForWavesPerEU: 44
; NumVGPRsForWavesPerEU: 35
; AccumOffset: 36
; Occupancy: 8
; WaveLimiterHint : 0
; COMPUTE_PGM_RSRC2:SCRATCH_EN: 0
; COMPUTE_PGM_RSRC2:USER_SGPR: 6
; COMPUTE_PGM_RSRC2:TRAP_HANDLER: 0
; COMPUTE_PGM_RSRC2:TGID_X_EN: 1
; COMPUTE_PGM_RSRC2:TGID_Y_EN: 0
; COMPUTE_PGM_RSRC2:TGID_Z_EN: 0
; COMPUTE_PGM_RSRC2:TIDIG_COMP_CNT: 0
; COMPUTE_PGM_RSRC3_GFX90A:ACCUM_OFFSET: 8
; COMPUTE_PGM_RSRC3_GFX90A:TG_SPLIT: 0
	.section	.text._ZN5aiter24add_rmsnorm_quant_kernelIDF16_aLi128ELi8ELb1ELb1ELb1ELi1EEEvPT0_PT_PfS4_S4_S4_diiiiiiib,"axG",@progbits,_ZN5aiter24add_rmsnorm_quant_kernelIDF16_aLi128ELi8ELb1ELb1ELb1ELi1EEEvPT0_PT_PfS4_S4_S4_diiiiiiib,comdat
	.protected	_ZN5aiter24add_rmsnorm_quant_kernelIDF16_aLi128ELi8ELb1ELb1ELb1ELi1EEEvPT0_PT_PfS4_S4_S4_diiiiiiib ; -- Begin function _ZN5aiter24add_rmsnorm_quant_kernelIDF16_aLi128ELi8ELb1ELb1ELb1ELi1EEEvPT0_PT_PfS4_S4_S4_diiiiiiib
	.globl	_ZN5aiter24add_rmsnorm_quant_kernelIDF16_aLi128ELi8ELb1ELb1ELb1ELi1EEEvPT0_PT_PfS4_S4_S4_diiiiiiib
	.p2align	8
	.type	_ZN5aiter24add_rmsnorm_quant_kernelIDF16_aLi128ELi8ELb1ELb1ELb1ELi1EEEvPT0_PT_PfS4_S4_S4_diiiiiiib,@function
_ZN5aiter24add_rmsnorm_quant_kernelIDF16_aLi128ELi8ELb1ELb1ELb1ELi1EEEvPT0_PT_PfS4_S4_S4_diiiiiiib: ; @_ZN5aiter24add_rmsnorm_quant_kernelIDF16_aLi128ELi8ELb1ELb1ELb1ELi1EEEvPT0_PT_PfS4_S4_S4_diiiiiiib
; %bb.0:
	s_load_dwordx8 s[8:15], s[4:5], 0x38
	s_mov_b32 s7, 0
	s_waitcnt lgkmcnt(0)
	s_ashr_i32 s0, s8, 31
	v_mov_b32_e32 v2, s8
	v_mov_b32_e32 v3, s0
	v_cmp_ge_i64_e32 vcc, s[6:7], v[2:3]
	s_cbranch_vccnz .LBB37_49
; %bb.1:
	s_load_dwordx8 s[16:23], s[4:5], 0x0
	s_load_dwordx8 s[24:31], s[4:5], 0x20
	s_ashr_i32 s0, s10, 31
	s_mul_hi_u32 s1, s10, s6
	s_mul_i32 s0, s0, s6
	s_add_i32 s1, s1, s0
	s_mul_i32 s0, s10, s6
	s_lshl_b64 s[0:1], s[0:1], 1
	s_waitcnt lgkmcnt(0)
	s_add_u32 s0, s22, s0
	s_addc_u32 s1, s23, s1
	s_add_i32 s2, s9, 1
	s_lshr_b32 s3, s2, 31
	s_add_i32 s2, s2, s3
	s_lshl_b32 s2, s2, 1
	s_and_b32 s2, s2, -4
	s_and_b32 s1, s1, 0xffff
	s_mov_b32 s3, 0x20000
	v_lshlrev_b32_e32 v1, 4, v0
	buffer_load_dwordx4 v[6:9], v1, s[0:3], 0 offen glc slc
	s_ashr_i32 s0, s11, 31
	s_mul_hi_u32 s1, s11, s6
	s_mul_i32 s0, s0, s6
	s_add_i32 s1, s1, s0
	s_mul_i32 s0, s11, s6
	s_and_b32 s37, s27, 0xffff
	s_lshl_b64 s[0:1], s[0:1], 1
	s_add_u32 s0, s24, s0
	s_addc_u32 s1, s25, s1
	s_and_b32 s1, s1, 0xffff
	buffer_load_dwordx4 v[10:13], v1, s[0:3], 0 offen glc slc
	s_mov_b32 s39, s3
	s_mov_b32 s36, s26
	;; [unrolled: 1-line block ×3, first 2 shown]
	buffer_load_dwordx4 v[2:5], v1, s[36:39], 0 offen
	s_ashr_i32 s4, s12, 31
	s_mul_hi_u32 s1, s12, s6
	s_mul_i32 s4, s4, s6
	s_mul_i32 s0, s12, s6
	s_add_i32 s1, s1, s4
	s_lshl_b64 s[0:1], s[0:1], 1
	s_add_u32 s0, s18, s0
	s_addc_u32 s1, s19, s1
	s_and_b32 s1, s1, 0xffff
	v_and_b32_e32 v24, 63, v0
	s_waitcnt vmcnt(2)
	v_cvt_f32_f16_e32 v14, v6
	v_cvt_f32_f16_sdwa v15, v6 dst_sel:DWORD dst_unused:UNUSED_PAD src0_sel:WORD_1
	v_cvt_f32_f16_e32 v6, v7
	v_cvt_f32_f16_sdwa v7, v7 dst_sel:DWORD dst_unused:UNUSED_PAD src0_sel:WORD_1
	;; [unrolled: 2-line block ×4, first 2 shown]
	s_waitcnt vmcnt(1)
	v_cvt_f32_f16_e32 v8, v10
	v_cvt_f32_f16_sdwa v9, v10 dst_sel:DWORD dst_unused:UNUSED_PAD src0_sel:WORD_1
	v_cvt_f32_f16_e32 v10, v11
	v_cvt_f32_f16_sdwa v11, v11 dst_sel:DWORD dst_unused:UNUSED_PAD src0_sel:WORD_1
	v_cvt_f32_f16_e32 v20, v12
	v_cvt_f32_f16_sdwa v21, v12 dst_sel:DWORD dst_unused:UNUSED_PAD src0_sel:WORD_1
	v_cvt_f32_f16_e32 v22, v13
	v_cvt_f32_f16_sdwa v23, v13 dst_sel:DWORD dst_unused:UNUSED_PAD src0_sel:WORD_1
	v_pk_add_f32 v[12:13], v[14:15], v[8:9]
	v_pk_add_f32 v[10:11], v[6:7], v[10:11]
	;; [unrolled: 1-line block ×4, first 2 shown]
	v_cvt_f16_f32_e32 v22, v13
	v_cvt_f16_f32_e32 v23, v12
	v_cvt_f16_f32_e32 v25, v11
	v_cvt_f16_f32_e32 v26, v10
	v_cvt_f16_f32_e32 v27, v9
	v_cvt_f16_f32_e32 v28, v8
	v_cvt_f16_f32_e32 v29, v7
	v_cvt_f16_f32_e32 v30, v6
	v_pk_mul_f32 v[14:15], v[12:13], v[12:13]
	v_pk_mul_f32 v[16:17], v[10:11], v[10:11]
	v_add_f32_e32 v14, v14, v15
	v_add_f32_e32 v14, v16, v14
	v_pk_mul_f32 v[18:19], v[8:9], v[8:9]
	v_add_f32_e32 v31, v17, v14
	v_pack_b32_f16 v17, v30, v29
	v_pack_b32_f16 v16, v28, v27
	;; [unrolled: 1-line block ×4, first 2 shown]
	v_add_f32_e32 v18, v18, v31
	v_pk_mul_f32 v[20:21], v[6:7], v[6:7]
	buffer_store_dwordx4 v[14:17], v1, s[0:3], 0 offen glc slc
	v_add_f32_e32 v1, v19, v18
	v_add_f32_e32 v1, v20, v1
	v_add_f32_e32 v1, v21, v1
	v_cmp_eq_u32_e64 s[0:1], 63, v24
	;;#ASMSTART
	s_nop 0
	;;#ASMEND
	s_nop 0
	v_mov_b32_dpp v14, v1 quad_perm:[1,0,3,2] row_mask:0xf bank_mask:0xf
	v_add_f32_e32 v1, v1, v14
	s_nop 1
	v_mov_b32_dpp v14, v1 quad_perm:[2,3,0,1] row_mask:0xf bank_mask:0xf
	v_add_f32_e32 v1, v1, v14
	s_nop 1
	v_mov_b32_dpp v14, v1 row_half_mirror row_mask:0xf bank_mask:0xf
	v_add_f32_e32 v1, v1, v14
	s_nop 1
	v_mov_b32_dpp v14, v1 row_mirror row_mask:0xf bank_mask:0xf
	v_add_f32_e32 v1, v1, v14
	s_nop 1
	v_mov_b32_dpp v14, v1 row_bcast:15 row_mask:0xf bank_mask:0xf
	v_add_f32_e32 v1, v1, v14
	s_nop 1
	v_mov_b32_dpp v14, v1 row_bcast:31 row_mask:0xf bank_mask:0xf
	s_and_saveexec_b64 s[2:3], s[0:1]
	s_cbranch_execz .LBB37_3
; %bb.2:
	v_lshrrev_b32_e32 v15, 4, v0
	v_and_b32_e32 v15, 60, v15
	v_add_f32_e32 v1, v1, v14
	ds_write_b32 v15, v1 offset:8
.LBB37_3:
	s_or_b64 exec, exec, s[2:3]
	v_and_b32_e32 v1, 1, v0
	v_lshlrev_b32_e32 v14, 2, v1
	s_waitcnt lgkmcnt(0)
	s_barrier
	ds_read_b32 v1, v14 offset:8
	v_cvt_f32_i32_e32 v15, s9
	s_waitcnt vmcnt(1)
	v_cvt_f32_f16_sdwa v21, v3 dst_sel:DWORD dst_unused:UNUSED_PAD src0_sel:WORD_1
	v_cvt_f32_f16_sdwa v23, v5 dst_sel:DWORD dst_unused:UNUSED_PAD src0_sel:WORD_1
	v_cvt_f32_f16_e32 v22, v5
	s_waitcnt lgkmcnt(0)
	v_mov_b32_dpp v16, v1 quad_perm:[1,0,3,2] row_mask:0xf bank_mask:0xf
	v_add_f32_e32 v1, v1, v16
	v_div_scale_f32 v16, s[2:3], v15, v15, v1
	v_rcp_f32_e32 v17, v16
	v_div_scale_f32 v18, vcc, v1, v15, v1
	s_mov_b32 s2, 0x800000
	v_fma_f32 v19, -v16, v17, 1.0
	v_fmac_f32_e32 v17, v19, v17
	v_mul_f32_e32 v19, v18, v17
	v_fma_f32 v20, -v16, v19, v18
	v_fmac_f32_e32 v19, v20, v17
	v_fma_f32 v16, -v16, v19, v18
	v_div_fmas_f32 v16, v16, v17, v19
	v_div_fixup_f32 v1, v16, v15, v1
	v_cvt_f64_f32_e32 v[16:17], v1
	v_add_f64 v[16:17], v[16:17], s[28:29]
	v_cvt_f32_f64_e32 v1, v[16:17]
	v_mul_f32_e32 v15, 0x4b800000, v1
	v_cmp_gt_f32_e32 vcc, s2, v1
	v_cndmask_b32_e32 v1, v1, v15, vcc
	v_rsq_f32_e32 v15, v1
	v_cvt_f32_f16_e32 v20, v3
	v_cvt_f32_f16_sdwa v3, v4 dst_sel:DWORD dst_unused:UNUSED_PAD src0_sel:WORD_1
	v_lshlrev_b32_e32 v1, 3, v0
	v_mul_f32_e32 v16, 0x45800000, v15
	v_cndmask_b32_e32 v16, v15, v16, vcc
	v_mov_b32_e32 v17, v16
	;;#ASMSTART
	v_pk_mul_f32 v[12:13], v[12:13], v[16:17]
	;;#ASMEND
	;;#ASMSTART
	v_pk_mul_f32 v[10:11], v[10:11], v[16:17]
	;;#ASMEND
	;; [unrolled: 3-line block ×4, first 2 shown]
	v_cvt_f32_f16_sdwa v7, v2 dst_sel:DWORD dst_unused:UNUSED_PAD src0_sel:WORD_1
	v_cvt_f32_f16_e32 v6, v2
	v_cvt_f32_f16_e32 v2, v4
	;;#ASMSTART
	v_pk_mul_f32 v[8:9], v[12:13], v[6:7]
	;;#ASMEND
	;;#ASMSTART
	v_pk_mul_f32 v[6:7], v[10:11], v[20:21]
	;;#ASMEND
	v_and_b32_e32 v10, 0x7fffffff, v8
	v_mov_b32_e32 v12, 0x2edbe6ff
	;;#ASMSTART
	v_pk_mul_f32 v[4:5], v[18:19], v[2:3]
	;;#ASMEND
	;;#ASMSTART
	v_pk_mul_f32 v[2:3], v[16:17], v[22:23]
	;;#ASMEND
	v_and_b32_e32 v11, 0x7fffffff, v9
	;;#ASMSTART
	v_max3_f32 v10, v12, v10, v11

	;;#ASMEND
	v_and_b32_e32 v12, 0x7fffffff, v7
	v_and_b32_e32 v11, 0x7fffffff, v6
	;;#ASMSTART
	v_max3_f32 v10, v10, v11, v12

	;;#ASMEND
	v_and_b32_e32 v12, 0x7fffffff, v5
	;; [unrolled: 6-line block ×3, first 2 shown]
	s_cmp_lg_u32 s14, 0
	v_and_b32_e32 v11, 0x7fffffff, v2
	;;#ASMSTART
	v_max3_f32 v12, v10, v11, v12

	;;#ASMEND
	s_cbranch_scc0 .LBB37_10
; %bb.4:
	s_ashr_i32 s12, s14, 31
	s_lshr_b32 s2, s12, 29
	s_add_i32 s2, s14, s2
	s_ashr_i32 s10, s2, 3
	s_cmp_lt_i32 s10, 16
	s_cbranch_scc1 .LBB37_11
; %bb.5:
	s_cmp_lt_i32 s10, 32
	s_cbranch_scc1 .LBB37_12
; %bb.6:
	;; [unrolled: 3-line block ×3, first 2 shown]
	s_cmp_eq_u32 s10, 64
	v_mov_b32_e32 v10, v12
	s_cbranch_scc0 .LBB37_9
; %bb.8:
	s_nop 0
	v_mov_b32_dpp v10, v12 quad_perm:[1,0,3,2] row_mask:0xf bank_mask:0xf
	v_cmp_gt_f32_e32 vcc, v12, v10
	v_cndmask_b32_e32 v10, v10, v12, vcc
	v_bfrev_b32_e32 v13, 0.5
	s_nop 0
	v_mov_b32_dpp v11, v10 quad_perm:[2,3,0,1] row_mask:0xf bank_mask:0xf
	v_cmp_gt_f32_e32 vcc, v10, v11
	v_cndmask_b32_e32 v10, v11, v10, vcc
	s_nop 1
	v_mov_b32_dpp v11, v10 row_ror:4 row_mask:0xf bank_mask:0xf
	v_cmp_gt_f32_e32 vcc, v10, v11
	v_cndmask_b32_e32 v10, v11, v10, vcc
	s_nop 1
	v_mov_b32_dpp v11, v10 row_ror:8 row_mask:0xf bank_mask:0xf
	v_cmp_gt_f32_e32 vcc, v10, v11
	v_cndmask_b32_e32 v10, v11, v10, vcc
	s_nop 1
	v_mov_b32_dpp v11, v10 row_bcast:15 row_mask:0xf bank_mask:0xf
	v_cmp_gt_f32_e32 vcc, v10, v11
	v_cndmask_b32_e32 v10, v11, v10, vcc
	s_nop 1
	v_mov_b32_dpp v11, v10 row_bcast:31 row_mask:0xf bank_mask:0xf
	v_cmp_gt_f32_e32 vcc, v10, v11
	v_cndmask_b32_e32 v10, v11, v10, vcc
	v_mbcnt_lo_u32_b32 v11, -1, 0
	v_mbcnt_hi_u32_b32 v11, -1, v11
	v_lshl_or_b32 v11, v11, 2, v13
	ds_bpermute_b32 v10, v11, v10
.LBB37_9:
	s_mov_b64 s[2:3], 0
	s_branch .LBB37_14
.LBB37_10:
	s_mov_b64 s[2:3], 0
                                        ; implicit-def: $vgpr13
                                        ; implicit-def: $vgpr10_vgpr11
	s_cbranch_execnz .LBB37_43
	s_branch .LBB37_46
.LBB37_11:
                                        ; implicit-def: $vgpr10
	s_branch .LBB37_21
.LBB37_12:
                                        ; implicit-def: $vgpr10
	s_branch .LBB37_18
.LBB37_13:
	s_mov_b64 s[2:3], -1
                                        ; implicit-def: $vgpr10
.LBB37_14:
	s_andn2_b64 vcc, exec, s[2:3]
	s_cbranch_vccnz .LBB37_17
; %bb.15:
	s_cmp_eq_u32 s10, 32
	s_waitcnt lgkmcnt(0)
	v_mov_b32_e32 v10, v12
	s_cbranch_scc0 .LBB37_17
; %bb.16:
	s_nop 0
	v_mov_b32_dpp v10, v12 quad_perm:[1,0,3,2] row_mask:0xf bank_mask:0xf
	v_cmp_gt_f32_e32 vcc, v12, v10
	v_cndmask_b32_e32 v10, v10, v12, vcc
	v_mov_b32_e32 v13, 0x7c
	s_nop 0
	v_mov_b32_dpp v11, v10 quad_perm:[2,3,0,1] row_mask:0xf bank_mask:0xf
	v_cmp_gt_f32_e32 vcc, v10, v11
	v_cndmask_b32_e32 v10, v11, v10, vcc
	s_nop 1
	v_mov_b32_dpp v11, v10 row_half_mirror row_mask:0xf bank_mask:0xf
	v_cmp_gt_f32_e32 vcc, v10, v11
	v_cndmask_b32_e32 v10, v11, v10, vcc
	s_nop 1
	v_mov_b32_dpp v11, v10 row_mirror row_mask:0xf bank_mask:0xf
	v_cmp_gt_f32_e32 vcc, v10, v11
	v_cndmask_b32_e32 v10, v11, v10, vcc
	s_nop 1
	v_mov_b32_dpp v11, v10 row_bcast:15 row_mask:0xa bank_mask:0xf
	v_cmp_gt_f32_e32 vcc, v10, v11
	v_cndmask_b32_e32 v10, v11, v10, vcc
	v_mbcnt_lo_u32_b32 v11, -1, 0
	v_mbcnt_hi_u32_b32 v11, -1, v11
	v_lshl_or_b32 v11, v11, 2, v13
	ds_bpermute_b32 v10, v11, v10
.LBB37_17:
	s_cbranch_execnz .LBB37_20
.LBB37_18:
	s_cmp_eq_u32 s10, 16
	s_waitcnt lgkmcnt(0)
	v_mov_b32_e32 v10, v12
	s_cbranch_scc0 .LBB37_20
; %bb.19:
	s_nop 0
	v_mov_b32_dpp v10, v12 quad_perm:[1,0,3,2] row_mask:0xf bank_mask:0xf
	v_cmp_gt_f32_e32 vcc, v12, v10
	v_cndmask_b32_e32 v10, v10, v12, vcc
	s_nop 1
	v_mov_b32_dpp v11, v10 quad_perm:[2,3,0,1] row_mask:0xf bank_mask:0xf
	v_cmp_gt_f32_e32 vcc, v10, v11
	v_cndmask_b32_e32 v10, v11, v10, vcc
	s_nop 1
	v_mov_b32_dpp v11, v10 row_half_mirror row_mask:0xf bank_mask:0xf
	v_cmp_gt_f32_e32 vcc, v10, v11
	v_cndmask_b32_e32 v10, v11, v10, vcc
	s_nop 1
	v_mov_b32_dpp v11, v10 row_mirror row_mask:0xf bank_mask:0xf
	v_cmp_gt_f32_e32 vcc, v10, v11
	v_cndmask_b32_e32 v10, v11, v10, vcc
.LBB37_20:
	s_cbranch_execnz .LBB37_33
.LBB37_21:
	s_cmp_lt_i32 s10, 4
	s_cbranch_scc1 .LBB37_25
; %bb.22:
	s_cmp_lt_i32 s10, 8
	s_cbranch_scc1 .LBB37_26
; %bb.23:
	s_cmp_eq_u32 s10, 8
	s_waitcnt lgkmcnt(0)
	v_mov_b32_e32 v10, v12
	s_cbranch_scc0 .LBB37_27
; %bb.24:
	s_nop 0
	v_mov_b32_dpp v10, v12 quad_perm:[1,0,3,2] row_mask:0xf bank_mask:0xf
	v_cmp_gt_f32_e32 vcc, v12, v10
	v_cndmask_b32_e32 v10, v10, v12, vcc
	s_nop 1
	v_mov_b32_dpp v11, v10 quad_perm:[2,3,0,1] row_mask:0xf bank_mask:0xf
	v_cmp_gt_f32_e32 vcc, v10, v11
	v_cndmask_b32_e32 v10, v11, v10, vcc
	s_nop 1
	v_mov_b32_dpp v11, v10 row_half_mirror row_mask:0xf bank_mask:0xf
	v_cmp_gt_f32_e32 vcc, v10, v11
	v_cndmask_b32_e32 v10, v11, v10, vcc
	s_cbranch_execz .LBB37_28
	s_branch .LBB37_30
.LBB37_25:
                                        ; implicit-def: $vgpr10
	s_branch .LBB37_31
.LBB37_26:
                                        ; implicit-def: $vgpr10
	s_branch .LBB37_28
.LBB37_27:
	s_cbranch_execnz .LBB37_30
.LBB37_28:
	s_cmp_eq_u32 s10, 4
	s_waitcnt lgkmcnt(0)
	v_mov_b32_e32 v10, v12
	s_cbranch_scc0 .LBB37_30
; %bb.29:
	s_nop 0
	v_mov_b32_dpp v10, v12 quad_perm:[1,0,3,2] row_mask:0xf bank_mask:0xf
	v_cmp_gt_f32_e32 vcc, v12, v10
	v_cndmask_b32_e32 v10, v10, v12, vcc
	s_nop 1
	v_mov_b32_dpp v11, v10 quad_perm:[2,3,0,1] row_mask:0xf bank_mask:0xf
	v_cmp_gt_f32_e32 vcc, v10, v11
	v_cndmask_b32_e32 v10, v11, v10, vcc
.LBB37_30:
	s_cbranch_execnz .LBB37_33
.LBB37_31:
	s_cmp_lg_u32 s10, 2
	s_waitcnt lgkmcnt(0)
	v_mov_b32_e32 v10, v12
	s_cbranch_scc1 .LBB37_33
; %bb.32:
	s_nop 0
	v_mov_b32_dpp v10, v12 quad_perm:[1,0,3,2] row_mask:0xf bank_mask:0xf
	v_cmp_gt_f32_e32 vcc, v12, v10
	v_cndmask_b32_e32 v10, v10, v12, vcc
.LBB37_33:
	v_cvt_f32_u32_e32 v11, s10
	s_waitcnt lgkmcnt(0)
	v_mul_f32_e32 v13, 0x3c010204, v10
	s_sub_i32 s2, 0, s10
	v_cmp_gt_u32_e32 vcc, s9, v1
	v_rcp_iflag_f32_e32 v11, v11
	s_mov_b64 s[4:5], 0
	v_mul_f32_e32 v10, 0x4f7ffffe, v11
	v_cvt_u32_f32_e32 v10, v10
	v_mul_lo_u32 v11, s2, v10
	v_mul_hi_u32 v11, v10, v11
	v_add_u32_e32 v10, v10, v11
	v_mul_hi_u32 v10, v0, v10
	v_mul_lo_u32 v11, v10, s10
	v_sub_u32_e32 v11, v0, v11
	v_add_u32_e32 v15, 1, v10
	v_cmp_le_u32_e64 s[2:3], s10, v11
	v_cndmask_b32_e64 v10, v10, v15, s[2:3]
	v_subrev_u32_e32 v15, s10, v11
	v_cndmask_b32_e64 v11, v11, v15, s[2:3]
	v_add_u32_e32 v15, 1, v10
	v_cmp_le_u32_e64 s[2:3], s10, v11
	v_cndmask_b32_e64 v15, v10, v15, s[2:3]
	v_mul_lo_u32 v10, v15, s10
	v_sub_u32_e32 v10, v0, v10
	v_cmp_eq_u32_e64 s[2:3], 0, v10
	s_and_b64 s[10:11], s[2:3], vcc
	s_mov_b64 s[2:3], 0
                                        ; implicit-def: $vgpr10_vgpr11
	s_and_saveexec_b64 s[18:19], s[10:11]
	s_xor_b64 s[10:11], exec, s[18:19]
	s_cbranch_execz .LBB37_42
; %bb.34:
	s_bitcmp0_b32 s15, 0
	s_cbranch_scc0 .LBB37_39
; %bb.35:
	s_ashr_i32 s2, s9, 31
	s_mul_hi_u32 s3, s9, s6
	s_mul_i32 s2, s2, s6
	s_add_i32 s19, s3, s2
	s_mul_i32 s18, s9, s6
	s_mov_b32 s15, s12
	s_or_b64 s[2:3], s[18:19], s[14:15]
	s_mov_b32 s2, 0
	s_cmp_lg_u64 s[2:3], 0
	s_cbranch_scc0 .LBB37_50
; %bb.36:
	s_add_u32 s2, s14, s15
	s_mov_b32 s24, s15
	s_mov_b32 s25, s15
	s_addc_u32 s3, s15, s15
	s_xor_b64 s[26:27], s[2:3], s[24:25]
	v_cvt_f32_u32_e32 v10, s26
	v_cvt_f32_u32_e32 v11, s27
	s_sub_u32 s2, 0, s26
	s_subb_u32 s3, 0, s27
	v_madmk_f32 v10, v11, 0x4f800000, v10
	v_rcp_f32_e32 v10, v10
	v_mul_f32_e32 v10, 0x5f7ffffc, v10
	v_mul_f32_e32 v11, 0x2f800000, v10
	v_trunc_f32_e32 v11, v11
	v_madmk_f32 v10, v11, 0xcf800000, v10
	v_cvt_u32_f32_e32 v11, v11
	v_cvt_u32_f32_e32 v10, v10
	v_readfirstlane_b32 s12, v11
	v_readfirstlane_b32 s15, v10
	s_mul_i32 s28, s2, s12
	s_mul_hi_u32 s30, s2, s15
	s_mul_i32 s29, s3, s15
	s_add_i32 s28, s30, s28
	s_add_i32 s28, s28, s29
	s_mul_i32 s31, s2, s15
	s_mul_hi_u32 s29, s15, s28
	s_mul_i32 s30, s15, s28
	s_mul_hi_u32 s15, s15, s31
	s_add_u32 s15, s15, s30
	s_addc_u32 s29, 0, s29
	s_mul_hi_u32 s33, s12, s31
	s_mul_i32 s31, s12, s31
	s_add_u32 s15, s15, s31
	s_mul_hi_u32 s30, s12, s28
	s_addc_u32 s15, s29, s33
	s_addc_u32 s29, s30, 0
	s_mul_i32 s28, s12, s28
	s_add_u32 s15, s15, s28
	s_addc_u32 s28, 0, s29
	v_add_co_u32_e32 v10, vcc, s15, v10
	s_cmp_lg_u64 vcc, 0
	s_addc_u32 s12, s12, s28
	v_readfirstlane_b32 s28, v10
	s_mul_i32 s15, s2, s12
	s_mul_hi_u32 s29, s2, s28
	s_add_i32 s15, s29, s15
	s_mul_i32 s3, s3, s28
	s_add_i32 s15, s15, s3
	s_mul_i32 s2, s2, s28
	s_mul_hi_u32 s29, s12, s2
	s_mul_i32 s30, s12, s2
	s_mul_i32 s33, s28, s15
	s_mul_hi_u32 s2, s28, s2
	s_mul_hi_u32 s31, s28, s15
	s_add_u32 s2, s2, s33
	s_addc_u32 s28, 0, s31
	s_add_u32 s2, s2, s30
	s_mul_hi_u32 s3, s12, s15
	s_addc_u32 s2, s28, s29
	s_addc_u32 s3, s3, 0
	s_mul_i32 s15, s12, s15
	s_add_u32 s2, s2, s15
	s_addc_u32 s3, 0, s3
	v_add_co_u32_e32 v10, vcc, s2, v10
	s_cmp_lg_u64 vcc, 0
	s_addc_u32 s12, s12, s3
	s_ashr_i32 s28, s19, 31
	s_add_u32 s2, s18, s28
	s_mov_b32 s29, s28
	s_addc_u32 s3, s19, s28
	s_xor_b64 s[30:31], s[2:3], s[28:29]
	v_readfirstlane_b32 s15, v10
	s_mul_i32 s3, s30, s12
	s_mul_hi_u32 s19, s30, s15
	s_mul_hi_u32 s2, s30, s12
	s_add_u32 s3, s19, s3
	s_addc_u32 s2, 0, s2
	s_mul_hi_u32 s33, s31, s15
	s_mul_i32 s15, s31, s15
	s_add_u32 s3, s3, s15
	s_mul_hi_u32 s19, s31, s12
	s_addc_u32 s2, s2, s33
	s_addc_u32 s3, s19, 0
	s_mul_i32 s12, s31, s12
	s_add_u32 s12, s2, s12
	s_addc_u32 s15, 0, s3
	s_mul_i32 s2, s26, s15
	s_mul_hi_u32 s3, s26, s12
	s_add_i32 s2, s3, s2
	s_mul_i32 s3, s27, s12
	s_add_i32 s19, s2, s3
	s_mul_i32 s3, s26, s12
	v_mov_b32_e32 v10, s3
	s_sub_i32 s2, s31, s19
	v_sub_co_u32_e32 v10, vcc, s30, v10
	s_cmp_lg_u64 vcc, 0
	s_subb_u32 s30, s2, s27
	v_subrev_co_u32_e64 v11, s[2:3], s26, v10
	s_cmp_lg_u64 s[2:3], 0
	s_subb_u32 s30, s30, 0
	s_cmp_ge_u32 s30, s27
	s_cselect_b32 s33, -1, 0
	v_cmp_le_u32_e64 s[2:3], s26, v11
	s_cmp_eq_u32 s30, s27
	v_cndmask_b32_e64 v11, 0, -1, s[2:3]
	v_mov_b32_e32 v16, s33
	s_cselect_b64 s[2:3], -1, 0
	v_cndmask_b32_e64 v11, v16, v11, s[2:3]
	s_add_u32 s2, s12, 1
	s_addc_u32 s30, s15, 0
	s_add_u32 s3, s12, 2
	s_addc_u32 s33, s15, 0
	v_mov_b32_e32 v16, s2
	v_mov_b32_e32 v17, s3
	v_cmp_ne_u32_e64 s[2:3], 0, v11
	v_cndmask_b32_e64 v11, v16, v17, s[2:3]
	v_mov_b32_e32 v16, s30
	v_mov_b32_e32 v17, s33
	s_cmp_lg_u64 vcc, 0
	v_cndmask_b32_e64 v16, v16, v17, s[2:3]
	s_subb_u32 s2, s31, s19
	s_cmp_ge_u32 s2, s27
	s_cselect_b32 s3, -1, 0
	v_cmp_le_u32_e32 vcc, s26, v10
	s_cmp_eq_u32 s2, s27
	v_cndmask_b32_e64 v10, 0, -1, vcc
	v_mov_b32_e32 v17, s3
	s_cselect_b64 vcc, -1, 0
	v_cndmask_b32_e32 v10, v17, v10, vcc
	v_mov_b32_e32 v17, s15
	v_cmp_ne_u32_e32 vcc, 0, v10
	v_cndmask_b32_e32 v10, v17, v16, vcc
	v_mov_b32_e32 v16, s12
	v_cndmask_b32_e32 v11, v16, v11, vcc
	s_xor_b64 s[2:3], s[28:29], s[24:25]
	v_xor_b32_e32 v11, s2, v11
	v_xor_b32_e32 v16, s3, v10
	v_mov_b32_e32 v17, s3
	v_subrev_co_u32_e32 v10, vcc, s2, v11
	v_subb_co_u32_e32 v11, vcc, v16, v17, vcc
	s_cbranch_execnz .LBB37_38
.LBB37_37:
	v_cvt_f32_u32_e32 v10, s14
	s_sub_i32 s2, 0, s14
	s_mov_b32 s3, 0
	v_rcp_iflag_f32_e32 v10, v10
	v_mul_f32_e32 v10, 0x4f7ffffe, v10
	v_cvt_u32_f32_e32 v10, v10
	v_readfirstlane_b32 s12, v10
	s_mul_i32 s2, s2, s12
	s_mul_hi_u32 s2, s12, s2
	s_add_i32 s12, s12, s2
	s_mul_hi_u32 s2, s18, s12
	s_mul_i32 s15, s2, s14
	s_sub_i32 s15, s18, s15
	s_add_i32 s12, s2, 1
	s_sub_i32 s18, s15, s14
	s_cmp_ge_u32 s15, s14
	s_cselect_b32 s2, s12, s2
	s_cselect_b32 s15, s18, s15
	s_add_i32 s12, s2, 1
	s_cmp_ge_u32 s15, s14
	s_cselect_b32 s2, s12, s2
	v_pk_mov_b32 v[10:11], s[2:3], s[2:3] op_sel:[0,1]
.LBB37_38:
	v_add_co_u32_e32 v10, vcc, v10, v15
	v_addc_co_u32_e32 v11, vcc, 0, v11, vcc
	s_branch .LBB37_41
.LBB37_39:
                                        ; implicit-def: $vgpr10_vgpr11
	s_cbranch_execz .LBB37_41
; %bb.40:
	v_mul_lo_u32 v10, v15, s8
	v_ashrrev_i32_e32 v11, 31, v10
	v_mov_b32_e32 v15, s7
	v_add_co_u32_e32 v10, vcc, s6, v10
	v_addc_co_u32_e32 v11, vcc, v11, v15, vcc
.LBB37_41:
	s_mov_b64 s[2:3], exec
.LBB37_42:
	s_or_b64 exec, exec, s[10:11]
	s_and_b64 vcc, exec, s[4:5]
	s_cbranch_vccz .LBB37_46
.LBB37_43:
	v_mov_b32_dpp v10, v12 quad_perm:[1,0,3,2] row_mask:0xf bank_mask:0xf
	v_cmp_gt_f32_e32 vcc, v12, v10
	v_cndmask_b32_e32 v10, v10, v12, vcc
	s_nop 1
	v_mov_b32_dpp v11, v10 quad_perm:[2,3,0,1] row_mask:0xf bank_mask:0xf
	v_cmp_gt_f32_e32 vcc, v10, v11
	v_cndmask_b32_e32 v10, v11, v10, vcc
	s_nop 1
	v_mov_b32_dpp v11, v10 row_half_mirror row_mask:0xf bank_mask:0xf
	v_cmp_gt_f32_e32 vcc, v10, v11
	v_cndmask_b32_e32 v10, v11, v10, vcc
	s_nop 1
	v_mov_b32_dpp v11, v10 row_mirror row_mask:0xf bank_mask:0xf
	v_cmp_gt_f32_e32 vcc, v10, v11
	v_cndmask_b32_e32 v10, v11, v10, vcc
	s_nop 1
	v_mov_b32_dpp v11, v10 row_bcast:15 row_mask:0xf bank_mask:0xf
	v_cmp_gt_f32_e32 vcc, v10, v11
	v_cndmask_b32_e32 v10, v11, v10, vcc
	s_nop 1
	v_mov_b32_dpp v11, v10 row_bcast:31 row_mask:0xf bank_mask:0xf
	s_and_saveexec_b64 s[2:3], s[0:1]
	s_cbranch_execz .LBB37_45
; %bb.44:
	v_lshrrev_b32_e32 v12, 4, v0
	v_cmp_gt_f32_e32 vcc, v10, v11
	v_and_b32_e32 v12, 60, v12
	v_cndmask_b32_e32 v10, v11, v10, vcc
	ds_write_b32 v12, v10
.LBB37_45:
	s_or_b64 exec, exec, s[2:3]
	s_waitcnt lgkmcnt(0)
	s_barrier
	ds_read_b32 v10, v14
	v_cmp_eq_u32_e64 s[2:3], 0, v0
	s_waitcnt lgkmcnt(0)
	v_mov_b32_dpp v11, v10 quad_perm:[1,0,3,2] row_mask:0xf bank_mask:0xf
	v_cmp_gt_f32_e32 vcc, v10, v11
	v_cndmask_b32_e32 v10, v11, v10, vcc
	v_mul_f32_e32 v13, 0x3c010204, v10
	v_pk_mov_b32 v[10:11], s[6:7], s[6:7] op_sel:[0,1]
.LBB37_46:
	s_and_saveexec_b64 s[0:1], s[2:3]
	s_cbranch_execz .LBB37_48
; %bb.47:
	v_lshlrev_b64 v[10:11], 2, v[10:11]
	v_mov_b32_e32 v0, s21
	v_add_co_u32_e32 v10, vcc, s20, v10
	v_addc_co_u32_e32 v11, vcc, v0, v11, vcc
	global_store_dword v[10:11], v13, off
.LBB37_48:
	s_or_b64 exec, exec, s[0:1]
	s_add_i32 s0, s9, 3
	s_ashr_i32 s1, s0, 31
	s_lshr_b32 s1, s1, 30
	;;#ASMSTART
	v_rcp_f32 v10, v13
	;;#ASMEND
	v_mov_b32_e32 v11, v10
	;;#ASMSTART
	v_pk_mul_f32 v[8:9], v[8:9], v[10:11]
	;;#ASMEND
	;;#ASMSTART
	v_pk_mul_f32 v[6:7], v[6:7], v[10:11]
	;;#ASMEND
	s_add_i32 s0, s0, s1
	v_cvt_i32_f32_e32 v0, v8
	v_cvt_i32_f32_sdwa v8, v9 dst_sel:BYTE_1 dst_unused:UNUSED_PAD src0_sel:DWORD
	v_cvt_i32_f32_e32 v6, v6
	v_cvt_i32_f32_sdwa v7, v7 dst_sel:BYTE_1 dst_unused:UNUSED_PAD src0_sel:DWORD
	;;#ASMSTART
	v_pk_mul_f32 v[4:5], v[4:5], v[10:11]
	;;#ASMEND
	;;#ASMSTART
	v_pk_mul_f32 v[2:3], v[2:3], v[10:11]
	;;#ASMEND
	s_and_b32 s2, s0, -4
	s_ashr_i32 s0, s13, 31
	v_cvt_i32_f32_e32 v4, v4
	v_cvt_i32_f32_sdwa v5, v5 dst_sel:BYTE_1 dst_unused:UNUSED_PAD src0_sel:DWORD
	v_cvt_i32_f32_e32 v9, v2
	v_cvt_i32_f32_sdwa v3, v3 dst_sel:BYTE_1 dst_unused:UNUSED_PAD src0_sel:DWORD
	s_mul_hi_u32 s1, s13, s6
	s_mul_i32 s0, s0, s6
	s_add_i32 s1, s1, s0
	s_mul_i32 s0, s13, s6
	s_add_u32 s0, s16, s0
	v_or_b32_sdwa v0, v0, v8 dst_sel:DWORD dst_unused:UNUSED_PAD src0_sel:BYTE_0 src1_sel:DWORD
	v_or_b32_sdwa v2, v6, v7 dst_sel:WORD_1 dst_unused:UNUSED_PAD src0_sel:BYTE_0 src1_sel:DWORD
	s_addc_u32 s1, s17, s1
	v_or_b32_sdwa v2, v0, v2 dst_sel:DWORD dst_unused:UNUSED_PAD src0_sel:WORD_0 src1_sel:DWORD
	v_or_b32_sdwa v0, v4, v5 dst_sel:DWORD dst_unused:UNUSED_PAD src0_sel:BYTE_0 src1_sel:DWORD
	v_or_b32_sdwa v3, v9, v3 dst_sel:WORD_1 dst_unused:UNUSED_PAD src0_sel:BYTE_0 src1_sel:DWORD
	s_and_b32 s1, s1, 0xffff
	s_mov_b32 s3, 0x20000
	v_or_b32_sdwa v3, v0, v3 dst_sel:DWORD dst_unused:UNUSED_PAD src0_sel:WORD_0 src1_sel:DWORD
	buffer_store_dwordx2 v[2:3], v1, s[0:3], 0 offen
	;;#ASMSTART
	s_nop 0
	;;#ASMEND
.LBB37_49:
	s_endpgm
.LBB37_50:
                                        ; implicit-def: $vgpr10_vgpr11
	s_branch .LBB37_37
	.section	.rodata,"a",@progbits
	.p2align	6, 0x0
	.amdhsa_kernel _ZN5aiter24add_rmsnorm_quant_kernelIDF16_aLi128ELi8ELb1ELb1ELb1ELi1EEEvPT0_PT_PfS4_S4_S4_diiiiiiib
		.amdhsa_group_segment_fixed_size 16
		.amdhsa_private_segment_fixed_size 0
		.amdhsa_kernarg_size 88
		.amdhsa_user_sgpr_count 6
		.amdhsa_user_sgpr_private_segment_buffer 1
		.amdhsa_user_sgpr_dispatch_ptr 0
		.amdhsa_user_sgpr_queue_ptr 0
		.amdhsa_user_sgpr_kernarg_segment_ptr 1
		.amdhsa_user_sgpr_dispatch_id 0
		.amdhsa_user_sgpr_flat_scratch_init 0
		.amdhsa_user_sgpr_kernarg_preload_length 0
		.amdhsa_user_sgpr_kernarg_preload_offset 0
		.amdhsa_user_sgpr_private_segment_size 0
		.amdhsa_uses_dynamic_stack 0
		.amdhsa_system_sgpr_private_segment_wavefront_offset 0
		.amdhsa_system_sgpr_workgroup_id_x 1
		.amdhsa_system_sgpr_workgroup_id_y 0
		.amdhsa_system_sgpr_workgroup_id_z 0
		.amdhsa_system_sgpr_workgroup_info 0
		.amdhsa_system_vgpr_workitem_id 0
		.amdhsa_next_free_vgpr 32
		.amdhsa_next_free_sgpr 40
		.amdhsa_accum_offset 32
		.amdhsa_reserve_vcc 1
		.amdhsa_reserve_flat_scratch 0
		.amdhsa_float_round_mode_32 0
		.amdhsa_float_round_mode_16_64 0
		.amdhsa_float_denorm_mode_32 3
		.amdhsa_float_denorm_mode_16_64 3
		.amdhsa_dx10_clamp 1
		.amdhsa_ieee_mode 1
		.amdhsa_fp16_overflow 0
		.amdhsa_tg_split 0
		.amdhsa_exception_fp_ieee_invalid_op 0
		.amdhsa_exception_fp_denorm_src 0
		.amdhsa_exception_fp_ieee_div_zero 0
		.amdhsa_exception_fp_ieee_overflow 0
		.amdhsa_exception_fp_ieee_underflow 0
		.amdhsa_exception_fp_ieee_inexact 0
		.amdhsa_exception_int_div_zero 0
	.end_amdhsa_kernel
	.section	.text._ZN5aiter24add_rmsnorm_quant_kernelIDF16_aLi128ELi8ELb1ELb1ELb1ELi1EEEvPT0_PT_PfS4_S4_S4_diiiiiiib,"axG",@progbits,_ZN5aiter24add_rmsnorm_quant_kernelIDF16_aLi128ELi8ELb1ELb1ELb1ELi1EEEvPT0_PT_PfS4_S4_S4_diiiiiiib,comdat
.Lfunc_end37:
	.size	_ZN5aiter24add_rmsnorm_quant_kernelIDF16_aLi128ELi8ELb1ELb1ELb1ELi1EEEvPT0_PT_PfS4_S4_S4_diiiiiiib, .Lfunc_end37-_ZN5aiter24add_rmsnorm_quant_kernelIDF16_aLi128ELi8ELb1ELb1ELb1ELi1EEEvPT0_PT_PfS4_S4_S4_diiiiiiib
                                        ; -- End function
	.section	.AMDGPU.csdata,"",@progbits
; Kernel info:
; codeLenInByte = 3256
; NumSgprs: 44
; NumVgprs: 32
; NumAgprs: 0
; TotalNumVgprs: 32
; ScratchSize: 0
; MemoryBound: 0
; FloatMode: 240
; IeeeMode: 1
; LDSByteSize: 16 bytes/workgroup (compile time only)
; SGPRBlocks: 5
; VGPRBlocks: 3
; NumSGPRsForWavesPerEU: 44
; NumVGPRsForWavesPerEU: 32
; AccumOffset: 32
; Occupancy: 8
; WaveLimiterHint : 0
; COMPUTE_PGM_RSRC2:SCRATCH_EN: 0
; COMPUTE_PGM_RSRC2:USER_SGPR: 6
; COMPUTE_PGM_RSRC2:TRAP_HANDLER: 0
; COMPUTE_PGM_RSRC2:TGID_X_EN: 1
; COMPUTE_PGM_RSRC2:TGID_Y_EN: 0
; COMPUTE_PGM_RSRC2:TGID_Z_EN: 0
; COMPUTE_PGM_RSRC2:TIDIG_COMP_CNT: 0
; COMPUTE_PGM_RSRC3_GFX90A:ACCUM_OFFSET: 7
; COMPUTE_PGM_RSRC3_GFX90A:TG_SPLIT: 0
	.section	.text._ZN5aiter24add_rmsnorm_quant_kernelItaLi128ELi8ELb1ELb1ELb1ELi1EEEvPT0_PT_PfS4_S4_S4_diiiiiiib,"axG",@progbits,_ZN5aiter24add_rmsnorm_quant_kernelItaLi128ELi8ELb1ELb1ELb1ELi1EEEvPT0_PT_PfS4_S4_S4_diiiiiiib,comdat
	.protected	_ZN5aiter24add_rmsnorm_quant_kernelItaLi128ELi8ELb1ELb1ELb1ELi1EEEvPT0_PT_PfS4_S4_S4_diiiiiiib ; -- Begin function _ZN5aiter24add_rmsnorm_quant_kernelItaLi128ELi8ELb1ELb1ELb1ELi1EEEvPT0_PT_PfS4_S4_S4_diiiiiiib
	.globl	_ZN5aiter24add_rmsnorm_quant_kernelItaLi128ELi8ELb1ELb1ELb1ELi1EEEvPT0_PT_PfS4_S4_S4_diiiiiiib
	.p2align	8
	.type	_ZN5aiter24add_rmsnorm_quant_kernelItaLi128ELi8ELb1ELb1ELb1ELi1EEEvPT0_PT_PfS4_S4_S4_diiiiiiib,@function
_ZN5aiter24add_rmsnorm_quant_kernelItaLi128ELi8ELb1ELb1ELb1ELi1EEEvPT0_PT_PfS4_S4_S4_diiiiiiib: ; @_ZN5aiter24add_rmsnorm_quant_kernelItaLi128ELi8ELb1ELb1ELb1ELi1EEEvPT0_PT_PfS4_S4_S4_diiiiiiib
; %bb.0:
	s_load_dwordx8 s[8:15], s[4:5], 0x38
	s_mov_b32 s7, 0
	s_waitcnt lgkmcnt(0)
	s_ashr_i32 s0, s8, 31
	v_mov_b32_e32 v2, s8
	v_mov_b32_e32 v3, s0
	v_cmp_ge_i64_e32 vcc, s[6:7], v[2:3]
	s_cbranch_vccnz .LBB38_49
; %bb.1:
	s_load_dwordx8 s[16:23], s[4:5], 0x0
	s_load_dwordx8 s[24:31], s[4:5], 0x20
	s_ashr_i32 s0, s10, 31
	s_mul_hi_u32 s1, s10, s6
	s_mul_i32 s0, s0, s6
	s_add_i32 s1, s1, s0
	s_mul_i32 s0, s10, s6
	s_lshl_b64 s[0:1], s[0:1], 1
	s_waitcnt lgkmcnt(0)
	s_add_u32 s0, s22, s0
	s_addc_u32 s1, s23, s1
	s_add_i32 s2, s9, 1
	s_lshr_b32 s3, s2, 31
	s_add_i32 s2, s2, s3
	s_lshl_b32 s2, s2, 1
	s_and_b32 s2, s2, -4
	s_and_b32 s1, s1, 0xffff
	s_mov_b32 s3, 0x20000
	v_lshlrev_b32_e32 v1, 4, v0
	buffer_load_dwordx4 v[6:9], v1, s[0:3], 0 offen glc slc
	s_ashr_i32 s0, s11, 31
	s_mul_hi_u32 s1, s11, s6
	s_mul_i32 s0, s0, s6
	s_add_i32 s1, s1, s0
	s_mul_i32 s0, s11, s6
	s_and_b32 s37, s27, 0xffff
	s_lshl_b64 s[0:1], s[0:1], 1
	s_add_u32 s0, s24, s0
	s_addc_u32 s1, s25, s1
	s_and_b32 s1, s1, 0xffff
	buffer_load_dwordx4 v[10:13], v1, s[0:3], 0 offen glc slc
	s_mov_b32 s39, s3
	s_mov_b32 s36, s26
	;; [unrolled: 1-line block ×3, first 2 shown]
	buffer_load_dwordx4 v[2:5], v1, s[36:39], 0 offen
	s_ashr_i32 s5, s12, 31
	s_mul_hi_u32 s1, s12, s6
	s_mul_i32 s5, s5, s6
	s_mul_i32 s0, s12, s6
	s_add_i32 s1, s1, s5
	s_lshl_b64 s[0:1], s[0:1], 1
	s_add_u32 s0, s18, s0
	s_mov_b32 s4, 0x7060302
	s_addc_u32 s1, s19, s1
	s_and_b32 s1, s1, 0xffff
	v_and_b32_e32 v26, 63, v0
	s_waitcnt vmcnt(2)
	v_cvt_f32_u32_sdwa v15, v6 dst_sel:DWORD dst_unused:UNUSED_PAD src0_sel:WORD_1
	v_cvt_f32_u32_sdwa v14, v6 dst_sel:DWORD dst_unused:UNUSED_PAD src0_sel:WORD_0
	v_cvt_f32_u32_sdwa v17, v7 dst_sel:DWORD dst_unused:UNUSED_PAD src0_sel:WORD_1
	v_cvt_f32_u32_sdwa v16, v7 dst_sel:DWORD dst_unused:UNUSED_PAD src0_sel:WORD_0
	;; [unrolled: 2-line block ×4, first 2 shown]
	s_waitcnt vmcnt(1)
	v_cvt_f32_u32_sdwa v9, v10 dst_sel:DWORD dst_unused:UNUSED_PAD src0_sel:WORD_1
	v_cvt_f32_u32_sdwa v8, v10 dst_sel:DWORD dst_unused:UNUSED_PAD src0_sel:WORD_0
	v_cvt_f32_u32_sdwa v21, v11 dst_sel:DWORD dst_unused:UNUSED_PAD src0_sel:WORD_1
	v_cvt_f32_u32_sdwa v20, v11 dst_sel:DWORD dst_unused:UNUSED_PAD src0_sel:WORD_0
	;; [unrolled: 2-line block ×4, first 2 shown]
	v_pk_add_f32 v[12:13], v[14:15], v[8:9]
	v_pk_add_f32 v[10:11], v[16:17], v[20:21]
	;; [unrolled: 1-line block ×4, first 2 shown]
	v_perm_b32 v17, v7, v6, s4
	v_perm_b32 v16, v9, v8, s4
	v_perm_b32 v15, v11, v10, s4
	v_perm_b32 v14, v13, v12, s4
	v_pk_mul_f32 v[18:19], v[12:13], v[12:13]
	v_pk_mul_f32 v[20:21], v[10:11], v[10:11]
	buffer_store_dwordx4 v[14:17], v1, s[0:3], 0 offen glc slc
	v_add_f32_e32 v1, v18, v19
	v_add_f32_e32 v1, v20, v1
	v_pk_mul_f32 v[22:23], v[8:9], v[8:9]
	v_add_f32_e32 v1, v21, v1
	v_add_f32_e32 v1, v22, v1
	v_pk_mul_f32 v[24:25], v[6:7], v[6:7]
	v_add_f32_e32 v1, v23, v1
	v_add_f32_e32 v1, v24, v1
	;; [unrolled: 1-line block ×3, first 2 shown]
	v_cmp_eq_u32_e64 s[0:1], 63, v26
	;;#ASMSTART
	s_nop 0
	;;#ASMEND
	s_nop 0
	v_mov_b32_dpp v14, v1 quad_perm:[1,0,3,2] row_mask:0xf bank_mask:0xf
	v_add_f32_e32 v1, v1, v14
	s_nop 1
	v_mov_b32_dpp v14, v1 quad_perm:[2,3,0,1] row_mask:0xf bank_mask:0xf
	v_add_f32_e32 v1, v1, v14
	s_nop 1
	v_mov_b32_dpp v14, v1 row_half_mirror row_mask:0xf bank_mask:0xf
	v_add_f32_e32 v1, v1, v14
	s_nop 1
	v_mov_b32_dpp v14, v1 row_mirror row_mask:0xf bank_mask:0xf
	v_add_f32_e32 v1, v1, v14
	s_nop 1
	v_mov_b32_dpp v14, v1 row_bcast:15 row_mask:0xf bank_mask:0xf
	v_add_f32_e32 v1, v1, v14
	s_nop 1
	v_mov_b32_dpp v14, v1 row_bcast:31 row_mask:0xf bank_mask:0xf
	s_and_saveexec_b64 s[2:3], s[0:1]
	s_cbranch_execz .LBB38_3
; %bb.2:
	v_lshrrev_b32_e32 v15, 4, v0
	v_and_b32_e32 v15, 60, v15
	v_add_f32_e32 v1, v1, v14
	ds_write_b32 v15, v1 offset:8
.LBB38_3:
	s_or_b64 exec, exec, s[2:3]
	v_and_b32_e32 v1, 1, v0
	v_lshlrev_b32_e32 v14, 2, v1
	s_waitcnt lgkmcnt(0)
	s_barrier
	ds_read_b32 v1, v14 offset:8
	v_cvt_f32_i32_e32 v15, s9
	s_waitcnt vmcnt(1)
	v_cvt_f32_u32_sdwa v21, v3 dst_sel:DWORD dst_unused:UNUSED_PAD src0_sel:WORD_1
	v_cvt_f32_u32_sdwa v23, v5 dst_sel:DWORD dst_unused:UNUSED_PAD src0_sel:WORD_1
	v_cvt_f32_u32_sdwa v22, v5 dst_sel:DWORD dst_unused:UNUSED_PAD src0_sel:WORD_0
	s_waitcnt lgkmcnt(0)
	v_mov_b32_dpp v16, v1 quad_perm:[1,0,3,2] row_mask:0xf bank_mask:0xf
	v_add_f32_e32 v1, v1, v16
	v_div_scale_f32 v16, s[2:3], v15, v15, v1
	v_rcp_f32_e32 v17, v16
	v_div_scale_f32 v18, vcc, v1, v15, v1
	s_mov_b32 s2, 0x800000
	v_fma_f32 v19, -v16, v17, 1.0
	v_fmac_f32_e32 v17, v19, v17
	v_mul_f32_e32 v19, v18, v17
	v_fma_f32 v20, -v16, v19, v18
	v_fmac_f32_e32 v19, v20, v17
	v_fma_f32 v16, -v16, v19, v18
	v_div_fmas_f32 v16, v16, v17, v19
	v_div_fixup_f32 v1, v16, v15, v1
	v_cvt_f64_f32_e32 v[16:17], v1
	v_add_f64 v[16:17], v[16:17], s[28:29]
	v_cvt_f32_f64_e32 v1, v[16:17]
	v_mul_f32_e32 v15, 0x4b800000, v1
	v_cmp_gt_f32_e32 vcc, s2, v1
	v_cndmask_b32_e32 v1, v1, v15, vcc
	v_rsq_f32_e32 v15, v1
	v_cvt_f32_u32_sdwa v20, v3 dst_sel:DWORD dst_unused:UNUSED_PAD src0_sel:WORD_0
	v_cvt_f32_u32_sdwa v3, v4 dst_sel:DWORD dst_unused:UNUSED_PAD src0_sel:WORD_1
	v_lshlrev_b32_e32 v1, 3, v0
	v_mul_f32_e32 v16, 0x45800000, v15
	v_cndmask_b32_e32 v16, v15, v16, vcc
	v_mov_b32_e32 v17, v16
	;;#ASMSTART
	v_pk_mul_f32 v[12:13], v[12:13], v[16:17]
	;;#ASMEND
	;;#ASMSTART
	v_pk_mul_f32 v[10:11], v[10:11], v[16:17]
	;;#ASMEND
	;; [unrolled: 3-line block ×4, first 2 shown]
	v_cvt_f32_u32_sdwa v7, v2 dst_sel:DWORD dst_unused:UNUSED_PAD src0_sel:WORD_1
	v_cvt_f32_u32_sdwa v6, v2 dst_sel:DWORD dst_unused:UNUSED_PAD src0_sel:WORD_0
	v_cvt_f32_u32_sdwa v2, v4 dst_sel:DWORD dst_unused:UNUSED_PAD src0_sel:WORD_0
	;;#ASMSTART
	v_pk_mul_f32 v[8:9], v[12:13], v[6:7]
	;;#ASMEND
	;;#ASMSTART
	v_pk_mul_f32 v[6:7], v[10:11], v[20:21]
	;;#ASMEND
	v_and_b32_e32 v10, 0x7fffffff, v8
	v_mov_b32_e32 v12, 0x2edbe6ff
	;;#ASMSTART
	v_pk_mul_f32 v[4:5], v[18:19], v[2:3]
	;;#ASMEND
	;;#ASMSTART
	v_pk_mul_f32 v[2:3], v[16:17], v[22:23]
	;;#ASMEND
	v_and_b32_e32 v11, 0x7fffffff, v9
	;;#ASMSTART
	v_max3_f32 v10, v12, v10, v11

	;;#ASMEND
	v_and_b32_e32 v12, 0x7fffffff, v7
	v_and_b32_e32 v11, 0x7fffffff, v6
	;;#ASMSTART
	v_max3_f32 v10, v10, v11, v12

	;;#ASMEND
	v_and_b32_e32 v12, 0x7fffffff, v5
	;; [unrolled: 6-line block ×3, first 2 shown]
	s_cmp_lg_u32 s14, 0
	v_and_b32_e32 v11, 0x7fffffff, v2
	;;#ASMSTART
	v_max3_f32 v12, v10, v11, v12

	;;#ASMEND
	s_cbranch_scc0 .LBB38_10
; %bb.4:
	s_ashr_i32 s12, s14, 31
	s_lshr_b32 s2, s12, 29
	s_add_i32 s2, s14, s2
	s_ashr_i32 s10, s2, 3
	s_cmp_lt_i32 s10, 16
	s_cbranch_scc1 .LBB38_11
; %bb.5:
	s_cmp_lt_i32 s10, 32
	s_cbranch_scc1 .LBB38_12
; %bb.6:
	;; [unrolled: 3-line block ×3, first 2 shown]
	s_cmp_eq_u32 s10, 64
	v_mov_b32_e32 v10, v12
	s_cbranch_scc0 .LBB38_9
; %bb.8:
	s_nop 0
	v_mov_b32_dpp v10, v12 quad_perm:[1,0,3,2] row_mask:0xf bank_mask:0xf
	v_cmp_gt_f32_e32 vcc, v12, v10
	v_cndmask_b32_e32 v10, v10, v12, vcc
	v_bfrev_b32_e32 v13, 0.5
	s_nop 0
	v_mov_b32_dpp v11, v10 quad_perm:[2,3,0,1] row_mask:0xf bank_mask:0xf
	v_cmp_gt_f32_e32 vcc, v10, v11
	v_cndmask_b32_e32 v10, v11, v10, vcc
	s_nop 1
	v_mov_b32_dpp v11, v10 row_ror:4 row_mask:0xf bank_mask:0xf
	v_cmp_gt_f32_e32 vcc, v10, v11
	v_cndmask_b32_e32 v10, v11, v10, vcc
	s_nop 1
	v_mov_b32_dpp v11, v10 row_ror:8 row_mask:0xf bank_mask:0xf
	v_cmp_gt_f32_e32 vcc, v10, v11
	v_cndmask_b32_e32 v10, v11, v10, vcc
	s_nop 1
	v_mov_b32_dpp v11, v10 row_bcast:15 row_mask:0xf bank_mask:0xf
	v_cmp_gt_f32_e32 vcc, v10, v11
	v_cndmask_b32_e32 v10, v11, v10, vcc
	s_nop 1
	v_mov_b32_dpp v11, v10 row_bcast:31 row_mask:0xf bank_mask:0xf
	v_cmp_gt_f32_e32 vcc, v10, v11
	v_cndmask_b32_e32 v10, v11, v10, vcc
	v_mbcnt_lo_u32_b32 v11, -1, 0
	v_mbcnt_hi_u32_b32 v11, -1, v11
	v_lshl_or_b32 v11, v11, 2, v13
	ds_bpermute_b32 v10, v11, v10
.LBB38_9:
	s_mov_b64 s[2:3], 0
	s_branch .LBB38_14
.LBB38_10:
	s_mov_b64 s[2:3], 0
                                        ; implicit-def: $vgpr13
                                        ; implicit-def: $vgpr10_vgpr11
	s_cbranch_execnz .LBB38_43
	s_branch .LBB38_46
.LBB38_11:
                                        ; implicit-def: $vgpr10
	s_branch .LBB38_21
.LBB38_12:
                                        ; implicit-def: $vgpr10
	s_branch .LBB38_18
.LBB38_13:
	s_mov_b64 s[2:3], -1
                                        ; implicit-def: $vgpr10
.LBB38_14:
	s_andn2_b64 vcc, exec, s[2:3]
	s_cbranch_vccnz .LBB38_17
; %bb.15:
	s_cmp_eq_u32 s10, 32
	s_waitcnt lgkmcnt(0)
	v_mov_b32_e32 v10, v12
	s_cbranch_scc0 .LBB38_17
; %bb.16:
	s_nop 0
	v_mov_b32_dpp v10, v12 quad_perm:[1,0,3,2] row_mask:0xf bank_mask:0xf
	v_cmp_gt_f32_e32 vcc, v12, v10
	v_cndmask_b32_e32 v10, v10, v12, vcc
	v_mov_b32_e32 v13, 0x7c
	s_nop 0
	v_mov_b32_dpp v11, v10 quad_perm:[2,3,0,1] row_mask:0xf bank_mask:0xf
	v_cmp_gt_f32_e32 vcc, v10, v11
	v_cndmask_b32_e32 v10, v11, v10, vcc
	s_nop 1
	v_mov_b32_dpp v11, v10 row_half_mirror row_mask:0xf bank_mask:0xf
	v_cmp_gt_f32_e32 vcc, v10, v11
	v_cndmask_b32_e32 v10, v11, v10, vcc
	s_nop 1
	v_mov_b32_dpp v11, v10 row_mirror row_mask:0xf bank_mask:0xf
	v_cmp_gt_f32_e32 vcc, v10, v11
	v_cndmask_b32_e32 v10, v11, v10, vcc
	s_nop 1
	v_mov_b32_dpp v11, v10 row_bcast:15 row_mask:0xa bank_mask:0xf
	v_cmp_gt_f32_e32 vcc, v10, v11
	v_cndmask_b32_e32 v10, v11, v10, vcc
	v_mbcnt_lo_u32_b32 v11, -1, 0
	v_mbcnt_hi_u32_b32 v11, -1, v11
	v_lshl_or_b32 v11, v11, 2, v13
	ds_bpermute_b32 v10, v11, v10
.LBB38_17:
	s_cbranch_execnz .LBB38_20
.LBB38_18:
	s_cmp_eq_u32 s10, 16
	s_waitcnt lgkmcnt(0)
	v_mov_b32_e32 v10, v12
	s_cbranch_scc0 .LBB38_20
; %bb.19:
	s_nop 0
	v_mov_b32_dpp v10, v12 quad_perm:[1,0,3,2] row_mask:0xf bank_mask:0xf
	v_cmp_gt_f32_e32 vcc, v12, v10
	v_cndmask_b32_e32 v10, v10, v12, vcc
	s_nop 1
	v_mov_b32_dpp v11, v10 quad_perm:[2,3,0,1] row_mask:0xf bank_mask:0xf
	v_cmp_gt_f32_e32 vcc, v10, v11
	v_cndmask_b32_e32 v10, v11, v10, vcc
	s_nop 1
	v_mov_b32_dpp v11, v10 row_half_mirror row_mask:0xf bank_mask:0xf
	v_cmp_gt_f32_e32 vcc, v10, v11
	v_cndmask_b32_e32 v10, v11, v10, vcc
	s_nop 1
	v_mov_b32_dpp v11, v10 row_mirror row_mask:0xf bank_mask:0xf
	v_cmp_gt_f32_e32 vcc, v10, v11
	v_cndmask_b32_e32 v10, v11, v10, vcc
.LBB38_20:
	s_cbranch_execnz .LBB38_33
.LBB38_21:
	s_cmp_lt_i32 s10, 4
	s_cbranch_scc1 .LBB38_25
; %bb.22:
	s_cmp_lt_i32 s10, 8
	s_cbranch_scc1 .LBB38_26
; %bb.23:
	s_cmp_eq_u32 s10, 8
	s_waitcnt lgkmcnt(0)
	v_mov_b32_e32 v10, v12
	s_cbranch_scc0 .LBB38_27
; %bb.24:
	s_nop 0
	v_mov_b32_dpp v10, v12 quad_perm:[1,0,3,2] row_mask:0xf bank_mask:0xf
	v_cmp_gt_f32_e32 vcc, v12, v10
	v_cndmask_b32_e32 v10, v10, v12, vcc
	s_nop 1
	v_mov_b32_dpp v11, v10 quad_perm:[2,3,0,1] row_mask:0xf bank_mask:0xf
	v_cmp_gt_f32_e32 vcc, v10, v11
	v_cndmask_b32_e32 v10, v11, v10, vcc
	s_nop 1
	v_mov_b32_dpp v11, v10 row_half_mirror row_mask:0xf bank_mask:0xf
	v_cmp_gt_f32_e32 vcc, v10, v11
	v_cndmask_b32_e32 v10, v11, v10, vcc
	s_cbranch_execz .LBB38_28
	s_branch .LBB38_30
.LBB38_25:
                                        ; implicit-def: $vgpr10
	s_branch .LBB38_31
.LBB38_26:
                                        ; implicit-def: $vgpr10
	s_branch .LBB38_28
.LBB38_27:
	s_cbranch_execnz .LBB38_30
.LBB38_28:
	s_cmp_eq_u32 s10, 4
	s_waitcnt lgkmcnt(0)
	v_mov_b32_e32 v10, v12
	s_cbranch_scc0 .LBB38_30
; %bb.29:
	s_nop 0
	v_mov_b32_dpp v10, v12 quad_perm:[1,0,3,2] row_mask:0xf bank_mask:0xf
	v_cmp_gt_f32_e32 vcc, v12, v10
	v_cndmask_b32_e32 v10, v10, v12, vcc
	s_nop 1
	v_mov_b32_dpp v11, v10 quad_perm:[2,3,0,1] row_mask:0xf bank_mask:0xf
	v_cmp_gt_f32_e32 vcc, v10, v11
	v_cndmask_b32_e32 v10, v11, v10, vcc
.LBB38_30:
	s_cbranch_execnz .LBB38_33
.LBB38_31:
	s_cmp_lg_u32 s10, 2
	s_waitcnt lgkmcnt(0)
	v_mov_b32_e32 v10, v12
	s_cbranch_scc1 .LBB38_33
; %bb.32:
	s_nop 0
	v_mov_b32_dpp v10, v12 quad_perm:[1,0,3,2] row_mask:0xf bank_mask:0xf
	v_cmp_gt_f32_e32 vcc, v12, v10
	v_cndmask_b32_e32 v10, v10, v12, vcc
.LBB38_33:
	v_cvt_f32_u32_e32 v11, s10
	s_waitcnt lgkmcnt(0)
	v_mul_f32_e32 v13, 0x3c010204, v10
	s_sub_i32 s2, 0, s10
	v_cmp_gt_u32_e32 vcc, s9, v1
	v_rcp_iflag_f32_e32 v11, v11
	s_mov_b64 s[4:5], 0
	v_mul_f32_e32 v10, 0x4f7ffffe, v11
	v_cvt_u32_f32_e32 v10, v10
	v_mul_lo_u32 v11, s2, v10
	v_mul_hi_u32 v11, v10, v11
	v_add_u32_e32 v10, v10, v11
	v_mul_hi_u32 v10, v0, v10
	v_mul_lo_u32 v11, v10, s10
	v_sub_u32_e32 v11, v0, v11
	v_add_u32_e32 v15, 1, v10
	v_cmp_le_u32_e64 s[2:3], s10, v11
	v_cndmask_b32_e64 v10, v10, v15, s[2:3]
	v_subrev_u32_e32 v15, s10, v11
	v_cndmask_b32_e64 v11, v11, v15, s[2:3]
	v_add_u32_e32 v15, 1, v10
	v_cmp_le_u32_e64 s[2:3], s10, v11
	v_cndmask_b32_e64 v15, v10, v15, s[2:3]
	v_mul_lo_u32 v10, v15, s10
	v_sub_u32_e32 v10, v0, v10
	v_cmp_eq_u32_e64 s[2:3], 0, v10
	s_and_b64 s[10:11], s[2:3], vcc
	s_mov_b64 s[2:3], 0
                                        ; implicit-def: $vgpr10_vgpr11
	s_and_saveexec_b64 s[18:19], s[10:11]
	s_xor_b64 s[10:11], exec, s[18:19]
	s_cbranch_execz .LBB38_42
; %bb.34:
	s_bitcmp0_b32 s15, 0
	s_cbranch_scc0 .LBB38_39
; %bb.35:
	s_ashr_i32 s2, s9, 31
	s_mul_hi_u32 s3, s9, s6
	s_mul_i32 s2, s2, s6
	s_add_i32 s19, s3, s2
	s_mul_i32 s18, s9, s6
	s_mov_b32 s15, s12
	s_or_b64 s[2:3], s[18:19], s[14:15]
	s_mov_b32 s2, 0
	s_cmp_lg_u64 s[2:3], 0
	s_cbranch_scc0 .LBB38_50
; %bb.36:
	s_add_u32 s2, s14, s15
	s_mov_b32 s24, s15
	s_mov_b32 s25, s15
	s_addc_u32 s3, s15, s15
	s_xor_b64 s[26:27], s[2:3], s[24:25]
	v_cvt_f32_u32_e32 v10, s26
	v_cvt_f32_u32_e32 v11, s27
	s_sub_u32 s2, 0, s26
	s_subb_u32 s3, 0, s27
	v_madmk_f32 v10, v11, 0x4f800000, v10
	v_rcp_f32_e32 v10, v10
	v_mul_f32_e32 v10, 0x5f7ffffc, v10
	v_mul_f32_e32 v11, 0x2f800000, v10
	v_trunc_f32_e32 v11, v11
	v_madmk_f32 v10, v11, 0xcf800000, v10
	v_cvt_u32_f32_e32 v11, v11
	v_cvt_u32_f32_e32 v10, v10
	v_readfirstlane_b32 s12, v11
	v_readfirstlane_b32 s15, v10
	s_mul_i32 s28, s2, s12
	s_mul_hi_u32 s30, s2, s15
	s_mul_i32 s29, s3, s15
	s_add_i32 s28, s30, s28
	s_add_i32 s28, s28, s29
	s_mul_i32 s31, s2, s15
	s_mul_hi_u32 s29, s15, s28
	s_mul_i32 s30, s15, s28
	s_mul_hi_u32 s15, s15, s31
	s_add_u32 s15, s15, s30
	s_addc_u32 s29, 0, s29
	s_mul_hi_u32 s33, s12, s31
	s_mul_i32 s31, s12, s31
	s_add_u32 s15, s15, s31
	s_mul_hi_u32 s30, s12, s28
	s_addc_u32 s15, s29, s33
	s_addc_u32 s29, s30, 0
	s_mul_i32 s28, s12, s28
	s_add_u32 s15, s15, s28
	s_addc_u32 s28, 0, s29
	v_add_co_u32_e32 v10, vcc, s15, v10
	s_cmp_lg_u64 vcc, 0
	s_addc_u32 s12, s12, s28
	v_readfirstlane_b32 s28, v10
	s_mul_i32 s15, s2, s12
	s_mul_hi_u32 s29, s2, s28
	s_add_i32 s15, s29, s15
	s_mul_i32 s3, s3, s28
	s_add_i32 s15, s15, s3
	s_mul_i32 s2, s2, s28
	s_mul_hi_u32 s29, s12, s2
	s_mul_i32 s30, s12, s2
	s_mul_i32 s33, s28, s15
	s_mul_hi_u32 s2, s28, s2
	s_mul_hi_u32 s31, s28, s15
	s_add_u32 s2, s2, s33
	s_addc_u32 s28, 0, s31
	s_add_u32 s2, s2, s30
	s_mul_hi_u32 s3, s12, s15
	s_addc_u32 s2, s28, s29
	s_addc_u32 s3, s3, 0
	s_mul_i32 s15, s12, s15
	s_add_u32 s2, s2, s15
	s_addc_u32 s3, 0, s3
	v_add_co_u32_e32 v10, vcc, s2, v10
	s_cmp_lg_u64 vcc, 0
	s_addc_u32 s12, s12, s3
	s_ashr_i32 s28, s19, 31
	s_add_u32 s2, s18, s28
	s_mov_b32 s29, s28
	s_addc_u32 s3, s19, s28
	s_xor_b64 s[30:31], s[2:3], s[28:29]
	v_readfirstlane_b32 s15, v10
	s_mul_i32 s3, s30, s12
	s_mul_hi_u32 s19, s30, s15
	s_mul_hi_u32 s2, s30, s12
	s_add_u32 s3, s19, s3
	s_addc_u32 s2, 0, s2
	s_mul_hi_u32 s33, s31, s15
	s_mul_i32 s15, s31, s15
	s_add_u32 s3, s3, s15
	s_mul_hi_u32 s19, s31, s12
	s_addc_u32 s2, s2, s33
	s_addc_u32 s3, s19, 0
	s_mul_i32 s12, s31, s12
	s_add_u32 s12, s2, s12
	s_addc_u32 s15, 0, s3
	s_mul_i32 s2, s26, s15
	s_mul_hi_u32 s3, s26, s12
	s_add_i32 s2, s3, s2
	s_mul_i32 s3, s27, s12
	s_add_i32 s19, s2, s3
	s_mul_i32 s3, s26, s12
	v_mov_b32_e32 v10, s3
	s_sub_i32 s2, s31, s19
	v_sub_co_u32_e32 v10, vcc, s30, v10
	s_cmp_lg_u64 vcc, 0
	s_subb_u32 s30, s2, s27
	v_subrev_co_u32_e64 v11, s[2:3], s26, v10
	s_cmp_lg_u64 s[2:3], 0
	s_subb_u32 s30, s30, 0
	s_cmp_ge_u32 s30, s27
	s_cselect_b32 s33, -1, 0
	v_cmp_le_u32_e64 s[2:3], s26, v11
	s_cmp_eq_u32 s30, s27
	v_cndmask_b32_e64 v11, 0, -1, s[2:3]
	v_mov_b32_e32 v16, s33
	s_cselect_b64 s[2:3], -1, 0
	v_cndmask_b32_e64 v11, v16, v11, s[2:3]
	s_add_u32 s2, s12, 1
	s_addc_u32 s30, s15, 0
	s_add_u32 s3, s12, 2
	s_addc_u32 s33, s15, 0
	v_mov_b32_e32 v16, s2
	v_mov_b32_e32 v17, s3
	v_cmp_ne_u32_e64 s[2:3], 0, v11
	v_cndmask_b32_e64 v11, v16, v17, s[2:3]
	v_mov_b32_e32 v16, s30
	v_mov_b32_e32 v17, s33
	s_cmp_lg_u64 vcc, 0
	v_cndmask_b32_e64 v16, v16, v17, s[2:3]
	s_subb_u32 s2, s31, s19
	s_cmp_ge_u32 s2, s27
	s_cselect_b32 s3, -1, 0
	v_cmp_le_u32_e32 vcc, s26, v10
	s_cmp_eq_u32 s2, s27
	v_cndmask_b32_e64 v10, 0, -1, vcc
	v_mov_b32_e32 v17, s3
	s_cselect_b64 vcc, -1, 0
	v_cndmask_b32_e32 v10, v17, v10, vcc
	v_mov_b32_e32 v17, s15
	v_cmp_ne_u32_e32 vcc, 0, v10
	v_cndmask_b32_e32 v10, v17, v16, vcc
	v_mov_b32_e32 v16, s12
	v_cndmask_b32_e32 v11, v16, v11, vcc
	s_xor_b64 s[2:3], s[28:29], s[24:25]
	v_xor_b32_e32 v11, s2, v11
	v_xor_b32_e32 v16, s3, v10
	v_mov_b32_e32 v17, s3
	v_subrev_co_u32_e32 v10, vcc, s2, v11
	v_subb_co_u32_e32 v11, vcc, v16, v17, vcc
	s_cbranch_execnz .LBB38_38
.LBB38_37:
	v_cvt_f32_u32_e32 v10, s14
	s_sub_i32 s2, 0, s14
	s_mov_b32 s3, 0
	v_rcp_iflag_f32_e32 v10, v10
	v_mul_f32_e32 v10, 0x4f7ffffe, v10
	v_cvt_u32_f32_e32 v10, v10
	v_readfirstlane_b32 s12, v10
	s_mul_i32 s2, s2, s12
	s_mul_hi_u32 s2, s12, s2
	s_add_i32 s12, s12, s2
	s_mul_hi_u32 s2, s18, s12
	s_mul_i32 s15, s2, s14
	s_sub_i32 s15, s18, s15
	s_add_i32 s12, s2, 1
	s_sub_i32 s18, s15, s14
	s_cmp_ge_u32 s15, s14
	s_cselect_b32 s2, s12, s2
	s_cselect_b32 s15, s18, s15
	s_add_i32 s12, s2, 1
	s_cmp_ge_u32 s15, s14
	s_cselect_b32 s2, s12, s2
	v_pk_mov_b32 v[10:11], s[2:3], s[2:3] op_sel:[0,1]
.LBB38_38:
	v_add_co_u32_e32 v10, vcc, v10, v15
	v_addc_co_u32_e32 v11, vcc, 0, v11, vcc
	s_branch .LBB38_41
.LBB38_39:
                                        ; implicit-def: $vgpr10_vgpr11
	s_cbranch_execz .LBB38_41
; %bb.40:
	v_mul_lo_u32 v10, v15, s8
	v_ashrrev_i32_e32 v11, 31, v10
	v_mov_b32_e32 v15, s7
	v_add_co_u32_e32 v10, vcc, s6, v10
	v_addc_co_u32_e32 v11, vcc, v11, v15, vcc
.LBB38_41:
	s_mov_b64 s[2:3], exec
.LBB38_42:
	s_or_b64 exec, exec, s[10:11]
	s_and_b64 vcc, exec, s[4:5]
	s_cbranch_vccz .LBB38_46
.LBB38_43:
	v_mov_b32_dpp v10, v12 quad_perm:[1,0,3,2] row_mask:0xf bank_mask:0xf
	v_cmp_gt_f32_e32 vcc, v12, v10
	v_cndmask_b32_e32 v10, v10, v12, vcc
	s_nop 1
	v_mov_b32_dpp v11, v10 quad_perm:[2,3,0,1] row_mask:0xf bank_mask:0xf
	v_cmp_gt_f32_e32 vcc, v10, v11
	v_cndmask_b32_e32 v10, v11, v10, vcc
	s_nop 1
	v_mov_b32_dpp v11, v10 row_half_mirror row_mask:0xf bank_mask:0xf
	v_cmp_gt_f32_e32 vcc, v10, v11
	v_cndmask_b32_e32 v10, v11, v10, vcc
	s_nop 1
	v_mov_b32_dpp v11, v10 row_mirror row_mask:0xf bank_mask:0xf
	v_cmp_gt_f32_e32 vcc, v10, v11
	v_cndmask_b32_e32 v10, v11, v10, vcc
	s_nop 1
	v_mov_b32_dpp v11, v10 row_bcast:15 row_mask:0xf bank_mask:0xf
	v_cmp_gt_f32_e32 vcc, v10, v11
	v_cndmask_b32_e32 v10, v11, v10, vcc
	s_nop 1
	v_mov_b32_dpp v11, v10 row_bcast:31 row_mask:0xf bank_mask:0xf
	s_and_saveexec_b64 s[2:3], s[0:1]
	s_cbranch_execz .LBB38_45
; %bb.44:
	v_lshrrev_b32_e32 v12, 4, v0
	v_cmp_gt_f32_e32 vcc, v10, v11
	v_and_b32_e32 v12, 60, v12
	v_cndmask_b32_e32 v10, v11, v10, vcc
	ds_write_b32 v12, v10
.LBB38_45:
	s_or_b64 exec, exec, s[2:3]
	s_waitcnt lgkmcnt(0)
	s_barrier
	ds_read_b32 v10, v14
	v_cmp_eq_u32_e64 s[2:3], 0, v0
	s_waitcnt lgkmcnt(0)
	v_mov_b32_dpp v11, v10 quad_perm:[1,0,3,2] row_mask:0xf bank_mask:0xf
	v_cmp_gt_f32_e32 vcc, v10, v11
	v_cndmask_b32_e32 v10, v11, v10, vcc
	v_mul_f32_e32 v13, 0x3c010204, v10
	v_pk_mov_b32 v[10:11], s[6:7], s[6:7] op_sel:[0,1]
.LBB38_46:
	s_and_saveexec_b64 s[0:1], s[2:3]
	s_cbranch_execz .LBB38_48
; %bb.47:
	v_lshlrev_b64 v[10:11], 2, v[10:11]
	v_mov_b32_e32 v0, s21
	v_add_co_u32_e32 v10, vcc, s20, v10
	v_addc_co_u32_e32 v11, vcc, v0, v11, vcc
	global_store_dword v[10:11], v13, off
.LBB38_48:
	s_or_b64 exec, exec, s[0:1]
	s_add_i32 s0, s9, 3
	s_ashr_i32 s1, s0, 31
	s_lshr_b32 s1, s1, 30
	;;#ASMSTART
	v_rcp_f32 v10, v13
	;;#ASMEND
	v_mov_b32_e32 v11, v10
	;;#ASMSTART
	v_pk_mul_f32 v[8:9], v[8:9], v[10:11]
	;;#ASMEND
	;;#ASMSTART
	v_pk_mul_f32 v[6:7], v[6:7], v[10:11]
	;;#ASMEND
	s_add_i32 s0, s0, s1
	v_cvt_i32_f32_e32 v0, v8
	v_cvt_i32_f32_sdwa v8, v9 dst_sel:BYTE_1 dst_unused:UNUSED_PAD src0_sel:DWORD
	v_cvt_i32_f32_e32 v6, v6
	v_cvt_i32_f32_sdwa v7, v7 dst_sel:BYTE_1 dst_unused:UNUSED_PAD src0_sel:DWORD
	;;#ASMSTART
	v_pk_mul_f32 v[4:5], v[4:5], v[10:11]
	;;#ASMEND
	;;#ASMSTART
	v_pk_mul_f32 v[2:3], v[2:3], v[10:11]
	;;#ASMEND
	s_and_b32 s2, s0, -4
	s_ashr_i32 s0, s13, 31
	v_cvt_i32_f32_e32 v4, v4
	v_cvt_i32_f32_sdwa v5, v5 dst_sel:BYTE_1 dst_unused:UNUSED_PAD src0_sel:DWORD
	v_cvt_i32_f32_e32 v9, v2
	v_cvt_i32_f32_sdwa v3, v3 dst_sel:BYTE_1 dst_unused:UNUSED_PAD src0_sel:DWORD
	s_mul_hi_u32 s1, s13, s6
	s_mul_i32 s0, s0, s6
	s_add_i32 s1, s1, s0
	s_mul_i32 s0, s13, s6
	s_add_u32 s0, s16, s0
	v_or_b32_sdwa v0, v0, v8 dst_sel:DWORD dst_unused:UNUSED_PAD src0_sel:BYTE_0 src1_sel:DWORD
	v_or_b32_sdwa v2, v6, v7 dst_sel:WORD_1 dst_unused:UNUSED_PAD src0_sel:BYTE_0 src1_sel:DWORD
	s_addc_u32 s1, s17, s1
	v_or_b32_sdwa v2, v0, v2 dst_sel:DWORD dst_unused:UNUSED_PAD src0_sel:WORD_0 src1_sel:DWORD
	v_or_b32_sdwa v0, v4, v5 dst_sel:DWORD dst_unused:UNUSED_PAD src0_sel:BYTE_0 src1_sel:DWORD
	v_or_b32_sdwa v3, v9, v3 dst_sel:WORD_1 dst_unused:UNUSED_PAD src0_sel:BYTE_0 src1_sel:DWORD
	s_and_b32 s1, s1, 0xffff
	s_mov_b32 s3, 0x20000
	v_or_b32_sdwa v3, v0, v3 dst_sel:DWORD dst_unused:UNUSED_PAD src0_sel:WORD_0 src1_sel:DWORD
	buffer_store_dwordx2 v[2:3], v1, s[0:3], 0 offen
	;;#ASMSTART
	s_nop 0
	;;#ASMEND
.LBB38_49:
	s_endpgm
.LBB38_50:
                                        ; implicit-def: $vgpr10_vgpr11
	s_branch .LBB38_37
	.section	.rodata,"a",@progbits
	.p2align	6, 0x0
	.amdhsa_kernel _ZN5aiter24add_rmsnorm_quant_kernelItaLi128ELi8ELb1ELb1ELb1ELi1EEEvPT0_PT_PfS4_S4_S4_diiiiiiib
		.amdhsa_group_segment_fixed_size 16
		.amdhsa_private_segment_fixed_size 0
		.amdhsa_kernarg_size 88
		.amdhsa_user_sgpr_count 6
		.amdhsa_user_sgpr_private_segment_buffer 1
		.amdhsa_user_sgpr_dispatch_ptr 0
		.amdhsa_user_sgpr_queue_ptr 0
		.amdhsa_user_sgpr_kernarg_segment_ptr 1
		.amdhsa_user_sgpr_dispatch_id 0
		.amdhsa_user_sgpr_flat_scratch_init 0
		.amdhsa_user_sgpr_kernarg_preload_length 0
		.amdhsa_user_sgpr_kernarg_preload_offset 0
		.amdhsa_user_sgpr_private_segment_size 0
		.amdhsa_uses_dynamic_stack 0
		.amdhsa_system_sgpr_private_segment_wavefront_offset 0
		.amdhsa_system_sgpr_workgroup_id_x 1
		.amdhsa_system_sgpr_workgroup_id_y 0
		.amdhsa_system_sgpr_workgroup_id_z 0
		.amdhsa_system_sgpr_workgroup_info 0
		.amdhsa_system_vgpr_workitem_id 0
		.amdhsa_next_free_vgpr 27
		.amdhsa_next_free_sgpr 40
		.amdhsa_accum_offset 28
		.amdhsa_reserve_vcc 1
		.amdhsa_reserve_flat_scratch 0
		.amdhsa_float_round_mode_32 0
		.amdhsa_float_round_mode_16_64 0
		.amdhsa_float_denorm_mode_32 3
		.amdhsa_float_denorm_mode_16_64 3
		.amdhsa_dx10_clamp 1
		.amdhsa_ieee_mode 1
		.amdhsa_fp16_overflow 0
		.amdhsa_tg_split 0
		.amdhsa_exception_fp_ieee_invalid_op 0
		.amdhsa_exception_fp_denorm_src 0
		.amdhsa_exception_fp_ieee_div_zero 0
		.amdhsa_exception_fp_ieee_overflow 0
		.amdhsa_exception_fp_ieee_underflow 0
		.amdhsa_exception_fp_ieee_inexact 0
		.amdhsa_exception_int_div_zero 0
	.end_amdhsa_kernel
	.section	.text._ZN5aiter24add_rmsnorm_quant_kernelItaLi128ELi8ELb1ELb1ELb1ELi1EEEvPT0_PT_PfS4_S4_S4_diiiiiiib,"axG",@progbits,_ZN5aiter24add_rmsnorm_quant_kernelItaLi128ELi8ELb1ELb1ELb1ELi1EEEvPT0_PT_PfS4_S4_S4_diiiiiiib,comdat
.Lfunc_end38:
	.size	_ZN5aiter24add_rmsnorm_quant_kernelItaLi128ELi8ELb1ELb1ELb1ELi1EEEvPT0_PT_PfS4_S4_S4_diiiiiiib, .Lfunc_end38-_ZN5aiter24add_rmsnorm_quant_kernelItaLi128ELi8ELb1ELb1ELb1ELi1EEEvPT0_PT_PfS4_S4_S4_diiiiiiib
                                        ; -- End function
	.section	.AMDGPU.csdata,"",@progbits
; Kernel info:
; codeLenInByte = 3280
; NumSgprs: 44
; NumVgprs: 27
; NumAgprs: 0
; TotalNumVgprs: 27
; ScratchSize: 0
; MemoryBound: 0
; FloatMode: 240
; IeeeMode: 1
; LDSByteSize: 16 bytes/workgroup (compile time only)
; SGPRBlocks: 5
; VGPRBlocks: 3
; NumSGPRsForWavesPerEU: 44
; NumVGPRsForWavesPerEU: 27
; AccumOffset: 28
; Occupancy: 8
; WaveLimiterHint : 0
; COMPUTE_PGM_RSRC2:SCRATCH_EN: 0
; COMPUTE_PGM_RSRC2:USER_SGPR: 6
; COMPUTE_PGM_RSRC2:TRAP_HANDLER: 0
; COMPUTE_PGM_RSRC2:TGID_X_EN: 1
; COMPUTE_PGM_RSRC2:TGID_Y_EN: 0
; COMPUTE_PGM_RSRC2:TGID_Z_EN: 0
; COMPUTE_PGM_RSRC2:TIDIG_COMP_CNT: 0
; COMPUTE_PGM_RSRC3_GFX90A:ACCUM_OFFSET: 6
; COMPUTE_PGM_RSRC3_GFX90A:TG_SPLIT: 0
	.section	.text._ZN5aiter24add_rmsnorm_quant_kernelIDF16_aLi128ELi8ELb1ELb1ELb0ELi1EEEvPT0_PT_PfS4_S4_S4_diiiiiiib,"axG",@progbits,_ZN5aiter24add_rmsnorm_quant_kernelIDF16_aLi128ELi8ELb1ELb1ELb0ELi1EEEvPT0_PT_PfS4_S4_S4_diiiiiiib,comdat
	.protected	_ZN5aiter24add_rmsnorm_quant_kernelIDF16_aLi128ELi8ELb1ELb1ELb0ELi1EEEvPT0_PT_PfS4_S4_S4_diiiiiiib ; -- Begin function _ZN5aiter24add_rmsnorm_quant_kernelIDF16_aLi128ELi8ELb1ELb1ELb0ELi1EEEvPT0_PT_PfS4_S4_S4_diiiiiiib
	.globl	_ZN5aiter24add_rmsnorm_quant_kernelIDF16_aLi128ELi8ELb1ELb1ELb0ELi1EEEvPT0_PT_PfS4_S4_S4_diiiiiiib
	.p2align	8
	.type	_ZN5aiter24add_rmsnorm_quant_kernelIDF16_aLi128ELi8ELb1ELb1ELb0ELi1EEEvPT0_PT_PfS4_S4_S4_diiiiiiib,@function
_ZN5aiter24add_rmsnorm_quant_kernelIDF16_aLi128ELi8ELb1ELb1ELb0ELi1EEEvPT0_PT_PfS4_S4_S4_diiiiiiib: ; @_ZN5aiter24add_rmsnorm_quant_kernelIDF16_aLi128ELi8ELb1ELb1ELb0ELi1EEEvPT0_PT_PfS4_S4_S4_diiiiiiib
; %bb.0:
	s_load_dwordx8 s[8:15], s[4:5], 0x38
	s_mov_b32 s7, 0
	s_waitcnt lgkmcnt(0)
	s_ashr_i32 s0, s8, 31
	v_mov_b32_e32 v2, s8
	v_mov_b32_e32 v3, s0
	v_cmp_ge_i64_e32 vcc, s[6:7], v[2:3]
	s_cbranch_vccnz .LBB39_49
; %bb.1:
	s_load_dwordx8 s[16:23], s[4:5], 0x0
	s_load_dwordx8 s[24:31], s[4:5], 0x20
	s_ashr_i32 s0, s10, 31
	s_mul_hi_u32 s1, s10, s6
	s_mul_i32 s0, s0, s6
	s_add_i32 s1, s1, s0
	s_mul_i32 s0, s10, s6
	s_lshl_b64 s[0:1], s[0:1], 1
	s_waitcnt lgkmcnt(0)
	s_add_u32 s0, s22, s0
	s_addc_u32 s1, s23, s1
	s_add_i32 s2, s9, 1
	s_lshr_b32 s3, s2, 31
	s_add_i32 s2, s2, s3
	s_lshl_b32 s2, s2, 1
	s_and_b32 s2, s2, -4
	s_and_b32 s1, s1, 0xffff
	s_mov_b32 s3, 0x20000
	v_lshlrev_b32_e32 v1, 4, v0
	buffer_load_dwordx4 v[6:9], v1, s[0:3], 0 offen glc slc
	s_ashr_i32 s0, s11, 31
	s_mul_hi_u32 s1, s11, s6
	s_mul_i32 s0, s0, s6
	s_add_i32 s1, s1, s0
	s_mul_i32 s0, s11, s6
	s_and_b32 s37, s27, 0xffff
	s_lshl_b64 s[0:1], s[0:1], 1
	s_add_u32 s0, s24, s0
	s_addc_u32 s1, s25, s1
	s_and_b32 s1, s1, 0xffff
	buffer_load_dwordx4 v[10:13], v1, s[0:3], 0 offen glc slc
	s_mov_b32 s39, s3
	s_mov_b32 s36, s26
	;; [unrolled: 1-line block ×3, first 2 shown]
	buffer_load_dwordx4 v[2:5], v1, s[36:39], 0 offen
	s_ashr_i32 s4, s12, 31
	s_mul_hi_u32 s1, s12, s6
	s_mul_i32 s4, s4, s6
	s_mul_i32 s0, s12, s6
	s_add_i32 s1, s1, s4
	s_lshl_b64 s[0:1], s[0:1], 1
	s_add_u32 s0, s18, s0
	s_addc_u32 s1, s19, s1
	s_and_b32 s1, s1, 0xffff
	v_and_b32_e32 v24, 63, v0
	s_waitcnt vmcnt(2)
	v_cvt_f32_f16_e32 v14, v6
	v_cvt_f32_f16_sdwa v15, v6 dst_sel:DWORD dst_unused:UNUSED_PAD src0_sel:WORD_1
	v_cvt_f32_f16_e32 v6, v7
	v_cvt_f32_f16_sdwa v7, v7 dst_sel:DWORD dst_unused:UNUSED_PAD src0_sel:WORD_1
	v_cvt_f32_f16_e32 v16, v8
	v_cvt_f32_f16_sdwa v17, v8 dst_sel:DWORD dst_unused:UNUSED_PAD src0_sel:WORD_1
	v_cvt_f32_f16_e32 v18, v9
	v_cvt_f32_f16_sdwa v19, v9 dst_sel:DWORD dst_unused:UNUSED_PAD src0_sel:WORD_1
	s_waitcnt vmcnt(1)
	v_cvt_f32_f16_e32 v8, v10
	v_cvt_f32_f16_sdwa v9, v10 dst_sel:DWORD dst_unused:UNUSED_PAD src0_sel:WORD_1
	v_cvt_f32_f16_e32 v10, v11
	v_cvt_f32_f16_sdwa v11, v11 dst_sel:DWORD dst_unused:UNUSED_PAD src0_sel:WORD_1
	;; [unrolled: 2-line block ×4, first 2 shown]
	v_pk_add_f32 v[12:13], v[14:15], v[8:9]
	v_pk_add_f32 v[10:11], v[6:7], v[10:11]
	;; [unrolled: 1-line block ×4, first 2 shown]
	v_cvt_f16_f32_e32 v22, v13
	v_cvt_f16_f32_e32 v23, v12
	;; [unrolled: 1-line block ×8, first 2 shown]
	v_pk_mul_f32 v[14:15], v[12:13], v[12:13]
	v_pk_mul_f32 v[16:17], v[10:11], v[10:11]
	v_add_f32_e32 v14, v14, v15
	v_add_f32_e32 v14, v16, v14
	v_pk_mul_f32 v[18:19], v[8:9], v[8:9]
	v_add_f32_e32 v31, v17, v14
	v_pack_b32_f16 v17, v30, v29
	v_pack_b32_f16 v16, v28, v27
	v_pack_b32_f16 v15, v26, v25
	v_pack_b32_f16 v14, v23, v22
	v_add_f32_e32 v18, v18, v31
	v_pk_mul_f32 v[20:21], v[6:7], v[6:7]
	buffer_store_dwordx4 v[14:17], v1, s[0:3], 0 offen glc slc
	v_add_f32_e32 v1, v19, v18
	v_add_f32_e32 v1, v20, v1
	v_add_f32_e32 v1, v21, v1
	v_cmp_eq_u32_e64 s[0:1], 63, v24
	;;#ASMSTART
	s_nop 0
	;;#ASMEND
	s_nop 0
	v_mov_b32_dpp v14, v1 quad_perm:[1,0,3,2] row_mask:0xf bank_mask:0xf
	v_add_f32_e32 v1, v1, v14
	s_nop 1
	v_mov_b32_dpp v14, v1 quad_perm:[2,3,0,1] row_mask:0xf bank_mask:0xf
	v_add_f32_e32 v1, v1, v14
	s_nop 1
	v_mov_b32_dpp v14, v1 row_half_mirror row_mask:0xf bank_mask:0xf
	v_add_f32_e32 v1, v1, v14
	s_nop 1
	v_mov_b32_dpp v14, v1 row_mirror row_mask:0xf bank_mask:0xf
	v_add_f32_e32 v1, v1, v14
	s_nop 1
	v_mov_b32_dpp v14, v1 row_bcast:15 row_mask:0xf bank_mask:0xf
	v_add_f32_e32 v1, v1, v14
	s_nop 1
	v_mov_b32_dpp v14, v1 row_bcast:31 row_mask:0xf bank_mask:0xf
	s_and_saveexec_b64 s[2:3], s[0:1]
	s_cbranch_execz .LBB39_3
; %bb.2:
	v_lshrrev_b32_e32 v15, 4, v0
	v_and_b32_e32 v15, 60, v15
	v_add_f32_e32 v1, v1, v14
	ds_write_b32 v15, v1 offset:8
.LBB39_3:
	s_or_b64 exec, exec, s[2:3]
	v_and_b32_e32 v1, 1, v0
	v_lshlrev_b32_e32 v14, 2, v1
	s_waitcnt lgkmcnt(0)
	s_barrier
	ds_read_b32 v1, v14 offset:8
	v_cvt_f32_i32_e32 v15, s9
	s_waitcnt vmcnt(1)
	v_cvt_f32_f16_sdwa v21, v3 dst_sel:DWORD dst_unused:UNUSED_PAD src0_sel:WORD_1
	v_cvt_f32_f16_sdwa v23, v5 dst_sel:DWORD dst_unused:UNUSED_PAD src0_sel:WORD_1
	v_cvt_f32_f16_e32 v22, v5
	s_waitcnt lgkmcnt(0)
	v_mov_b32_dpp v16, v1 quad_perm:[1,0,3,2] row_mask:0xf bank_mask:0xf
	v_add_f32_e32 v1, v1, v16
	v_div_scale_f32 v16, s[2:3], v15, v15, v1
	v_rcp_f32_e32 v17, v16
	v_div_scale_f32 v18, vcc, v1, v15, v1
	s_mov_b32 s2, 0x800000
	v_fma_f32 v19, -v16, v17, 1.0
	v_fmac_f32_e32 v17, v19, v17
	v_mul_f32_e32 v19, v18, v17
	v_fma_f32 v20, -v16, v19, v18
	v_fmac_f32_e32 v19, v20, v17
	v_fma_f32 v16, -v16, v19, v18
	v_div_fmas_f32 v16, v16, v17, v19
	v_div_fixup_f32 v1, v16, v15, v1
	v_cvt_f64_f32_e32 v[16:17], v1
	v_add_f64 v[16:17], v[16:17], s[28:29]
	v_cvt_f32_f64_e32 v1, v[16:17]
	v_mul_f32_e32 v15, 0x4b800000, v1
	v_cmp_gt_f32_e32 vcc, s2, v1
	v_cndmask_b32_e32 v1, v1, v15, vcc
	v_rsq_f32_e32 v15, v1
	v_cvt_f32_f16_e32 v20, v3
	v_cvt_f32_f16_sdwa v3, v4 dst_sel:DWORD dst_unused:UNUSED_PAD src0_sel:WORD_1
	v_lshlrev_b32_e32 v1, 3, v0
	v_mul_f32_e32 v16, 0x45800000, v15
	v_cndmask_b32_e32 v16, v15, v16, vcc
	v_mov_b32_e32 v17, v16
	;;#ASMSTART
	v_pk_mul_f32 v[12:13], v[12:13], v[16:17]
	;;#ASMEND
	;;#ASMSTART
	v_pk_mul_f32 v[10:11], v[10:11], v[16:17]
	;;#ASMEND
	;;#ASMSTART
	v_pk_mul_f32 v[18:19], v[8:9], v[16:17]
	;;#ASMEND
	;;#ASMSTART
	v_pk_mul_f32 v[16:17], v[6:7], v[16:17]
	;;#ASMEND
	v_cvt_f32_f16_sdwa v7, v2 dst_sel:DWORD dst_unused:UNUSED_PAD src0_sel:WORD_1
	v_cvt_f32_f16_e32 v6, v2
	v_cvt_f32_f16_e32 v2, v4
	;;#ASMSTART
	v_pk_mul_f32 v[8:9], v[12:13], v[6:7]
	;;#ASMEND
	;;#ASMSTART
	v_pk_mul_f32 v[6:7], v[10:11], v[20:21]
	;;#ASMEND
	v_and_b32_e32 v10, 0x7fffffff, v8
	v_mov_b32_e32 v12, 0x2edbe6ff
	;;#ASMSTART
	v_pk_mul_f32 v[4:5], v[18:19], v[2:3]
	;;#ASMEND
	;;#ASMSTART
	v_pk_mul_f32 v[2:3], v[16:17], v[22:23]
	;;#ASMEND
	v_and_b32_e32 v11, 0x7fffffff, v9
	;;#ASMSTART
	v_max3_f32 v10, v12, v10, v11

	;;#ASMEND
	v_and_b32_e32 v12, 0x7fffffff, v7
	v_and_b32_e32 v11, 0x7fffffff, v6
	;;#ASMSTART
	v_max3_f32 v10, v10, v11, v12

	;;#ASMEND
	v_and_b32_e32 v12, 0x7fffffff, v5
	;; [unrolled: 6-line block ×3, first 2 shown]
	s_cmp_lg_u32 s14, 0
	v_and_b32_e32 v11, 0x7fffffff, v2
	;;#ASMSTART
	v_max3_f32 v12, v10, v11, v12

	;;#ASMEND
	s_cbranch_scc0 .LBB39_10
; %bb.4:
	s_ashr_i32 s12, s14, 31
	s_lshr_b32 s2, s12, 29
	s_add_i32 s2, s14, s2
	s_ashr_i32 s10, s2, 3
	s_cmp_lt_i32 s10, 16
	s_cbranch_scc1 .LBB39_11
; %bb.5:
	s_cmp_lt_i32 s10, 32
	s_cbranch_scc1 .LBB39_12
; %bb.6:
	;; [unrolled: 3-line block ×3, first 2 shown]
	s_cmp_eq_u32 s10, 64
	v_mov_b32_e32 v10, v12
	s_cbranch_scc0 .LBB39_9
; %bb.8:
	s_nop 0
	v_mov_b32_dpp v10, v12 quad_perm:[1,0,3,2] row_mask:0xf bank_mask:0xf
	v_cmp_gt_f32_e32 vcc, v12, v10
	v_cndmask_b32_e32 v10, v10, v12, vcc
	v_bfrev_b32_e32 v13, 0.5
	s_nop 0
	v_mov_b32_dpp v11, v10 quad_perm:[2,3,0,1] row_mask:0xf bank_mask:0xf
	v_cmp_gt_f32_e32 vcc, v10, v11
	v_cndmask_b32_e32 v10, v11, v10, vcc
	s_nop 1
	v_mov_b32_dpp v11, v10 row_ror:4 row_mask:0xf bank_mask:0xf
	v_cmp_gt_f32_e32 vcc, v10, v11
	v_cndmask_b32_e32 v10, v11, v10, vcc
	s_nop 1
	v_mov_b32_dpp v11, v10 row_ror:8 row_mask:0xf bank_mask:0xf
	v_cmp_gt_f32_e32 vcc, v10, v11
	v_cndmask_b32_e32 v10, v11, v10, vcc
	s_nop 1
	v_mov_b32_dpp v11, v10 row_bcast:15 row_mask:0xf bank_mask:0xf
	v_cmp_gt_f32_e32 vcc, v10, v11
	v_cndmask_b32_e32 v10, v11, v10, vcc
	s_nop 1
	v_mov_b32_dpp v11, v10 row_bcast:31 row_mask:0xf bank_mask:0xf
	v_cmp_gt_f32_e32 vcc, v10, v11
	v_cndmask_b32_e32 v10, v11, v10, vcc
	v_mbcnt_lo_u32_b32 v11, -1, 0
	v_mbcnt_hi_u32_b32 v11, -1, v11
	v_lshl_or_b32 v11, v11, 2, v13
	ds_bpermute_b32 v10, v11, v10
.LBB39_9:
	s_mov_b64 s[2:3], 0
	s_branch .LBB39_14
.LBB39_10:
	s_mov_b64 s[2:3], 0
                                        ; implicit-def: $vgpr13
                                        ; implicit-def: $vgpr10_vgpr11
	s_cbranch_execnz .LBB39_43
	s_branch .LBB39_46
.LBB39_11:
                                        ; implicit-def: $vgpr10
	s_branch .LBB39_21
.LBB39_12:
                                        ; implicit-def: $vgpr10
	s_branch .LBB39_18
.LBB39_13:
	s_mov_b64 s[2:3], -1
                                        ; implicit-def: $vgpr10
.LBB39_14:
	s_andn2_b64 vcc, exec, s[2:3]
	s_cbranch_vccnz .LBB39_17
; %bb.15:
	s_cmp_eq_u32 s10, 32
	s_waitcnt lgkmcnt(0)
	v_mov_b32_e32 v10, v12
	s_cbranch_scc0 .LBB39_17
; %bb.16:
	s_nop 0
	v_mov_b32_dpp v10, v12 quad_perm:[1,0,3,2] row_mask:0xf bank_mask:0xf
	v_cmp_gt_f32_e32 vcc, v12, v10
	v_cndmask_b32_e32 v10, v10, v12, vcc
	v_mov_b32_e32 v13, 0x7c
	s_nop 0
	v_mov_b32_dpp v11, v10 quad_perm:[2,3,0,1] row_mask:0xf bank_mask:0xf
	v_cmp_gt_f32_e32 vcc, v10, v11
	v_cndmask_b32_e32 v10, v11, v10, vcc
	s_nop 1
	v_mov_b32_dpp v11, v10 row_half_mirror row_mask:0xf bank_mask:0xf
	v_cmp_gt_f32_e32 vcc, v10, v11
	v_cndmask_b32_e32 v10, v11, v10, vcc
	s_nop 1
	v_mov_b32_dpp v11, v10 row_mirror row_mask:0xf bank_mask:0xf
	v_cmp_gt_f32_e32 vcc, v10, v11
	v_cndmask_b32_e32 v10, v11, v10, vcc
	s_nop 1
	v_mov_b32_dpp v11, v10 row_bcast:15 row_mask:0xa bank_mask:0xf
	v_cmp_gt_f32_e32 vcc, v10, v11
	v_cndmask_b32_e32 v10, v11, v10, vcc
	v_mbcnt_lo_u32_b32 v11, -1, 0
	v_mbcnt_hi_u32_b32 v11, -1, v11
	v_lshl_or_b32 v11, v11, 2, v13
	ds_bpermute_b32 v10, v11, v10
.LBB39_17:
	s_cbranch_execnz .LBB39_20
.LBB39_18:
	s_cmp_eq_u32 s10, 16
	s_waitcnt lgkmcnt(0)
	v_mov_b32_e32 v10, v12
	s_cbranch_scc0 .LBB39_20
; %bb.19:
	s_nop 0
	v_mov_b32_dpp v10, v12 quad_perm:[1,0,3,2] row_mask:0xf bank_mask:0xf
	v_cmp_gt_f32_e32 vcc, v12, v10
	v_cndmask_b32_e32 v10, v10, v12, vcc
	s_nop 1
	v_mov_b32_dpp v11, v10 quad_perm:[2,3,0,1] row_mask:0xf bank_mask:0xf
	v_cmp_gt_f32_e32 vcc, v10, v11
	v_cndmask_b32_e32 v10, v11, v10, vcc
	s_nop 1
	v_mov_b32_dpp v11, v10 row_half_mirror row_mask:0xf bank_mask:0xf
	v_cmp_gt_f32_e32 vcc, v10, v11
	v_cndmask_b32_e32 v10, v11, v10, vcc
	s_nop 1
	v_mov_b32_dpp v11, v10 row_mirror row_mask:0xf bank_mask:0xf
	v_cmp_gt_f32_e32 vcc, v10, v11
	v_cndmask_b32_e32 v10, v11, v10, vcc
.LBB39_20:
	s_cbranch_execnz .LBB39_33
.LBB39_21:
	s_cmp_lt_i32 s10, 4
	s_cbranch_scc1 .LBB39_25
; %bb.22:
	s_cmp_lt_i32 s10, 8
	s_cbranch_scc1 .LBB39_26
; %bb.23:
	s_cmp_eq_u32 s10, 8
	s_waitcnt lgkmcnt(0)
	v_mov_b32_e32 v10, v12
	s_cbranch_scc0 .LBB39_27
; %bb.24:
	s_nop 0
	v_mov_b32_dpp v10, v12 quad_perm:[1,0,3,2] row_mask:0xf bank_mask:0xf
	v_cmp_gt_f32_e32 vcc, v12, v10
	v_cndmask_b32_e32 v10, v10, v12, vcc
	s_nop 1
	v_mov_b32_dpp v11, v10 quad_perm:[2,3,0,1] row_mask:0xf bank_mask:0xf
	v_cmp_gt_f32_e32 vcc, v10, v11
	v_cndmask_b32_e32 v10, v11, v10, vcc
	s_nop 1
	v_mov_b32_dpp v11, v10 row_half_mirror row_mask:0xf bank_mask:0xf
	v_cmp_gt_f32_e32 vcc, v10, v11
	v_cndmask_b32_e32 v10, v11, v10, vcc
	s_cbranch_execz .LBB39_28
	s_branch .LBB39_30
.LBB39_25:
                                        ; implicit-def: $vgpr10
	s_branch .LBB39_31
.LBB39_26:
                                        ; implicit-def: $vgpr10
	s_branch .LBB39_28
.LBB39_27:
	s_cbranch_execnz .LBB39_30
.LBB39_28:
	s_cmp_eq_u32 s10, 4
	s_waitcnt lgkmcnt(0)
	v_mov_b32_e32 v10, v12
	s_cbranch_scc0 .LBB39_30
; %bb.29:
	s_nop 0
	v_mov_b32_dpp v10, v12 quad_perm:[1,0,3,2] row_mask:0xf bank_mask:0xf
	v_cmp_gt_f32_e32 vcc, v12, v10
	v_cndmask_b32_e32 v10, v10, v12, vcc
	s_nop 1
	v_mov_b32_dpp v11, v10 quad_perm:[2,3,0,1] row_mask:0xf bank_mask:0xf
	v_cmp_gt_f32_e32 vcc, v10, v11
	v_cndmask_b32_e32 v10, v11, v10, vcc
.LBB39_30:
	s_cbranch_execnz .LBB39_33
.LBB39_31:
	s_cmp_lg_u32 s10, 2
	s_waitcnt lgkmcnt(0)
	v_mov_b32_e32 v10, v12
	s_cbranch_scc1 .LBB39_33
; %bb.32:
	s_nop 0
	v_mov_b32_dpp v10, v12 quad_perm:[1,0,3,2] row_mask:0xf bank_mask:0xf
	v_cmp_gt_f32_e32 vcc, v12, v10
	v_cndmask_b32_e32 v10, v10, v12, vcc
.LBB39_33:
	v_cvt_f32_u32_e32 v11, s10
	s_waitcnt lgkmcnt(0)
	v_mul_f32_e32 v13, 0x3c010204, v10
	s_sub_i32 s2, 0, s10
	v_cmp_gt_u32_e32 vcc, s9, v1
	v_rcp_iflag_f32_e32 v11, v11
	s_mov_b64 s[4:5], 0
	v_mul_f32_e32 v10, 0x4f7ffffe, v11
	v_cvt_u32_f32_e32 v10, v10
	v_mul_lo_u32 v11, s2, v10
	v_mul_hi_u32 v11, v10, v11
	v_add_u32_e32 v10, v10, v11
	v_mul_hi_u32 v10, v0, v10
	v_mul_lo_u32 v11, v10, s10
	v_sub_u32_e32 v11, v0, v11
	v_add_u32_e32 v15, 1, v10
	v_cmp_le_u32_e64 s[2:3], s10, v11
	v_cndmask_b32_e64 v10, v10, v15, s[2:3]
	v_subrev_u32_e32 v15, s10, v11
	v_cndmask_b32_e64 v11, v11, v15, s[2:3]
	v_add_u32_e32 v15, 1, v10
	v_cmp_le_u32_e64 s[2:3], s10, v11
	v_cndmask_b32_e64 v15, v10, v15, s[2:3]
	v_mul_lo_u32 v10, v15, s10
	v_sub_u32_e32 v10, v0, v10
	v_cmp_eq_u32_e64 s[2:3], 0, v10
	s_and_b64 s[10:11], s[2:3], vcc
	s_mov_b64 s[2:3], 0
                                        ; implicit-def: $vgpr10_vgpr11
	s_and_saveexec_b64 s[18:19], s[10:11]
	s_xor_b64 s[10:11], exec, s[18:19]
	s_cbranch_execz .LBB39_42
; %bb.34:
	s_bitcmp0_b32 s15, 0
	s_cbranch_scc0 .LBB39_39
; %bb.35:
	s_ashr_i32 s2, s9, 31
	s_mul_hi_u32 s3, s9, s6
	s_mul_i32 s2, s2, s6
	s_add_i32 s19, s3, s2
	s_mul_i32 s18, s9, s6
	s_mov_b32 s15, s12
	s_or_b64 s[2:3], s[18:19], s[14:15]
	s_mov_b32 s2, 0
	s_cmp_lg_u64 s[2:3], 0
	s_cbranch_scc0 .LBB39_50
; %bb.36:
	s_add_u32 s2, s14, s15
	s_mov_b32 s24, s15
	s_mov_b32 s25, s15
	s_addc_u32 s3, s15, s15
	s_xor_b64 s[26:27], s[2:3], s[24:25]
	v_cvt_f32_u32_e32 v10, s26
	v_cvt_f32_u32_e32 v11, s27
	s_sub_u32 s2, 0, s26
	s_subb_u32 s3, 0, s27
	v_madmk_f32 v10, v11, 0x4f800000, v10
	v_rcp_f32_e32 v10, v10
	v_mul_f32_e32 v10, 0x5f7ffffc, v10
	v_mul_f32_e32 v11, 0x2f800000, v10
	v_trunc_f32_e32 v11, v11
	v_madmk_f32 v10, v11, 0xcf800000, v10
	v_cvt_u32_f32_e32 v11, v11
	v_cvt_u32_f32_e32 v10, v10
	v_readfirstlane_b32 s12, v11
	v_readfirstlane_b32 s15, v10
	s_mul_i32 s28, s2, s12
	s_mul_hi_u32 s30, s2, s15
	s_mul_i32 s29, s3, s15
	s_add_i32 s28, s30, s28
	s_add_i32 s28, s28, s29
	s_mul_i32 s31, s2, s15
	s_mul_hi_u32 s29, s15, s28
	s_mul_i32 s30, s15, s28
	s_mul_hi_u32 s15, s15, s31
	s_add_u32 s15, s15, s30
	s_addc_u32 s29, 0, s29
	s_mul_hi_u32 s33, s12, s31
	s_mul_i32 s31, s12, s31
	s_add_u32 s15, s15, s31
	s_mul_hi_u32 s30, s12, s28
	s_addc_u32 s15, s29, s33
	s_addc_u32 s29, s30, 0
	s_mul_i32 s28, s12, s28
	s_add_u32 s15, s15, s28
	s_addc_u32 s28, 0, s29
	v_add_co_u32_e32 v10, vcc, s15, v10
	s_cmp_lg_u64 vcc, 0
	s_addc_u32 s12, s12, s28
	v_readfirstlane_b32 s28, v10
	s_mul_i32 s15, s2, s12
	s_mul_hi_u32 s29, s2, s28
	s_add_i32 s15, s29, s15
	s_mul_i32 s3, s3, s28
	s_add_i32 s15, s15, s3
	s_mul_i32 s2, s2, s28
	s_mul_hi_u32 s29, s12, s2
	s_mul_i32 s30, s12, s2
	s_mul_i32 s33, s28, s15
	s_mul_hi_u32 s2, s28, s2
	s_mul_hi_u32 s31, s28, s15
	s_add_u32 s2, s2, s33
	s_addc_u32 s28, 0, s31
	s_add_u32 s2, s2, s30
	s_mul_hi_u32 s3, s12, s15
	s_addc_u32 s2, s28, s29
	s_addc_u32 s3, s3, 0
	s_mul_i32 s15, s12, s15
	s_add_u32 s2, s2, s15
	s_addc_u32 s3, 0, s3
	v_add_co_u32_e32 v10, vcc, s2, v10
	s_cmp_lg_u64 vcc, 0
	s_addc_u32 s12, s12, s3
	s_ashr_i32 s28, s19, 31
	s_add_u32 s2, s18, s28
	s_mov_b32 s29, s28
	s_addc_u32 s3, s19, s28
	s_xor_b64 s[30:31], s[2:3], s[28:29]
	v_readfirstlane_b32 s15, v10
	s_mul_i32 s3, s30, s12
	s_mul_hi_u32 s19, s30, s15
	s_mul_hi_u32 s2, s30, s12
	s_add_u32 s3, s19, s3
	s_addc_u32 s2, 0, s2
	s_mul_hi_u32 s33, s31, s15
	s_mul_i32 s15, s31, s15
	s_add_u32 s3, s3, s15
	s_mul_hi_u32 s19, s31, s12
	s_addc_u32 s2, s2, s33
	s_addc_u32 s3, s19, 0
	s_mul_i32 s12, s31, s12
	s_add_u32 s12, s2, s12
	s_addc_u32 s15, 0, s3
	s_mul_i32 s2, s26, s15
	s_mul_hi_u32 s3, s26, s12
	s_add_i32 s2, s3, s2
	s_mul_i32 s3, s27, s12
	s_add_i32 s19, s2, s3
	s_mul_i32 s3, s26, s12
	v_mov_b32_e32 v10, s3
	s_sub_i32 s2, s31, s19
	v_sub_co_u32_e32 v10, vcc, s30, v10
	s_cmp_lg_u64 vcc, 0
	s_subb_u32 s30, s2, s27
	v_subrev_co_u32_e64 v11, s[2:3], s26, v10
	s_cmp_lg_u64 s[2:3], 0
	s_subb_u32 s30, s30, 0
	s_cmp_ge_u32 s30, s27
	s_cselect_b32 s33, -1, 0
	v_cmp_le_u32_e64 s[2:3], s26, v11
	s_cmp_eq_u32 s30, s27
	v_cndmask_b32_e64 v11, 0, -1, s[2:3]
	v_mov_b32_e32 v16, s33
	s_cselect_b64 s[2:3], -1, 0
	v_cndmask_b32_e64 v11, v16, v11, s[2:3]
	s_add_u32 s2, s12, 1
	s_addc_u32 s30, s15, 0
	s_add_u32 s3, s12, 2
	s_addc_u32 s33, s15, 0
	v_mov_b32_e32 v16, s2
	v_mov_b32_e32 v17, s3
	v_cmp_ne_u32_e64 s[2:3], 0, v11
	v_cndmask_b32_e64 v11, v16, v17, s[2:3]
	v_mov_b32_e32 v16, s30
	v_mov_b32_e32 v17, s33
	s_cmp_lg_u64 vcc, 0
	v_cndmask_b32_e64 v16, v16, v17, s[2:3]
	s_subb_u32 s2, s31, s19
	s_cmp_ge_u32 s2, s27
	s_cselect_b32 s3, -1, 0
	v_cmp_le_u32_e32 vcc, s26, v10
	s_cmp_eq_u32 s2, s27
	v_cndmask_b32_e64 v10, 0, -1, vcc
	v_mov_b32_e32 v17, s3
	s_cselect_b64 vcc, -1, 0
	v_cndmask_b32_e32 v10, v17, v10, vcc
	v_mov_b32_e32 v17, s15
	v_cmp_ne_u32_e32 vcc, 0, v10
	v_cndmask_b32_e32 v10, v17, v16, vcc
	v_mov_b32_e32 v16, s12
	v_cndmask_b32_e32 v11, v16, v11, vcc
	s_xor_b64 s[2:3], s[28:29], s[24:25]
	v_xor_b32_e32 v11, s2, v11
	v_xor_b32_e32 v16, s3, v10
	v_mov_b32_e32 v17, s3
	v_subrev_co_u32_e32 v10, vcc, s2, v11
	v_subb_co_u32_e32 v11, vcc, v16, v17, vcc
	s_cbranch_execnz .LBB39_38
.LBB39_37:
	v_cvt_f32_u32_e32 v10, s14
	s_sub_i32 s2, 0, s14
	s_mov_b32 s3, 0
	v_rcp_iflag_f32_e32 v10, v10
	v_mul_f32_e32 v10, 0x4f7ffffe, v10
	v_cvt_u32_f32_e32 v10, v10
	v_readfirstlane_b32 s12, v10
	s_mul_i32 s2, s2, s12
	s_mul_hi_u32 s2, s12, s2
	s_add_i32 s12, s12, s2
	s_mul_hi_u32 s2, s18, s12
	s_mul_i32 s15, s2, s14
	s_sub_i32 s15, s18, s15
	s_add_i32 s12, s2, 1
	s_sub_i32 s18, s15, s14
	s_cmp_ge_u32 s15, s14
	s_cselect_b32 s2, s12, s2
	s_cselect_b32 s15, s18, s15
	s_add_i32 s12, s2, 1
	s_cmp_ge_u32 s15, s14
	s_cselect_b32 s2, s12, s2
	v_pk_mov_b32 v[10:11], s[2:3], s[2:3] op_sel:[0,1]
.LBB39_38:
	v_add_co_u32_e32 v10, vcc, v10, v15
	v_addc_co_u32_e32 v11, vcc, 0, v11, vcc
	s_branch .LBB39_41
.LBB39_39:
                                        ; implicit-def: $vgpr10_vgpr11
	s_cbranch_execz .LBB39_41
; %bb.40:
	v_mul_lo_u32 v10, v15, s8
	v_ashrrev_i32_e32 v11, 31, v10
	v_mov_b32_e32 v15, s7
	v_add_co_u32_e32 v10, vcc, s6, v10
	v_addc_co_u32_e32 v11, vcc, v11, v15, vcc
.LBB39_41:
	s_mov_b64 s[2:3], exec
.LBB39_42:
	s_or_b64 exec, exec, s[10:11]
	s_and_b64 vcc, exec, s[4:5]
	s_cbranch_vccz .LBB39_46
.LBB39_43:
	v_mov_b32_dpp v10, v12 quad_perm:[1,0,3,2] row_mask:0xf bank_mask:0xf
	v_cmp_gt_f32_e32 vcc, v12, v10
	v_cndmask_b32_e32 v10, v10, v12, vcc
	s_nop 1
	v_mov_b32_dpp v11, v10 quad_perm:[2,3,0,1] row_mask:0xf bank_mask:0xf
	v_cmp_gt_f32_e32 vcc, v10, v11
	v_cndmask_b32_e32 v10, v11, v10, vcc
	s_nop 1
	v_mov_b32_dpp v11, v10 row_half_mirror row_mask:0xf bank_mask:0xf
	v_cmp_gt_f32_e32 vcc, v10, v11
	v_cndmask_b32_e32 v10, v11, v10, vcc
	s_nop 1
	v_mov_b32_dpp v11, v10 row_mirror row_mask:0xf bank_mask:0xf
	v_cmp_gt_f32_e32 vcc, v10, v11
	v_cndmask_b32_e32 v10, v11, v10, vcc
	s_nop 1
	v_mov_b32_dpp v11, v10 row_bcast:15 row_mask:0xf bank_mask:0xf
	v_cmp_gt_f32_e32 vcc, v10, v11
	v_cndmask_b32_e32 v10, v11, v10, vcc
	s_nop 1
	v_mov_b32_dpp v11, v10 row_bcast:31 row_mask:0xf bank_mask:0xf
	s_and_saveexec_b64 s[2:3], s[0:1]
	s_cbranch_execz .LBB39_45
; %bb.44:
	v_lshrrev_b32_e32 v12, 4, v0
	v_cmp_gt_f32_e32 vcc, v10, v11
	v_and_b32_e32 v12, 60, v12
	v_cndmask_b32_e32 v10, v11, v10, vcc
	ds_write_b32 v12, v10
.LBB39_45:
	s_or_b64 exec, exec, s[2:3]
	s_waitcnt lgkmcnt(0)
	s_barrier
	ds_read_b32 v10, v14
	v_cmp_eq_u32_e64 s[2:3], 0, v0
	s_waitcnt lgkmcnt(0)
	v_mov_b32_dpp v11, v10 quad_perm:[1,0,3,2] row_mask:0xf bank_mask:0xf
	v_cmp_gt_f32_e32 vcc, v10, v11
	v_cndmask_b32_e32 v10, v11, v10, vcc
	v_mul_f32_e32 v13, 0x3c010204, v10
	v_pk_mov_b32 v[10:11], s[6:7], s[6:7] op_sel:[0,1]
.LBB39_46:
	s_and_saveexec_b64 s[0:1], s[2:3]
	s_cbranch_execz .LBB39_48
; %bb.47:
	v_lshlrev_b64 v[10:11], 2, v[10:11]
	v_mov_b32_e32 v0, s21
	v_add_co_u32_e32 v10, vcc, s20, v10
	v_addc_co_u32_e32 v11, vcc, v0, v11, vcc
	global_store_dword v[10:11], v13, off
.LBB39_48:
	s_or_b64 exec, exec, s[0:1]
	s_add_i32 s0, s9, 3
	s_ashr_i32 s1, s0, 31
	s_lshr_b32 s1, s1, 30
	;;#ASMSTART
	v_rcp_f32 v10, v13
	;;#ASMEND
	v_mov_b32_e32 v11, v10
	;;#ASMSTART
	v_pk_mul_f32 v[8:9], v[8:9], v[10:11]
	;;#ASMEND
	;;#ASMSTART
	v_pk_mul_f32 v[6:7], v[6:7], v[10:11]
	;;#ASMEND
	s_add_i32 s0, s0, s1
	v_cvt_i32_f32_e32 v0, v8
	v_cvt_i32_f32_sdwa v8, v9 dst_sel:BYTE_1 dst_unused:UNUSED_PAD src0_sel:DWORD
	v_cvt_i32_f32_e32 v6, v6
	v_cvt_i32_f32_sdwa v7, v7 dst_sel:BYTE_1 dst_unused:UNUSED_PAD src0_sel:DWORD
	;;#ASMSTART
	v_pk_mul_f32 v[4:5], v[4:5], v[10:11]
	;;#ASMEND
	;;#ASMSTART
	v_pk_mul_f32 v[2:3], v[2:3], v[10:11]
	;;#ASMEND
	s_and_b32 s2, s0, -4
	s_ashr_i32 s0, s13, 31
	v_cvt_i32_f32_e32 v4, v4
	v_cvt_i32_f32_sdwa v5, v5 dst_sel:BYTE_1 dst_unused:UNUSED_PAD src0_sel:DWORD
	v_cvt_i32_f32_e32 v9, v2
	v_cvt_i32_f32_sdwa v3, v3 dst_sel:BYTE_1 dst_unused:UNUSED_PAD src0_sel:DWORD
	s_mul_hi_u32 s1, s13, s6
	s_mul_i32 s0, s0, s6
	s_add_i32 s1, s1, s0
	s_mul_i32 s0, s13, s6
	s_add_u32 s0, s16, s0
	v_or_b32_sdwa v0, v0, v8 dst_sel:DWORD dst_unused:UNUSED_PAD src0_sel:BYTE_0 src1_sel:DWORD
	v_or_b32_sdwa v2, v6, v7 dst_sel:WORD_1 dst_unused:UNUSED_PAD src0_sel:BYTE_0 src1_sel:DWORD
	s_addc_u32 s1, s17, s1
	v_or_b32_sdwa v2, v0, v2 dst_sel:DWORD dst_unused:UNUSED_PAD src0_sel:WORD_0 src1_sel:DWORD
	v_or_b32_sdwa v0, v4, v5 dst_sel:DWORD dst_unused:UNUSED_PAD src0_sel:BYTE_0 src1_sel:DWORD
	v_or_b32_sdwa v3, v9, v3 dst_sel:WORD_1 dst_unused:UNUSED_PAD src0_sel:BYTE_0 src1_sel:DWORD
	s_and_b32 s1, s1, 0xffff
	s_mov_b32 s3, 0x20000
	v_or_b32_sdwa v3, v0, v3 dst_sel:DWORD dst_unused:UNUSED_PAD src0_sel:WORD_0 src1_sel:DWORD
	buffer_store_dwordx2 v[2:3], v1, s[0:3], 0 offen
	;;#ASMSTART
	s_nop 0
	;;#ASMEND
.LBB39_49:
	s_endpgm
.LBB39_50:
                                        ; implicit-def: $vgpr10_vgpr11
	s_branch .LBB39_37
	.section	.rodata,"a",@progbits
	.p2align	6, 0x0
	.amdhsa_kernel _ZN5aiter24add_rmsnorm_quant_kernelIDF16_aLi128ELi8ELb1ELb1ELb0ELi1EEEvPT0_PT_PfS4_S4_S4_diiiiiiib
		.amdhsa_group_segment_fixed_size 16
		.amdhsa_private_segment_fixed_size 0
		.amdhsa_kernarg_size 88
		.amdhsa_user_sgpr_count 6
		.amdhsa_user_sgpr_private_segment_buffer 1
		.amdhsa_user_sgpr_dispatch_ptr 0
		.amdhsa_user_sgpr_queue_ptr 0
		.amdhsa_user_sgpr_kernarg_segment_ptr 1
		.amdhsa_user_sgpr_dispatch_id 0
		.amdhsa_user_sgpr_flat_scratch_init 0
		.amdhsa_user_sgpr_kernarg_preload_length 0
		.amdhsa_user_sgpr_kernarg_preload_offset 0
		.amdhsa_user_sgpr_private_segment_size 0
		.amdhsa_uses_dynamic_stack 0
		.amdhsa_system_sgpr_private_segment_wavefront_offset 0
		.amdhsa_system_sgpr_workgroup_id_x 1
		.amdhsa_system_sgpr_workgroup_id_y 0
		.amdhsa_system_sgpr_workgroup_id_z 0
		.amdhsa_system_sgpr_workgroup_info 0
		.amdhsa_system_vgpr_workitem_id 0
		.amdhsa_next_free_vgpr 32
		.amdhsa_next_free_sgpr 40
		.amdhsa_accum_offset 32
		.amdhsa_reserve_vcc 1
		.amdhsa_reserve_flat_scratch 0
		.amdhsa_float_round_mode_32 0
		.amdhsa_float_round_mode_16_64 0
		.amdhsa_float_denorm_mode_32 3
		.amdhsa_float_denorm_mode_16_64 3
		.amdhsa_dx10_clamp 1
		.amdhsa_ieee_mode 1
		.amdhsa_fp16_overflow 0
		.amdhsa_tg_split 0
		.amdhsa_exception_fp_ieee_invalid_op 0
		.amdhsa_exception_fp_denorm_src 0
		.amdhsa_exception_fp_ieee_div_zero 0
		.amdhsa_exception_fp_ieee_overflow 0
		.amdhsa_exception_fp_ieee_underflow 0
		.amdhsa_exception_fp_ieee_inexact 0
		.amdhsa_exception_int_div_zero 0
	.end_amdhsa_kernel
	.section	.text._ZN5aiter24add_rmsnorm_quant_kernelIDF16_aLi128ELi8ELb1ELb1ELb0ELi1EEEvPT0_PT_PfS4_S4_S4_diiiiiiib,"axG",@progbits,_ZN5aiter24add_rmsnorm_quant_kernelIDF16_aLi128ELi8ELb1ELb1ELb0ELi1EEEvPT0_PT_PfS4_S4_S4_diiiiiiib,comdat
.Lfunc_end39:
	.size	_ZN5aiter24add_rmsnorm_quant_kernelIDF16_aLi128ELi8ELb1ELb1ELb0ELi1EEEvPT0_PT_PfS4_S4_S4_diiiiiiib, .Lfunc_end39-_ZN5aiter24add_rmsnorm_quant_kernelIDF16_aLi128ELi8ELb1ELb1ELb0ELi1EEEvPT0_PT_PfS4_S4_S4_diiiiiiib
                                        ; -- End function
	.section	.AMDGPU.csdata,"",@progbits
; Kernel info:
; codeLenInByte = 3256
; NumSgprs: 44
; NumVgprs: 32
; NumAgprs: 0
; TotalNumVgprs: 32
; ScratchSize: 0
; MemoryBound: 0
; FloatMode: 240
; IeeeMode: 1
; LDSByteSize: 16 bytes/workgroup (compile time only)
; SGPRBlocks: 5
; VGPRBlocks: 3
; NumSGPRsForWavesPerEU: 44
; NumVGPRsForWavesPerEU: 32
; AccumOffset: 32
; Occupancy: 8
; WaveLimiterHint : 0
; COMPUTE_PGM_RSRC2:SCRATCH_EN: 0
; COMPUTE_PGM_RSRC2:USER_SGPR: 6
; COMPUTE_PGM_RSRC2:TRAP_HANDLER: 0
; COMPUTE_PGM_RSRC2:TGID_X_EN: 1
; COMPUTE_PGM_RSRC2:TGID_Y_EN: 0
; COMPUTE_PGM_RSRC2:TGID_Z_EN: 0
; COMPUTE_PGM_RSRC2:TIDIG_COMP_CNT: 0
; COMPUTE_PGM_RSRC3_GFX90A:ACCUM_OFFSET: 7
; COMPUTE_PGM_RSRC3_GFX90A:TG_SPLIT: 0
	.section	.text._ZN5aiter24add_rmsnorm_quant_kernelItaLi128ELi8ELb1ELb1ELb0ELi1EEEvPT0_PT_PfS4_S4_S4_diiiiiiib,"axG",@progbits,_ZN5aiter24add_rmsnorm_quant_kernelItaLi128ELi8ELb1ELb1ELb0ELi1EEEvPT0_PT_PfS4_S4_S4_diiiiiiib,comdat
	.protected	_ZN5aiter24add_rmsnorm_quant_kernelItaLi128ELi8ELb1ELb1ELb0ELi1EEEvPT0_PT_PfS4_S4_S4_diiiiiiib ; -- Begin function _ZN5aiter24add_rmsnorm_quant_kernelItaLi128ELi8ELb1ELb1ELb0ELi1EEEvPT0_PT_PfS4_S4_S4_diiiiiiib
	.globl	_ZN5aiter24add_rmsnorm_quant_kernelItaLi128ELi8ELb1ELb1ELb0ELi1EEEvPT0_PT_PfS4_S4_S4_diiiiiiib
	.p2align	8
	.type	_ZN5aiter24add_rmsnorm_quant_kernelItaLi128ELi8ELb1ELb1ELb0ELi1EEEvPT0_PT_PfS4_S4_S4_diiiiiiib,@function
_ZN5aiter24add_rmsnorm_quant_kernelItaLi128ELi8ELb1ELb1ELb0ELi1EEEvPT0_PT_PfS4_S4_S4_diiiiiiib: ; @_ZN5aiter24add_rmsnorm_quant_kernelItaLi128ELi8ELb1ELb1ELb0ELi1EEEvPT0_PT_PfS4_S4_S4_diiiiiiib
; %bb.0:
	s_load_dwordx8 s[8:15], s[4:5], 0x38
	s_mov_b32 s7, 0
	s_waitcnt lgkmcnt(0)
	s_ashr_i32 s0, s8, 31
	v_mov_b32_e32 v2, s8
	v_mov_b32_e32 v3, s0
	v_cmp_ge_i64_e32 vcc, s[6:7], v[2:3]
	s_cbranch_vccnz .LBB40_49
; %bb.1:
	s_load_dwordx8 s[16:23], s[4:5], 0x0
	s_load_dwordx8 s[24:31], s[4:5], 0x20
	s_ashr_i32 s0, s10, 31
	s_mul_hi_u32 s1, s10, s6
	s_mul_i32 s0, s0, s6
	s_add_i32 s1, s1, s0
	s_mul_i32 s0, s10, s6
	s_lshl_b64 s[0:1], s[0:1], 1
	s_waitcnt lgkmcnt(0)
	s_add_u32 s0, s22, s0
	s_addc_u32 s1, s23, s1
	s_add_i32 s2, s9, 1
	s_lshr_b32 s3, s2, 31
	s_add_i32 s2, s2, s3
	s_lshl_b32 s2, s2, 1
	s_and_b32 s2, s2, -4
	s_and_b32 s1, s1, 0xffff
	s_mov_b32 s3, 0x20000
	v_lshlrev_b32_e32 v1, 4, v0
	buffer_load_dwordx4 v[6:9], v1, s[0:3], 0 offen glc slc
	s_ashr_i32 s0, s11, 31
	s_mul_hi_u32 s1, s11, s6
	s_mul_i32 s0, s0, s6
	s_add_i32 s1, s1, s0
	s_mul_i32 s0, s11, s6
	s_and_b32 s37, s27, 0xffff
	s_lshl_b64 s[0:1], s[0:1], 1
	s_add_u32 s0, s24, s0
	s_addc_u32 s1, s25, s1
	s_and_b32 s1, s1, 0xffff
	buffer_load_dwordx4 v[10:13], v1, s[0:3], 0 offen glc slc
	s_mov_b32 s39, s3
	s_mov_b32 s36, s26
	s_mov_b32 s38, s2
	buffer_load_dwordx4 v[2:5], v1, s[36:39], 0 offen
	s_ashr_i32 s5, s12, 31
	s_mul_hi_u32 s1, s12, s6
	s_mul_i32 s5, s5, s6
	s_mul_i32 s0, s12, s6
	s_add_i32 s1, s1, s5
	s_lshl_b64 s[0:1], s[0:1], 1
	s_add_u32 s0, s18, s0
	s_mov_b32 s4, 0x7060302
	s_addc_u32 s1, s19, s1
	s_and_b32 s1, s1, 0xffff
	v_and_b32_e32 v26, 63, v0
	s_waitcnt vmcnt(2)
	v_cvt_f32_u32_sdwa v15, v6 dst_sel:DWORD dst_unused:UNUSED_PAD src0_sel:WORD_1
	v_cvt_f32_u32_sdwa v14, v6 dst_sel:DWORD dst_unused:UNUSED_PAD src0_sel:WORD_0
	v_cvt_f32_u32_sdwa v17, v7 dst_sel:DWORD dst_unused:UNUSED_PAD src0_sel:WORD_1
	v_cvt_f32_u32_sdwa v16, v7 dst_sel:DWORD dst_unused:UNUSED_PAD src0_sel:WORD_0
	;; [unrolled: 2-line block ×4, first 2 shown]
	s_waitcnt vmcnt(1)
	v_cvt_f32_u32_sdwa v9, v10 dst_sel:DWORD dst_unused:UNUSED_PAD src0_sel:WORD_1
	v_cvt_f32_u32_sdwa v8, v10 dst_sel:DWORD dst_unused:UNUSED_PAD src0_sel:WORD_0
	v_cvt_f32_u32_sdwa v21, v11 dst_sel:DWORD dst_unused:UNUSED_PAD src0_sel:WORD_1
	v_cvt_f32_u32_sdwa v20, v11 dst_sel:DWORD dst_unused:UNUSED_PAD src0_sel:WORD_0
	;; [unrolled: 2-line block ×4, first 2 shown]
	v_pk_add_f32 v[12:13], v[14:15], v[8:9]
	v_pk_add_f32 v[10:11], v[16:17], v[20:21]
	;; [unrolled: 1-line block ×4, first 2 shown]
	v_perm_b32 v17, v7, v6, s4
	v_perm_b32 v16, v9, v8, s4
	;; [unrolled: 1-line block ×4, first 2 shown]
	v_pk_mul_f32 v[18:19], v[12:13], v[12:13]
	v_pk_mul_f32 v[20:21], v[10:11], v[10:11]
	buffer_store_dwordx4 v[14:17], v1, s[0:3], 0 offen glc slc
	v_add_f32_e32 v1, v18, v19
	v_add_f32_e32 v1, v20, v1
	v_pk_mul_f32 v[22:23], v[8:9], v[8:9]
	v_add_f32_e32 v1, v21, v1
	v_add_f32_e32 v1, v22, v1
	v_pk_mul_f32 v[24:25], v[6:7], v[6:7]
	v_add_f32_e32 v1, v23, v1
	v_add_f32_e32 v1, v24, v1
	v_add_f32_e32 v1, v25, v1
	v_cmp_eq_u32_e64 s[0:1], 63, v26
	;;#ASMSTART
	s_nop 0
	;;#ASMEND
	s_nop 0
	v_mov_b32_dpp v14, v1 quad_perm:[1,0,3,2] row_mask:0xf bank_mask:0xf
	v_add_f32_e32 v1, v1, v14
	s_nop 1
	v_mov_b32_dpp v14, v1 quad_perm:[2,3,0,1] row_mask:0xf bank_mask:0xf
	v_add_f32_e32 v1, v1, v14
	s_nop 1
	v_mov_b32_dpp v14, v1 row_half_mirror row_mask:0xf bank_mask:0xf
	v_add_f32_e32 v1, v1, v14
	s_nop 1
	v_mov_b32_dpp v14, v1 row_mirror row_mask:0xf bank_mask:0xf
	v_add_f32_e32 v1, v1, v14
	s_nop 1
	v_mov_b32_dpp v14, v1 row_bcast:15 row_mask:0xf bank_mask:0xf
	v_add_f32_e32 v1, v1, v14
	s_nop 1
	v_mov_b32_dpp v14, v1 row_bcast:31 row_mask:0xf bank_mask:0xf
	s_and_saveexec_b64 s[2:3], s[0:1]
	s_cbranch_execz .LBB40_3
; %bb.2:
	v_lshrrev_b32_e32 v15, 4, v0
	v_and_b32_e32 v15, 60, v15
	v_add_f32_e32 v1, v1, v14
	ds_write_b32 v15, v1 offset:8
.LBB40_3:
	s_or_b64 exec, exec, s[2:3]
	v_and_b32_e32 v1, 1, v0
	v_lshlrev_b32_e32 v14, 2, v1
	s_waitcnt lgkmcnt(0)
	s_barrier
	ds_read_b32 v1, v14 offset:8
	v_cvt_f32_i32_e32 v15, s9
	s_waitcnt vmcnt(1)
	v_cvt_f32_u32_sdwa v21, v3 dst_sel:DWORD dst_unused:UNUSED_PAD src0_sel:WORD_1
	v_cvt_f32_u32_sdwa v23, v5 dst_sel:DWORD dst_unused:UNUSED_PAD src0_sel:WORD_1
	v_cvt_f32_u32_sdwa v22, v5 dst_sel:DWORD dst_unused:UNUSED_PAD src0_sel:WORD_0
	s_waitcnt lgkmcnt(0)
	v_mov_b32_dpp v16, v1 quad_perm:[1,0,3,2] row_mask:0xf bank_mask:0xf
	v_add_f32_e32 v1, v1, v16
	v_div_scale_f32 v16, s[2:3], v15, v15, v1
	v_rcp_f32_e32 v17, v16
	v_div_scale_f32 v18, vcc, v1, v15, v1
	s_mov_b32 s2, 0x800000
	v_fma_f32 v19, -v16, v17, 1.0
	v_fmac_f32_e32 v17, v19, v17
	v_mul_f32_e32 v19, v18, v17
	v_fma_f32 v20, -v16, v19, v18
	v_fmac_f32_e32 v19, v20, v17
	v_fma_f32 v16, -v16, v19, v18
	v_div_fmas_f32 v16, v16, v17, v19
	v_div_fixup_f32 v1, v16, v15, v1
	v_cvt_f64_f32_e32 v[16:17], v1
	v_add_f64 v[16:17], v[16:17], s[28:29]
	v_cvt_f32_f64_e32 v1, v[16:17]
	v_mul_f32_e32 v15, 0x4b800000, v1
	v_cmp_gt_f32_e32 vcc, s2, v1
	v_cndmask_b32_e32 v1, v1, v15, vcc
	v_rsq_f32_e32 v15, v1
	v_cvt_f32_u32_sdwa v20, v3 dst_sel:DWORD dst_unused:UNUSED_PAD src0_sel:WORD_0
	v_cvt_f32_u32_sdwa v3, v4 dst_sel:DWORD dst_unused:UNUSED_PAD src0_sel:WORD_1
	v_lshlrev_b32_e32 v1, 3, v0
	v_mul_f32_e32 v16, 0x45800000, v15
	v_cndmask_b32_e32 v16, v15, v16, vcc
	v_mov_b32_e32 v17, v16
	;;#ASMSTART
	v_pk_mul_f32 v[12:13], v[12:13], v[16:17]
	;;#ASMEND
	;;#ASMSTART
	v_pk_mul_f32 v[10:11], v[10:11], v[16:17]
	;;#ASMEND
	;; [unrolled: 3-line block ×4, first 2 shown]
	v_cvt_f32_u32_sdwa v7, v2 dst_sel:DWORD dst_unused:UNUSED_PAD src0_sel:WORD_1
	v_cvt_f32_u32_sdwa v6, v2 dst_sel:DWORD dst_unused:UNUSED_PAD src0_sel:WORD_0
	v_cvt_f32_u32_sdwa v2, v4 dst_sel:DWORD dst_unused:UNUSED_PAD src0_sel:WORD_0
	;;#ASMSTART
	v_pk_mul_f32 v[8:9], v[12:13], v[6:7]
	;;#ASMEND
	;;#ASMSTART
	v_pk_mul_f32 v[6:7], v[10:11], v[20:21]
	;;#ASMEND
	v_and_b32_e32 v10, 0x7fffffff, v8
	v_mov_b32_e32 v12, 0x2edbe6ff
	;;#ASMSTART
	v_pk_mul_f32 v[4:5], v[18:19], v[2:3]
	;;#ASMEND
	;;#ASMSTART
	v_pk_mul_f32 v[2:3], v[16:17], v[22:23]
	;;#ASMEND
	v_and_b32_e32 v11, 0x7fffffff, v9
	;;#ASMSTART
	v_max3_f32 v10, v12, v10, v11

	;;#ASMEND
	v_and_b32_e32 v12, 0x7fffffff, v7
	v_and_b32_e32 v11, 0x7fffffff, v6
	;;#ASMSTART
	v_max3_f32 v10, v10, v11, v12

	;;#ASMEND
	v_and_b32_e32 v12, 0x7fffffff, v5
	;; [unrolled: 6-line block ×3, first 2 shown]
	s_cmp_lg_u32 s14, 0
	v_and_b32_e32 v11, 0x7fffffff, v2
	;;#ASMSTART
	v_max3_f32 v12, v10, v11, v12

	;;#ASMEND
	s_cbranch_scc0 .LBB40_10
; %bb.4:
	s_ashr_i32 s12, s14, 31
	s_lshr_b32 s2, s12, 29
	s_add_i32 s2, s14, s2
	s_ashr_i32 s10, s2, 3
	s_cmp_lt_i32 s10, 16
	s_cbranch_scc1 .LBB40_11
; %bb.5:
	s_cmp_lt_i32 s10, 32
	s_cbranch_scc1 .LBB40_12
; %bb.6:
	s_cmp_lt_i32 s10, 64
	s_cbranch_scc1 .LBB40_13
; %bb.7:
	s_cmp_eq_u32 s10, 64
	v_mov_b32_e32 v10, v12
	s_cbranch_scc0 .LBB40_9
; %bb.8:
	s_nop 0
	v_mov_b32_dpp v10, v12 quad_perm:[1,0,3,2] row_mask:0xf bank_mask:0xf
	v_cmp_gt_f32_e32 vcc, v12, v10
	v_cndmask_b32_e32 v10, v10, v12, vcc
	v_bfrev_b32_e32 v13, 0.5
	s_nop 0
	v_mov_b32_dpp v11, v10 quad_perm:[2,3,0,1] row_mask:0xf bank_mask:0xf
	v_cmp_gt_f32_e32 vcc, v10, v11
	v_cndmask_b32_e32 v10, v11, v10, vcc
	s_nop 1
	v_mov_b32_dpp v11, v10 row_ror:4 row_mask:0xf bank_mask:0xf
	v_cmp_gt_f32_e32 vcc, v10, v11
	v_cndmask_b32_e32 v10, v11, v10, vcc
	s_nop 1
	v_mov_b32_dpp v11, v10 row_ror:8 row_mask:0xf bank_mask:0xf
	v_cmp_gt_f32_e32 vcc, v10, v11
	v_cndmask_b32_e32 v10, v11, v10, vcc
	s_nop 1
	v_mov_b32_dpp v11, v10 row_bcast:15 row_mask:0xf bank_mask:0xf
	v_cmp_gt_f32_e32 vcc, v10, v11
	v_cndmask_b32_e32 v10, v11, v10, vcc
	s_nop 1
	v_mov_b32_dpp v11, v10 row_bcast:31 row_mask:0xf bank_mask:0xf
	v_cmp_gt_f32_e32 vcc, v10, v11
	v_cndmask_b32_e32 v10, v11, v10, vcc
	v_mbcnt_lo_u32_b32 v11, -1, 0
	v_mbcnt_hi_u32_b32 v11, -1, v11
	v_lshl_or_b32 v11, v11, 2, v13
	ds_bpermute_b32 v10, v11, v10
.LBB40_9:
	s_mov_b64 s[2:3], 0
	s_branch .LBB40_14
.LBB40_10:
	s_mov_b64 s[2:3], 0
                                        ; implicit-def: $vgpr13
                                        ; implicit-def: $vgpr10_vgpr11
	s_cbranch_execnz .LBB40_43
	s_branch .LBB40_46
.LBB40_11:
                                        ; implicit-def: $vgpr10
	s_branch .LBB40_21
.LBB40_12:
                                        ; implicit-def: $vgpr10
	s_branch .LBB40_18
.LBB40_13:
	s_mov_b64 s[2:3], -1
                                        ; implicit-def: $vgpr10
.LBB40_14:
	s_andn2_b64 vcc, exec, s[2:3]
	s_cbranch_vccnz .LBB40_17
; %bb.15:
	s_cmp_eq_u32 s10, 32
	s_waitcnt lgkmcnt(0)
	v_mov_b32_e32 v10, v12
	s_cbranch_scc0 .LBB40_17
; %bb.16:
	s_nop 0
	v_mov_b32_dpp v10, v12 quad_perm:[1,0,3,2] row_mask:0xf bank_mask:0xf
	v_cmp_gt_f32_e32 vcc, v12, v10
	v_cndmask_b32_e32 v10, v10, v12, vcc
	v_mov_b32_e32 v13, 0x7c
	s_nop 0
	v_mov_b32_dpp v11, v10 quad_perm:[2,3,0,1] row_mask:0xf bank_mask:0xf
	v_cmp_gt_f32_e32 vcc, v10, v11
	v_cndmask_b32_e32 v10, v11, v10, vcc
	s_nop 1
	v_mov_b32_dpp v11, v10 row_half_mirror row_mask:0xf bank_mask:0xf
	v_cmp_gt_f32_e32 vcc, v10, v11
	v_cndmask_b32_e32 v10, v11, v10, vcc
	s_nop 1
	v_mov_b32_dpp v11, v10 row_mirror row_mask:0xf bank_mask:0xf
	v_cmp_gt_f32_e32 vcc, v10, v11
	v_cndmask_b32_e32 v10, v11, v10, vcc
	s_nop 1
	v_mov_b32_dpp v11, v10 row_bcast:15 row_mask:0xa bank_mask:0xf
	v_cmp_gt_f32_e32 vcc, v10, v11
	v_cndmask_b32_e32 v10, v11, v10, vcc
	v_mbcnt_lo_u32_b32 v11, -1, 0
	v_mbcnt_hi_u32_b32 v11, -1, v11
	v_lshl_or_b32 v11, v11, 2, v13
	ds_bpermute_b32 v10, v11, v10
.LBB40_17:
	s_cbranch_execnz .LBB40_20
.LBB40_18:
	s_cmp_eq_u32 s10, 16
	s_waitcnt lgkmcnt(0)
	v_mov_b32_e32 v10, v12
	s_cbranch_scc0 .LBB40_20
; %bb.19:
	s_nop 0
	v_mov_b32_dpp v10, v12 quad_perm:[1,0,3,2] row_mask:0xf bank_mask:0xf
	v_cmp_gt_f32_e32 vcc, v12, v10
	v_cndmask_b32_e32 v10, v10, v12, vcc
	s_nop 1
	v_mov_b32_dpp v11, v10 quad_perm:[2,3,0,1] row_mask:0xf bank_mask:0xf
	v_cmp_gt_f32_e32 vcc, v10, v11
	v_cndmask_b32_e32 v10, v11, v10, vcc
	s_nop 1
	v_mov_b32_dpp v11, v10 row_half_mirror row_mask:0xf bank_mask:0xf
	v_cmp_gt_f32_e32 vcc, v10, v11
	v_cndmask_b32_e32 v10, v11, v10, vcc
	s_nop 1
	v_mov_b32_dpp v11, v10 row_mirror row_mask:0xf bank_mask:0xf
	v_cmp_gt_f32_e32 vcc, v10, v11
	v_cndmask_b32_e32 v10, v11, v10, vcc
.LBB40_20:
	s_cbranch_execnz .LBB40_33
.LBB40_21:
	s_cmp_lt_i32 s10, 4
	s_cbranch_scc1 .LBB40_25
; %bb.22:
	s_cmp_lt_i32 s10, 8
	s_cbranch_scc1 .LBB40_26
; %bb.23:
	s_cmp_eq_u32 s10, 8
	s_waitcnt lgkmcnt(0)
	v_mov_b32_e32 v10, v12
	s_cbranch_scc0 .LBB40_27
; %bb.24:
	s_nop 0
	v_mov_b32_dpp v10, v12 quad_perm:[1,0,3,2] row_mask:0xf bank_mask:0xf
	v_cmp_gt_f32_e32 vcc, v12, v10
	v_cndmask_b32_e32 v10, v10, v12, vcc
	s_nop 1
	v_mov_b32_dpp v11, v10 quad_perm:[2,3,0,1] row_mask:0xf bank_mask:0xf
	v_cmp_gt_f32_e32 vcc, v10, v11
	v_cndmask_b32_e32 v10, v11, v10, vcc
	s_nop 1
	v_mov_b32_dpp v11, v10 row_half_mirror row_mask:0xf bank_mask:0xf
	v_cmp_gt_f32_e32 vcc, v10, v11
	v_cndmask_b32_e32 v10, v11, v10, vcc
	s_cbranch_execz .LBB40_28
	s_branch .LBB40_30
.LBB40_25:
                                        ; implicit-def: $vgpr10
	s_branch .LBB40_31
.LBB40_26:
                                        ; implicit-def: $vgpr10
	s_branch .LBB40_28
.LBB40_27:
	s_cbranch_execnz .LBB40_30
.LBB40_28:
	s_cmp_eq_u32 s10, 4
	s_waitcnt lgkmcnt(0)
	v_mov_b32_e32 v10, v12
	s_cbranch_scc0 .LBB40_30
; %bb.29:
	s_nop 0
	v_mov_b32_dpp v10, v12 quad_perm:[1,0,3,2] row_mask:0xf bank_mask:0xf
	v_cmp_gt_f32_e32 vcc, v12, v10
	v_cndmask_b32_e32 v10, v10, v12, vcc
	s_nop 1
	v_mov_b32_dpp v11, v10 quad_perm:[2,3,0,1] row_mask:0xf bank_mask:0xf
	v_cmp_gt_f32_e32 vcc, v10, v11
	v_cndmask_b32_e32 v10, v11, v10, vcc
.LBB40_30:
	s_cbranch_execnz .LBB40_33
.LBB40_31:
	s_cmp_lg_u32 s10, 2
	s_waitcnt lgkmcnt(0)
	v_mov_b32_e32 v10, v12
	s_cbranch_scc1 .LBB40_33
; %bb.32:
	s_nop 0
	v_mov_b32_dpp v10, v12 quad_perm:[1,0,3,2] row_mask:0xf bank_mask:0xf
	v_cmp_gt_f32_e32 vcc, v12, v10
	v_cndmask_b32_e32 v10, v10, v12, vcc
.LBB40_33:
	v_cvt_f32_u32_e32 v11, s10
	s_waitcnt lgkmcnt(0)
	v_mul_f32_e32 v13, 0x3c010204, v10
	s_sub_i32 s2, 0, s10
	v_cmp_gt_u32_e32 vcc, s9, v1
	v_rcp_iflag_f32_e32 v11, v11
	s_mov_b64 s[4:5], 0
	v_mul_f32_e32 v10, 0x4f7ffffe, v11
	v_cvt_u32_f32_e32 v10, v10
	v_mul_lo_u32 v11, s2, v10
	v_mul_hi_u32 v11, v10, v11
	v_add_u32_e32 v10, v10, v11
	v_mul_hi_u32 v10, v0, v10
	v_mul_lo_u32 v11, v10, s10
	v_sub_u32_e32 v11, v0, v11
	v_add_u32_e32 v15, 1, v10
	v_cmp_le_u32_e64 s[2:3], s10, v11
	v_cndmask_b32_e64 v10, v10, v15, s[2:3]
	v_subrev_u32_e32 v15, s10, v11
	v_cndmask_b32_e64 v11, v11, v15, s[2:3]
	v_add_u32_e32 v15, 1, v10
	v_cmp_le_u32_e64 s[2:3], s10, v11
	v_cndmask_b32_e64 v15, v10, v15, s[2:3]
	v_mul_lo_u32 v10, v15, s10
	v_sub_u32_e32 v10, v0, v10
	v_cmp_eq_u32_e64 s[2:3], 0, v10
	s_and_b64 s[10:11], s[2:3], vcc
	s_mov_b64 s[2:3], 0
                                        ; implicit-def: $vgpr10_vgpr11
	s_and_saveexec_b64 s[18:19], s[10:11]
	s_xor_b64 s[10:11], exec, s[18:19]
	s_cbranch_execz .LBB40_42
; %bb.34:
	s_bitcmp0_b32 s15, 0
	s_cbranch_scc0 .LBB40_39
; %bb.35:
	s_ashr_i32 s2, s9, 31
	s_mul_hi_u32 s3, s9, s6
	s_mul_i32 s2, s2, s6
	s_add_i32 s19, s3, s2
	s_mul_i32 s18, s9, s6
	s_mov_b32 s15, s12
	s_or_b64 s[2:3], s[18:19], s[14:15]
	s_mov_b32 s2, 0
	s_cmp_lg_u64 s[2:3], 0
	s_cbranch_scc0 .LBB40_50
; %bb.36:
	s_add_u32 s2, s14, s15
	s_mov_b32 s24, s15
	s_mov_b32 s25, s15
	s_addc_u32 s3, s15, s15
	s_xor_b64 s[26:27], s[2:3], s[24:25]
	v_cvt_f32_u32_e32 v10, s26
	v_cvt_f32_u32_e32 v11, s27
	s_sub_u32 s2, 0, s26
	s_subb_u32 s3, 0, s27
	v_madmk_f32 v10, v11, 0x4f800000, v10
	v_rcp_f32_e32 v10, v10
	v_mul_f32_e32 v10, 0x5f7ffffc, v10
	v_mul_f32_e32 v11, 0x2f800000, v10
	v_trunc_f32_e32 v11, v11
	v_madmk_f32 v10, v11, 0xcf800000, v10
	v_cvt_u32_f32_e32 v11, v11
	v_cvt_u32_f32_e32 v10, v10
	v_readfirstlane_b32 s12, v11
	v_readfirstlane_b32 s15, v10
	s_mul_i32 s28, s2, s12
	s_mul_hi_u32 s30, s2, s15
	s_mul_i32 s29, s3, s15
	s_add_i32 s28, s30, s28
	s_add_i32 s28, s28, s29
	s_mul_i32 s31, s2, s15
	s_mul_hi_u32 s29, s15, s28
	s_mul_i32 s30, s15, s28
	s_mul_hi_u32 s15, s15, s31
	s_add_u32 s15, s15, s30
	s_addc_u32 s29, 0, s29
	s_mul_hi_u32 s33, s12, s31
	s_mul_i32 s31, s12, s31
	s_add_u32 s15, s15, s31
	s_mul_hi_u32 s30, s12, s28
	s_addc_u32 s15, s29, s33
	s_addc_u32 s29, s30, 0
	s_mul_i32 s28, s12, s28
	s_add_u32 s15, s15, s28
	s_addc_u32 s28, 0, s29
	v_add_co_u32_e32 v10, vcc, s15, v10
	s_cmp_lg_u64 vcc, 0
	s_addc_u32 s12, s12, s28
	v_readfirstlane_b32 s28, v10
	s_mul_i32 s15, s2, s12
	s_mul_hi_u32 s29, s2, s28
	s_add_i32 s15, s29, s15
	s_mul_i32 s3, s3, s28
	s_add_i32 s15, s15, s3
	s_mul_i32 s2, s2, s28
	s_mul_hi_u32 s29, s12, s2
	s_mul_i32 s30, s12, s2
	s_mul_i32 s33, s28, s15
	s_mul_hi_u32 s2, s28, s2
	s_mul_hi_u32 s31, s28, s15
	s_add_u32 s2, s2, s33
	s_addc_u32 s28, 0, s31
	s_add_u32 s2, s2, s30
	s_mul_hi_u32 s3, s12, s15
	s_addc_u32 s2, s28, s29
	s_addc_u32 s3, s3, 0
	s_mul_i32 s15, s12, s15
	s_add_u32 s2, s2, s15
	s_addc_u32 s3, 0, s3
	v_add_co_u32_e32 v10, vcc, s2, v10
	s_cmp_lg_u64 vcc, 0
	s_addc_u32 s12, s12, s3
	s_ashr_i32 s28, s19, 31
	s_add_u32 s2, s18, s28
	s_mov_b32 s29, s28
	s_addc_u32 s3, s19, s28
	s_xor_b64 s[30:31], s[2:3], s[28:29]
	v_readfirstlane_b32 s15, v10
	s_mul_i32 s3, s30, s12
	s_mul_hi_u32 s19, s30, s15
	s_mul_hi_u32 s2, s30, s12
	s_add_u32 s3, s19, s3
	s_addc_u32 s2, 0, s2
	s_mul_hi_u32 s33, s31, s15
	s_mul_i32 s15, s31, s15
	s_add_u32 s3, s3, s15
	s_mul_hi_u32 s19, s31, s12
	s_addc_u32 s2, s2, s33
	s_addc_u32 s3, s19, 0
	s_mul_i32 s12, s31, s12
	s_add_u32 s12, s2, s12
	s_addc_u32 s15, 0, s3
	s_mul_i32 s2, s26, s15
	s_mul_hi_u32 s3, s26, s12
	s_add_i32 s2, s3, s2
	s_mul_i32 s3, s27, s12
	s_add_i32 s19, s2, s3
	s_mul_i32 s3, s26, s12
	v_mov_b32_e32 v10, s3
	s_sub_i32 s2, s31, s19
	v_sub_co_u32_e32 v10, vcc, s30, v10
	s_cmp_lg_u64 vcc, 0
	s_subb_u32 s30, s2, s27
	v_subrev_co_u32_e64 v11, s[2:3], s26, v10
	s_cmp_lg_u64 s[2:3], 0
	s_subb_u32 s30, s30, 0
	s_cmp_ge_u32 s30, s27
	s_cselect_b32 s33, -1, 0
	v_cmp_le_u32_e64 s[2:3], s26, v11
	s_cmp_eq_u32 s30, s27
	v_cndmask_b32_e64 v11, 0, -1, s[2:3]
	v_mov_b32_e32 v16, s33
	s_cselect_b64 s[2:3], -1, 0
	v_cndmask_b32_e64 v11, v16, v11, s[2:3]
	s_add_u32 s2, s12, 1
	s_addc_u32 s30, s15, 0
	s_add_u32 s3, s12, 2
	s_addc_u32 s33, s15, 0
	v_mov_b32_e32 v16, s2
	v_mov_b32_e32 v17, s3
	v_cmp_ne_u32_e64 s[2:3], 0, v11
	v_cndmask_b32_e64 v11, v16, v17, s[2:3]
	v_mov_b32_e32 v16, s30
	v_mov_b32_e32 v17, s33
	s_cmp_lg_u64 vcc, 0
	v_cndmask_b32_e64 v16, v16, v17, s[2:3]
	s_subb_u32 s2, s31, s19
	s_cmp_ge_u32 s2, s27
	s_cselect_b32 s3, -1, 0
	v_cmp_le_u32_e32 vcc, s26, v10
	s_cmp_eq_u32 s2, s27
	v_cndmask_b32_e64 v10, 0, -1, vcc
	v_mov_b32_e32 v17, s3
	s_cselect_b64 vcc, -1, 0
	v_cndmask_b32_e32 v10, v17, v10, vcc
	v_mov_b32_e32 v17, s15
	v_cmp_ne_u32_e32 vcc, 0, v10
	v_cndmask_b32_e32 v10, v17, v16, vcc
	v_mov_b32_e32 v16, s12
	v_cndmask_b32_e32 v11, v16, v11, vcc
	s_xor_b64 s[2:3], s[28:29], s[24:25]
	v_xor_b32_e32 v11, s2, v11
	v_xor_b32_e32 v16, s3, v10
	v_mov_b32_e32 v17, s3
	v_subrev_co_u32_e32 v10, vcc, s2, v11
	v_subb_co_u32_e32 v11, vcc, v16, v17, vcc
	s_cbranch_execnz .LBB40_38
.LBB40_37:
	v_cvt_f32_u32_e32 v10, s14
	s_sub_i32 s2, 0, s14
	s_mov_b32 s3, 0
	v_rcp_iflag_f32_e32 v10, v10
	v_mul_f32_e32 v10, 0x4f7ffffe, v10
	v_cvt_u32_f32_e32 v10, v10
	v_readfirstlane_b32 s12, v10
	s_mul_i32 s2, s2, s12
	s_mul_hi_u32 s2, s12, s2
	s_add_i32 s12, s12, s2
	s_mul_hi_u32 s2, s18, s12
	s_mul_i32 s15, s2, s14
	s_sub_i32 s15, s18, s15
	s_add_i32 s12, s2, 1
	s_sub_i32 s18, s15, s14
	s_cmp_ge_u32 s15, s14
	s_cselect_b32 s2, s12, s2
	s_cselect_b32 s15, s18, s15
	s_add_i32 s12, s2, 1
	s_cmp_ge_u32 s15, s14
	s_cselect_b32 s2, s12, s2
	v_pk_mov_b32 v[10:11], s[2:3], s[2:3] op_sel:[0,1]
.LBB40_38:
	v_add_co_u32_e32 v10, vcc, v10, v15
	v_addc_co_u32_e32 v11, vcc, 0, v11, vcc
	s_branch .LBB40_41
.LBB40_39:
                                        ; implicit-def: $vgpr10_vgpr11
	s_cbranch_execz .LBB40_41
; %bb.40:
	v_mul_lo_u32 v10, v15, s8
	v_ashrrev_i32_e32 v11, 31, v10
	v_mov_b32_e32 v15, s7
	v_add_co_u32_e32 v10, vcc, s6, v10
	v_addc_co_u32_e32 v11, vcc, v11, v15, vcc
.LBB40_41:
	s_mov_b64 s[2:3], exec
.LBB40_42:
	s_or_b64 exec, exec, s[10:11]
	s_and_b64 vcc, exec, s[4:5]
	s_cbranch_vccz .LBB40_46
.LBB40_43:
	v_mov_b32_dpp v10, v12 quad_perm:[1,0,3,2] row_mask:0xf bank_mask:0xf
	v_cmp_gt_f32_e32 vcc, v12, v10
	v_cndmask_b32_e32 v10, v10, v12, vcc
	s_nop 1
	v_mov_b32_dpp v11, v10 quad_perm:[2,3,0,1] row_mask:0xf bank_mask:0xf
	v_cmp_gt_f32_e32 vcc, v10, v11
	v_cndmask_b32_e32 v10, v11, v10, vcc
	s_nop 1
	v_mov_b32_dpp v11, v10 row_half_mirror row_mask:0xf bank_mask:0xf
	v_cmp_gt_f32_e32 vcc, v10, v11
	v_cndmask_b32_e32 v10, v11, v10, vcc
	s_nop 1
	v_mov_b32_dpp v11, v10 row_mirror row_mask:0xf bank_mask:0xf
	v_cmp_gt_f32_e32 vcc, v10, v11
	v_cndmask_b32_e32 v10, v11, v10, vcc
	s_nop 1
	v_mov_b32_dpp v11, v10 row_bcast:15 row_mask:0xf bank_mask:0xf
	v_cmp_gt_f32_e32 vcc, v10, v11
	v_cndmask_b32_e32 v10, v11, v10, vcc
	s_nop 1
	v_mov_b32_dpp v11, v10 row_bcast:31 row_mask:0xf bank_mask:0xf
	s_and_saveexec_b64 s[2:3], s[0:1]
	s_cbranch_execz .LBB40_45
; %bb.44:
	v_lshrrev_b32_e32 v12, 4, v0
	v_cmp_gt_f32_e32 vcc, v10, v11
	v_and_b32_e32 v12, 60, v12
	v_cndmask_b32_e32 v10, v11, v10, vcc
	ds_write_b32 v12, v10
.LBB40_45:
	s_or_b64 exec, exec, s[2:3]
	s_waitcnt lgkmcnt(0)
	s_barrier
	ds_read_b32 v10, v14
	v_cmp_eq_u32_e64 s[2:3], 0, v0
	s_waitcnt lgkmcnt(0)
	v_mov_b32_dpp v11, v10 quad_perm:[1,0,3,2] row_mask:0xf bank_mask:0xf
	v_cmp_gt_f32_e32 vcc, v10, v11
	v_cndmask_b32_e32 v10, v11, v10, vcc
	v_mul_f32_e32 v13, 0x3c010204, v10
	v_pk_mov_b32 v[10:11], s[6:7], s[6:7] op_sel:[0,1]
.LBB40_46:
	s_and_saveexec_b64 s[0:1], s[2:3]
	s_cbranch_execz .LBB40_48
; %bb.47:
	v_lshlrev_b64 v[10:11], 2, v[10:11]
	v_mov_b32_e32 v0, s21
	v_add_co_u32_e32 v10, vcc, s20, v10
	v_addc_co_u32_e32 v11, vcc, v0, v11, vcc
	global_store_dword v[10:11], v13, off
.LBB40_48:
	s_or_b64 exec, exec, s[0:1]
	s_add_i32 s0, s9, 3
	s_ashr_i32 s1, s0, 31
	s_lshr_b32 s1, s1, 30
	;;#ASMSTART
	v_rcp_f32 v10, v13
	;;#ASMEND
	v_mov_b32_e32 v11, v10
	;;#ASMSTART
	v_pk_mul_f32 v[8:9], v[8:9], v[10:11]
	;;#ASMEND
	;;#ASMSTART
	v_pk_mul_f32 v[6:7], v[6:7], v[10:11]
	;;#ASMEND
	s_add_i32 s0, s0, s1
	v_cvt_i32_f32_e32 v0, v8
	v_cvt_i32_f32_sdwa v8, v9 dst_sel:BYTE_1 dst_unused:UNUSED_PAD src0_sel:DWORD
	v_cvt_i32_f32_e32 v6, v6
	v_cvt_i32_f32_sdwa v7, v7 dst_sel:BYTE_1 dst_unused:UNUSED_PAD src0_sel:DWORD
	;;#ASMSTART
	v_pk_mul_f32 v[4:5], v[4:5], v[10:11]
	;;#ASMEND
	;;#ASMSTART
	v_pk_mul_f32 v[2:3], v[2:3], v[10:11]
	;;#ASMEND
	s_and_b32 s2, s0, -4
	s_ashr_i32 s0, s13, 31
	v_cvt_i32_f32_e32 v4, v4
	v_cvt_i32_f32_sdwa v5, v5 dst_sel:BYTE_1 dst_unused:UNUSED_PAD src0_sel:DWORD
	v_cvt_i32_f32_e32 v9, v2
	v_cvt_i32_f32_sdwa v3, v3 dst_sel:BYTE_1 dst_unused:UNUSED_PAD src0_sel:DWORD
	s_mul_hi_u32 s1, s13, s6
	s_mul_i32 s0, s0, s6
	s_add_i32 s1, s1, s0
	s_mul_i32 s0, s13, s6
	s_add_u32 s0, s16, s0
	v_or_b32_sdwa v0, v0, v8 dst_sel:DWORD dst_unused:UNUSED_PAD src0_sel:BYTE_0 src1_sel:DWORD
	v_or_b32_sdwa v2, v6, v7 dst_sel:WORD_1 dst_unused:UNUSED_PAD src0_sel:BYTE_0 src1_sel:DWORD
	s_addc_u32 s1, s17, s1
	v_or_b32_sdwa v2, v0, v2 dst_sel:DWORD dst_unused:UNUSED_PAD src0_sel:WORD_0 src1_sel:DWORD
	v_or_b32_sdwa v0, v4, v5 dst_sel:DWORD dst_unused:UNUSED_PAD src0_sel:BYTE_0 src1_sel:DWORD
	v_or_b32_sdwa v3, v9, v3 dst_sel:WORD_1 dst_unused:UNUSED_PAD src0_sel:BYTE_0 src1_sel:DWORD
	s_and_b32 s1, s1, 0xffff
	s_mov_b32 s3, 0x20000
	v_or_b32_sdwa v3, v0, v3 dst_sel:DWORD dst_unused:UNUSED_PAD src0_sel:WORD_0 src1_sel:DWORD
	buffer_store_dwordx2 v[2:3], v1, s[0:3], 0 offen
	;;#ASMSTART
	s_nop 0
	;;#ASMEND
.LBB40_49:
	s_endpgm
.LBB40_50:
                                        ; implicit-def: $vgpr10_vgpr11
	s_branch .LBB40_37
	.section	.rodata,"a",@progbits
	.p2align	6, 0x0
	.amdhsa_kernel _ZN5aiter24add_rmsnorm_quant_kernelItaLi128ELi8ELb1ELb1ELb0ELi1EEEvPT0_PT_PfS4_S4_S4_diiiiiiib
		.amdhsa_group_segment_fixed_size 16
		.amdhsa_private_segment_fixed_size 0
		.amdhsa_kernarg_size 88
		.amdhsa_user_sgpr_count 6
		.amdhsa_user_sgpr_private_segment_buffer 1
		.amdhsa_user_sgpr_dispatch_ptr 0
		.amdhsa_user_sgpr_queue_ptr 0
		.amdhsa_user_sgpr_kernarg_segment_ptr 1
		.amdhsa_user_sgpr_dispatch_id 0
		.amdhsa_user_sgpr_flat_scratch_init 0
		.amdhsa_user_sgpr_kernarg_preload_length 0
		.amdhsa_user_sgpr_kernarg_preload_offset 0
		.amdhsa_user_sgpr_private_segment_size 0
		.amdhsa_uses_dynamic_stack 0
		.amdhsa_system_sgpr_private_segment_wavefront_offset 0
		.amdhsa_system_sgpr_workgroup_id_x 1
		.amdhsa_system_sgpr_workgroup_id_y 0
		.amdhsa_system_sgpr_workgroup_id_z 0
		.amdhsa_system_sgpr_workgroup_info 0
		.amdhsa_system_vgpr_workitem_id 0
		.amdhsa_next_free_vgpr 27
		.amdhsa_next_free_sgpr 40
		.amdhsa_accum_offset 28
		.amdhsa_reserve_vcc 1
		.amdhsa_reserve_flat_scratch 0
		.amdhsa_float_round_mode_32 0
		.amdhsa_float_round_mode_16_64 0
		.amdhsa_float_denorm_mode_32 3
		.amdhsa_float_denorm_mode_16_64 3
		.amdhsa_dx10_clamp 1
		.amdhsa_ieee_mode 1
		.amdhsa_fp16_overflow 0
		.amdhsa_tg_split 0
		.amdhsa_exception_fp_ieee_invalid_op 0
		.amdhsa_exception_fp_denorm_src 0
		.amdhsa_exception_fp_ieee_div_zero 0
		.amdhsa_exception_fp_ieee_overflow 0
		.amdhsa_exception_fp_ieee_underflow 0
		.amdhsa_exception_fp_ieee_inexact 0
		.amdhsa_exception_int_div_zero 0
	.end_amdhsa_kernel
	.section	.text._ZN5aiter24add_rmsnorm_quant_kernelItaLi128ELi8ELb1ELb1ELb0ELi1EEEvPT0_PT_PfS4_S4_S4_diiiiiiib,"axG",@progbits,_ZN5aiter24add_rmsnorm_quant_kernelItaLi128ELi8ELb1ELb1ELb0ELi1EEEvPT0_PT_PfS4_S4_S4_diiiiiiib,comdat
.Lfunc_end40:
	.size	_ZN5aiter24add_rmsnorm_quant_kernelItaLi128ELi8ELb1ELb1ELb0ELi1EEEvPT0_PT_PfS4_S4_S4_diiiiiiib, .Lfunc_end40-_ZN5aiter24add_rmsnorm_quant_kernelItaLi128ELi8ELb1ELb1ELb0ELi1EEEvPT0_PT_PfS4_S4_S4_diiiiiiib
                                        ; -- End function
	.section	.AMDGPU.csdata,"",@progbits
; Kernel info:
; codeLenInByte = 3280
; NumSgprs: 44
; NumVgprs: 27
; NumAgprs: 0
; TotalNumVgprs: 27
; ScratchSize: 0
; MemoryBound: 0
; FloatMode: 240
; IeeeMode: 1
; LDSByteSize: 16 bytes/workgroup (compile time only)
; SGPRBlocks: 5
; VGPRBlocks: 3
; NumSGPRsForWavesPerEU: 44
; NumVGPRsForWavesPerEU: 27
; AccumOffset: 28
; Occupancy: 8
; WaveLimiterHint : 0
; COMPUTE_PGM_RSRC2:SCRATCH_EN: 0
; COMPUTE_PGM_RSRC2:USER_SGPR: 6
; COMPUTE_PGM_RSRC2:TRAP_HANDLER: 0
; COMPUTE_PGM_RSRC2:TGID_X_EN: 1
; COMPUTE_PGM_RSRC2:TGID_Y_EN: 0
; COMPUTE_PGM_RSRC2:TGID_Z_EN: 0
; COMPUTE_PGM_RSRC2:TIDIG_COMP_CNT: 0
; COMPUTE_PGM_RSRC3_GFX90A:ACCUM_OFFSET: 6
; COMPUTE_PGM_RSRC3_GFX90A:TG_SPLIT: 0
	.section	.text._ZN5aiter24add_rmsnorm_quant_kernelIDF16_aLi256ELi8ELb1ELb1ELb1ELi1EEEvPT0_PT_PfS4_S4_S4_diiiiiiib,"axG",@progbits,_ZN5aiter24add_rmsnorm_quant_kernelIDF16_aLi256ELi8ELb1ELb1ELb1ELi1EEEvPT0_PT_PfS4_S4_S4_diiiiiiib,comdat
	.protected	_ZN5aiter24add_rmsnorm_quant_kernelIDF16_aLi256ELi8ELb1ELb1ELb1ELi1EEEvPT0_PT_PfS4_S4_S4_diiiiiiib ; -- Begin function _ZN5aiter24add_rmsnorm_quant_kernelIDF16_aLi256ELi8ELb1ELb1ELb1ELi1EEEvPT0_PT_PfS4_S4_S4_diiiiiiib
	.globl	_ZN5aiter24add_rmsnorm_quant_kernelIDF16_aLi256ELi8ELb1ELb1ELb1ELi1EEEvPT0_PT_PfS4_S4_S4_diiiiiiib
	.p2align	8
	.type	_ZN5aiter24add_rmsnorm_quant_kernelIDF16_aLi256ELi8ELb1ELb1ELb1ELi1EEEvPT0_PT_PfS4_S4_S4_diiiiiiib,@function
_ZN5aiter24add_rmsnorm_quant_kernelIDF16_aLi256ELi8ELb1ELb1ELb1ELi1EEEvPT0_PT_PfS4_S4_S4_diiiiiiib: ; @_ZN5aiter24add_rmsnorm_quant_kernelIDF16_aLi256ELi8ELb1ELb1ELb1ELi1EEEvPT0_PT_PfS4_S4_S4_diiiiiiib
; %bb.0:
	s_load_dwordx8 s[8:15], s[4:5], 0x38
	s_mov_b32 s7, 0
	s_waitcnt lgkmcnt(0)
	s_ashr_i32 s0, s8, 31
	v_mov_b32_e32 v2, s8
	v_mov_b32_e32 v3, s0
	v_cmp_ge_i64_e32 vcc, s[6:7], v[2:3]
	s_cbranch_vccnz .LBB41_49
; %bb.1:
	s_load_dwordx8 s[16:23], s[4:5], 0x0
	s_load_dwordx8 s[24:31], s[4:5], 0x20
	s_ashr_i32 s0, s10, 31
	s_mul_hi_u32 s1, s10, s6
	s_mul_i32 s0, s0, s6
	s_add_i32 s1, s1, s0
	s_mul_i32 s0, s10, s6
	s_lshl_b64 s[0:1], s[0:1], 1
	s_waitcnt lgkmcnt(0)
	s_add_u32 s0, s22, s0
	s_addc_u32 s1, s23, s1
	s_add_i32 s2, s9, 1
	s_lshr_b32 s3, s2, 31
	s_add_i32 s2, s2, s3
	s_lshl_b32 s2, s2, 1
	s_and_b32 s2, s2, -4
	s_and_b32 s1, s1, 0xffff
	s_mov_b32 s3, 0x20000
	v_lshlrev_b32_e32 v1, 4, v0
	buffer_load_dwordx4 v[6:9], v1, s[0:3], 0 offen glc slc
	s_ashr_i32 s0, s11, 31
	s_mul_hi_u32 s1, s11, s6
	s_mul_i32 s0, s0, s6
	s_add_i32 s1, s1, s0
	s_mul_i32 s0, s11, s6
	s_and_b32 s37, s27, 0xffff
	s_lshl_b64 s[0:1], s[0:1], 1
	s_add_u32 s0, s24, s0
	s_addc_u32 s1, s25, s1
	s_and_b32 s1, s1, 0xffff
	buffer_load_dwordx4 v[10:13], v1, s[0:3], 0 offen glc slc
	s_mov_b32 s39, s3
	s_mov_b32 s36, s26
	;; [unrolled: 1-line block ×3, first 2 shown]
	buffer_load_dwordx4 v[2:5], v1, s[36:39], 0 offen
	s_ashr_i32 s4, s12, 31
	s_mul_hi_u32 s1, s12, s6
	s_mul_i32 s4, s4, s6
	s_mul_i32 s0, s12, s6
	s_add_i32 s1, s1, s4
	s_lshl_b64 s[0:1], s[0:1], 1
	s_add_u32 s0, s18, s0
	s_addc_u32 s1, s19, s1
	s_and_b32 s1, s1, 0xffff
	v_and_b32_e32 v24, 63, v0
	s_waitcnt vmcnt(2)
	v_cvt_f32_f16_e32 v14, v6
	v_cvt_f32_f16_sdwa v15, v6 dst_sel:DWORD dst_unused:UNUSED_PAD src0_sel:WORD_1
	v_cvt_f32_f16_e32 v6, v7
	v_cvt_f32_f16_sdwa v7, v7 dst_sel:DWORD dst_unused:UNUSED_PAD src0_sel:WORD_1
	;; [unrolled: 2-line block ×4, first 2 shown]
	s_waitcnt vmcnt(1)
	v_cvt_f32_f16_e32 v8, v10
	v_cvt_f32_f16_sdwa v9, v10 dst_sel:DWORD dst_unused:UNUSED_PAD src0_sel:WORD_1
	v_cvt_f32_f16_e32 v10, v11
	v_cvt_f32_f16_sdwa v11, v11 dst_sel:DWORD dst_unused:UNUSED_PAD src0_sel:WORD_1
	;; [unrolled: 2-line block ×4, first 2 shown]
	v_pk_add_f32 v[12:13], v[14:15], v[8:9]
	v_pk_add_f32 v[10:11], v[6:7], v[10:11]
	v_pk_add_f32 v[8:9], v[16:17], v[20:21]
	v_pk_add_f32 v[6:7], v[18:19], v[22:23]
	v_cvt_f16_f32_e32 v22, v13
	v_cvt_f16_f32_e32 v23, v12
	v_cvt_f16_f32_e32 v25, v11
	v_cvt_f16_f32_e32 v26, v10
	v_cvt_f16_f32_e32 v27, v9
	v_cvt_f16_f32_e32 v28, v8
	v_cvt_f16_f32_e32 v29, v7
	v_cvt_f16_f32_e32 v30, v6
	v_pk_mul_f32 v[14:15], v[12:13], v[12:13]
	v_pk_mul_f32 v[16:17], v[10:11], v[10:11]
	v_add_f32_e32 v14, v14, v15
	v_add_f32_e32 v14, v16, v14
	v_pk_mul_f32 v[18:19], v[8:9], v[8:9]
	v_add_f32_e32 v31, v17, v14
	v_pack_b32_f16 v17, v30, v29
	v_pack_b32_f16 v16, v28, v27
	;; [unrolled: 1-line block ×4, first 2 shown]
	v_add_f32_e32 v18, v18, v31
	v_pk_mul_f32 v[20:21], v[6:7], v[6:7]
	buffer_store_dwordx4 v[14:17], v1, s[0:3], 0 offen glc slc
	v_add_f32_e32 v1, v19, v18
	v_add_f32_e32 v1, v20, v1
	;; [unrolled: 1-line block ×3, first 2 shown]
	v_cmp_eq_u32_e64 s[0:1], 63, v24
	;;#ASMSTART
	s_nop 0
	;;#ASMEND
	s_nop 0
	v_mov_b32_dpp v14, v1 quad_perm:[1,0,3,2] row_mask:0xf bank_mask:0xf
	v_add_f32_e32 v1, v1, v14
	s_nop 1
	v_mov_b32_dpp v14, v1 quad_perm:[2,3,0,1] row_mask:0xf bank_mask:0xf
	v_add_f32_e32 v1, v1, v14
	s_nop 1
	v_mov_b32_dpp v14, v1 row_half_mirror row_mask:0xf bank_mask:0xf
	v_add_f32_e32 v1, v1, v14
	s_nop 1
	v_mov_b32_dpp v14, v1 row_mirror row_mask:0xf bank_mask:0xf
	v_add_f32_e32 v1, v1, v14
	s_nop 1
	v_mov_b32_dpp v14, v1 row_bcast:15 row_mask:0xf bank_mask:0xf
	v_add_f32_e32 v1, v1, v14
	s_nop 1
	v_mov_b32_dpp v14, v1 row_bcast:31 row_mask:0xf bank_mask:0xf
	s_and_saveexec_b64 s[2:3], s[0:1]
	s_cbranch_execz .LBB41_3
; %bb.2:
	v_lshrrev_b32_e32 v15, 4, v0
	v_and_b32_e32 v15, 60, v15
	v_add_f32_e32 v1, v1, v14
	ds_write_b32 v15, v1 offset:16
.LBB41_3:
	s_or_b64 exec, exec, s[2:3]
	v_and_b32_e32 v1, 3, v0
	v_lshlrev_b32_e32 v14, 2, v1
	s_waitcnt lgkmcnt(0)
	s_barrier
	ds_read_b32 v1, v14 offset:16
	v_cvt_f32_i32_e32 v15, s9
	s_waitcnt vmcnt(1)
	v_cvt_f32_f16_sdwa v21, v3 dst_sel:DWORD dst_unused:UNUSED_PAD src0_sel:WORD_1
	v_cvt_f32_f16_sdwa v23, v5 dst_sel:DWORD dst_unused:UNUSED_PAD src0_sel:WORD_1
	v_cvt_f32_f16_e32 v22, v5
	s_waitcnt lgkmcnt(0)
	v_mov_b32_dpp v16, v1 quad_perm:[1,0,3,2] row_mask:0xf bank_mask:0xf
	v_add_f32_e32 v1, v1, v16
	s_cmp_lg_u32 s14, 0
	s_nop 0
	v_mov_b32_dpp v16, v1 quad_perm:[2,3,0,1] row_mask:0xf bank_mask:0xf
	v_add_f32_e32 v1, v1, v16
	v_div_scale_f32 v16, s[2:3], v15, v15, v1
	v_rcp_f32_e32 v17, v16
	v_div_scale_f32 v18, vcc, v1, v15, v1
	s_mov_b32 s2, 0x800000
	v_fma_f32 v19, -v16, v17, 1.0
	v_fmac_f32_e32 v17, v19, v17
	v_mul_f32_e32 v19, v18, v17
	v_fma_f32 v20, -v16, v19, v18
	v_fmac_f32_e32 v19, v20, v17
	v_fma_f32 v16, -v16, v19, v18
	v_div_fmas_f32 v16, v16, v17, v19
	v_div_fixup_f32 v1, v16, v15, v1
	v_cvt_f64_f32_e32 v[16:17], v1
	v_add_f64 v[16:17], v[16:17], s[28:29]
	v_cvt_f32_f64_e32 v1, v[16:17]
	v_mul_f32_e32 v15, 0x4b800000, v1
	v_cmp_gt_f32_e32 vcc, s2, v1
	v_cndmask_b32_e32 v1, v1, v15, vcc
	v_rsq_f32_e32 v15, v1
	v_cvt_f32_f16_e32 v20, v3
	v_cvt_f32_f16_sdwa v3, v4 dst_sel:DWORD dst_unused:UNUSED_PAD src0_sel:WORD_1
	v_lshlrev_b32_e32 v1, 3, v0
	v_mul_f32_e32 v16, 0x45800000, v15
	v_cndmask_b32_e32 v16, v15, v16, vcc
	v_mov_b32_e32 v17, v16
	;;#ASMSTART
	v_pk_mul_f32 v[12:13], v[12:13], v[16:17]
	;;#ASMEND
	;;#ASMSTART
	v_pk_mul_f32 v[10:11], v[10:11], v[16:17]
	;;#ASMEND
	;; [unrolled: 3-line block ×4, first 2 shown]
	v_cvt_f32_f16_sdwa v7, v2 dst_sel:DWORD dst_unused:UNUSED_PAD src0_sel:WORD_1
	v_cvt_f32_f16_e32 v6, v2
	v_cvt_f32_f16_e32 v2, v4
	;;#ASMSTART
	v_pk_mul_f32 v[8:9], v[12:13], v[6:7]
	;;#ASMEND
	;;#ASMSTART
	v_pk_mul_f32 v[6:7], v[10:11], v[20:21]
	;;#ASMEND
	v_and_b32_e32 v10, 0x7fffffff, v8
	v_mov_b32_e32 v12, 0x2edbe6ff
	;;#ASMSTART
	v_pk_mul_f32 v[4:5], v[18:19], v[2:3]
	;;#ASMEND
	;;#ASMSTART
	v_pk_mul_f32 v[2:3], v[16:17], v[22:23]
	;;#ASMEND
	v_and_b32_e32 v11, 0x7fffffff, v9
	;;#ASMSTART
	v_max3_f32 v10, v12, v10, v11

	;;#ASMEND
	v_and_b32_e32 v12, 0x7fffffff, v7
	v_and_b32_e32 v11, 0x7fffffff, v6
	;;#ASMSTART
	v_max3_f32 v10, v10, v11, v12

	;;#ASMEND
	v_and_b32_e32 v12, 0x7fffffff, v5
	;; [unrolled: 6-line block ×3, first 2 shown]
	v_and_b32_e32 v11, 0x7fffffff, v2
	;;#ASMSTART
	v_max3_f32 v12, v10, v11, v12

	;;#ASMEND
	s_cbranch_scc0 .LBB41_10
; %bb.4:
	s_ashr_i32 s12, s14, 31
	s_lshr_b32 s2, s12, 29
	s_add_i32 s2, s14, s2
	s_ashr_i32 s10, s2, 3
	s_cmp_lt_i32 s10, 16
	s_cbranch_scc1 .LBB41_11
; %bb.5:
	s_cmp_lt_i32 s10, 32
	s_cbranch_scc1 .LBB41_12
; %bb.6:
	;; [unrolled: 3-line block ×3, first 2 shown]
	s_cmp_eq_u32 s10, 64
	v_mov_b32_e32 v10, v12
	s_cbranch_scc0 .LBB41_9
; %bb.8:
	s_nop 0
	v_mov_b32_dpp v10, v12 quad_perm:[1,0,3,2] row_mask:0xf bank_mask:0xf
	v_cmp_gt_f32_e32 vcc, v12, v10
	v_cndmask_b32_e32 v10, v10, v12, vcc
	v_bfrev_b32_e32 v13, 0.5
	s_nop 0
	v_mov_b32_dpp v11, v10 quad_perm:[2,3,0,1] row_mask:0xf bank_mask:0xf
	v_cmp_gt_f32_e32 vcc, v10, v11
	v_cndmask_b32_e32 v10, v11, v10, vcc
	s_nop 1
	v_mov_b32_dpp v11, v10 row_ror:4 row_mask:0xf bank_mask:0xf
	v_cmp_gt_f32_e32 vcc, v10, v11
	v_cndmask_b32_e32 v10, v11, v10, vcc
	s_nop 1
	v_mov_b32_dpp v11, v10 row_ror:8 row_mask:0xf bank_mask:0xf
	v_cmp_gt_f32_e32 vcc, v10, v11
	v_cndmask_b32_e32 v10, v11, v10, vcc
	s_nop 1
	v_mov_b32_dpp v11, v10 row_bcast:15 row_mask:0xf bank_mask:0xf
	v_cmp_gt_f32_e32 vcc, v10, v11
	v_cndmask_b32_e32 v10, v11, v10, vcc
	s_nop 1
	v_mov_b32_dpp v11, v10 row_bcast:31 row_mask:0xf bank_mask:0xf
	v_cmp_gt_f32_e32 vcc, v10, v11
	v_cndmask_b32_e32 v10, v11, v10, vcc
	v_mbcnt_lo_u32_b32 v11, -1, 0
	v_mbcnt_hi_u32_b32 v11, -1, v11
	v_lshl_or_b32 v11, v11, 2, v13
	ds_bpermute_b32 v10, v11, v10
.LBB41_9:
	s_mov_b64 s[2:3], 0
	s_branch .LBB41_14
.LBB41_10:
	s_mov_b64 s[2:3], 0
                                        ; implicit-def: $vgpr13
                                        ; implicit-def: $vgpr10_vgpr11
	s_cbranch_execnz .LBB41_43
	s_branch .LBB41_46
.LBB41_11:
                                        ; implicit-def: $vgpr10
	s_branch .LBB41_21
.LBB41_12:
                                        ; implicit-def: $vgpr10
	s_branch .LBB41_18
.LBB41_13:
	s_mov_b64 s[2:3], -1
                                        ; implicit-def: $vgpr10
.LBB41_14:
	s_andn2_b64 vcc, exec, s[2:3]
	s_cbranch_vccnz .LBB41_17
; %bb.15:
	s_cmp_eq_u32 s10, 32
	s_waitcnt lgkmcnt(0)
	v_mov_b32_e32 v10, v12
	s_cbranch_scc0 .LBB41_17
; %bb.16:
	s_nop 0
	v_mov_b32_dpp v10, v12 quad_perm:[1,0,3,2] row_mask:0xf bank_mask:0xf
	v_cmp_gt_f32_e32 vcc, v12, v10
	v_cndmask_b32_e32 v10, v10, v12, vcc
	v_mov_b32_e32 v13, 0x7c
	s_nop 0
	v_mov_b32_dpp v11, v10 quad_perm:[2,3,0,1] row_mask:0xf bank_mask:0xf
	v_cmp_gt_f32_e32 vcc, v10, v11
	v_cndmask_b32_e32 v10, v11, v10, vcc
	s_nop 1
	v_mov_b32_dpp v11, v10 row_half_mirror row_mask:0xf bank_mask:0xf
	v_cmp_gt_f32_e32 vcc, v10, v11
	v_cndmask_b32_e32 v10, v11, v10, vcc
	s_nop 1
	v_mov_b32_dpp v11, v10 row_mirror row_mask:0xf bank_mask:0xf
	v_cmp_gt_f32_e32 vcc, v10, v11
	v_cndmask_b32_e32 v10, v11, v10, vcc
	s_nop 1
	v_mov_b32_dpp v11, v10 row_bcast:15 row_mask:0xa bank_mask:0xf
	v_cmp_gt_f32_e32 vcc, v10, v11
	v_cndmask_b32_e32 v10, v11, v10, vcc
	v_mbcnt_lo_u32_b32 v11, -1, 0
	v_mbcnt_hi_u32_b32 v11, -1, v11
	v_lshl_or_b32 v11, v11, 2, v13
	ds_bpermute_b32 v10, v11, v10
.LBB41_17:
	s_cbranch_execnz .LBB41_20
.LBB41_18:
	s_cmp_eq_u32 s10, 16
	s_waitcnt lgkmcnt(0)
	v_mov_b32_e32 v10, v12
	s_cbranch_scc0 .LBB41_20
; %bb.19:
	s_nop 0
	v_mov_b32_dpp v10, v12 quad_perm:[1,0,3,2] row_mask:0xf bank_mask:0xf
	v_cmp_gt_f32_e32 vcc, v12, v10
	v_cndmask_b32_e32 v10, v10, v12, vcc
	s_nop 1
	v_mov_b32_dpp v11, v10 quad_perm:[2,3,0,1] row_mask:0xf bank_mask:0xf
	v_cmp_gt_f32_e32 vcc, v10, v11
	v_cndmask_b32_e32 v10, v11, v10, vcc
	s_nop 1
	v_mov_b32_dpp v11, v10 row_half_mirror row_mask:0xf bank_mask:0xf
	v_cmp_gt_f32_e32 vcc, v10, v11
	v_cndmask_b32_e32 v10, v11, v10, vcc
	s_nop 1
	v_mov_b32_dpp v11, v10 row_mirror row_mask:0xf bank_mask:0xf
	v_cmp_gt_f32_e32 vcc, v10, v11
	v_cndmask_b32_e32 v10, v11, v10, vcc
.LBB41_20:
	s_cbranch_execnz .LBB41_33
.LBB41_21:
	s_cmp_lt_i32 s10, 4
	s_cbranch_scc1 .LBB41_25
; %bb.22:
	s_cmp_lt_i32 s10, 8
	s_cbranch_scc1 .LBB41_26
; %bb.23:
	s_cmp_eq_u32 s10, 8
	s_waitcnt lgkmcnt(0)
	v_mov_b32_e32 v10, v12
	s_cbranch_scc0 .LBB41_27
; %bb.24:
	s_nop 0
	v_mov_b32_dpp v10, v12 quad_perm:[1,0,3,2] row_mask:0xf bank_mask:0xf
	v_cmp_gt_f32_e32 vcc, v12, v10
	v_cndmask_b32_e32 v10, v10, v12, vcc
	s_nop 1
	v_mov_b32_dpp v11, v10 quad_perm:[2,3,0,1] row_mask:0xf bank_mask:0xf
	v_cmp_gt_f32_e32 vcc, v10, v11
	v_cndmask_b32_e32 v10, v11, v10, vcc
	s_nop 1
	v_mov_b32_dpp v11, v10 row_half_mirror row_mask:0xf bank_mask:0xf
	v_cmp_gt_f32_e32 vcc, v10, v11
	v_cndmask_b32_e32 v10, v11, v10, vcc
	s_cbranch_execz .LBB41_28
	s_branch .LBB41_30
.LBB41_25:
                                        ; implicit-def: $vgpr10
	s_branch .LBB41_31
.LBB41_26:
                                        ; implicit-def: $vgpr10
	s_branch .LBB41_28
.LBB41_27:
	s_cbranch_execnz .LBB41_30
.LBB41_28:
	s_cmp_eq_u32 s10, 4
	s_waitcnt lgkmcnt(0)
	v_mov_b32_e32 v10, v12
	s_cbranch_scc0 .LBB41_30
; %bb.29:
	s_nop 0
	v_mov_b32_dpp v10, v12 quad_perm:[1,0,3,2] row_mask:0xf bank_mask:0xf
	v_cmp_gt_f32_e32 vcc, v12, v10
	v_cndmask_b32_e32 v10, v10, v12, vcc
	s_nop 1
	v_mov_b32_dpp v11, v10 quad_perm:[2,3,0,1] row_mask:0xf bank_mask:0xf
	v_cmp_gt_f32_e32 vcc, v10, v11
	v_cndmask_b32_e32 v10, v11, v10, vcc
.LBB41_30:
	s_cbranch_execnz .LBB41_33
.LBB41_31:
	s_cmp_lg_u32 s10, 2
	s_waitcnt lgkmcnt(0)
	v_mov_b32_e32 v10, v12
	s_cbranch_scc1 .LBB41_33
; %bb.32:
	s_nop 0
	v_mov_b32_dpp v10, v12 quad_perm:[1,0,3,2] row_mask:0xf bank_mask:0xf
	v_cmp_gt_f32_e32 vcc, v12, v10
	v_cndmask_b32_e32 v10, v10, v12, vcc
.LBB41_33:
	v_cvt_f32_u32_e32 v11, s10
	s_waitcnt lgkmcnt(0)
	v_mul_f32_e32 v13, 0x3c010204, v10
	s_sub_i32 s2, 0, s10
	v_cmp_gt_u32_e32 vcc, s9, v1
	v_rcp_iflag_f32_e32 v11, v11
	s_mov_b64 s[4:5], 0
	v_mul_f32_e32 v10, 0x4f7ffffe, v11
	v_cvt_u32_f32_e32 v10, v10
	v_mul_lo_u32 v11, s2, v10
	v_mul_hi_u32 v11, v10, v11
	v_add_u32_e32 v10, v10, v11
	v_mul_hi_u32 v10, v0, v10
	v_mul_lo_u32 v11, v10, s10
	v_sub_u32_e32 v11, v0, v11
	v_add_u32_e32 v15, 1, v10
	v_cmp_le_u32_e64 s[2:3], s10, v11
	v_cndmask_b32_e64 v10, v10, v15, s[2:3]
	v_subrev_u32_e32 v15, s10, v11
	v_cndmask_b32_e64 v11, v11, v15, s[2:3]
	v_add_u32_e32 v15, 1, v10
	v_cmp_le_u32_e64 s[2:3], s10, v11
	v_cndmask_b32_e64 v15, v10, v15, s[2:3]
	v_mul_lo_u32 v10, v15, s10
	v_sub_u32_e32 v10, v0, v10
	v_cmp_eq_u32_e64 s[2:3], 0, v10
	s_and_b64 s[10:11], s[2:3], vcc
	s_mov_b64 s[2:3], 0
                                        ; implicit-def: $vgpr10_vgpr11
	s_and_saveexec_b64 s[18:19], s[10:11]
	s_xor_b64 s[10:11], exec, s[18:19]
	s_cbranch_execz .LBB41_42
; %bb.34:
	s_bitcmp0_b32 s15, 0
	s_cbranch_scc0 .LBB41_39
; %bb.35:
	s_ashr_i32 s2, s9, 31
	s_mul_hi_u32 s3, s9, s6
	s_mul_i32 s2, s2, s6
	s_add_i32 s19, s3, s2
	s_mul_i32 s18, s9, s6
	s_mov_b32 s15, s12
	s_or_b64 s[2:3], s[18:19], s[14:15]
	s_mov_b32 s2, 0
	s_cmp_lg_u64 s[2:3], 0
	s_cbranch_scc0 .LBB41_50
; %bb.36:
	s_add_u32 s2, s14, s15
	s_mov_b32 s24, s15
	s_mov_b32 s25, s15
	s_addc_u32 s3, s15, s15
	s_xor_b64 s[26:27], s[2:3], s[24:25]
	v_cvt_f32_u32_e32 v10, s26
	v_cvt_f32_u32_e32 v11, s27
	s_sub_u32 s2, 0, s26
	s_subb_u32 s3, 0, s27
	v_madmk_f32 v10, v11, 0x4f800000, v10
	v_rcp_f32_e32 v10, v10
	v_mul_f32_e32 v10, 0x5f7ffffc, v10
	v_mul_f32_e32 v11, 0x2f800000, v10
	v_trunc_f32_e32 v11, v11
	v_madmk_f32 v10, v11, 0xcf800000, v10
	v_cvt_u32_f32_e32 v11, v11
	v_cvt_u32_f32_e32 v10, v10
	v_readfirstlane_b32 s12, v11
	v_readfirstlane_b32 s15, v10
	s_mul_i32 s28, s2, s12
	s_mul_hi_u32 s30, s2, s15
	s_mul_i32 s29, s3, s15
	s_add_i32 s28, s30, s28
	s_add_i32 s28, s28, s29
	s_mul_i32 s31, s2, s15
	s_mul_hi_u32 s29, s15, s28
	s_mul_i32 s30, s15, s28
	s_mul_hi_u32 s15, s15, s31
	s_add_u32 s15, s15, s30
	s_addc_u32 s29, 0, s29
	s_mul_hi_u32 s33, s12, s31
	s_mul_i32 s31, s12, s31
	s_add_u32 s15, s15, s31
	s_mul_hi_u32 s30, s12, s28
	s_addc_u32 s15, s29, s33
	s_addc_u32 s29, s30, 0
	s_mul_i32 s28, s12, s28
	s_add_u32 s15, s15, s28
	s_addc_u32 s28, 0, s29
	v_add_co_u32_e32 v10, vcc, s15, v10
	s_cmp_lg_u64 vcc, 0
	s_addc_u32 s12, s12, s28
	v_readfirstlane_b32 s28, v10
	s_mul_i32 s15, s2, s12
	s_mul_hi_u32 s29, s2, s28
	s_add_i32 s15, s29, s15
	s_mul_i32 s3, s3, s28
	s_add_i32 s15, s15, s3
	s_mul_i32 s2, s2, s28
	s_mul_hi_u32 s29, s12, s2
	s_mul_i32 s30, s12, s2
	s_mul_i32 s33, s28, s15
	s_mul_hi_u32 s2, s28, s2
	s_mul_hi_u32 s31, s28, s15
	s_add_u32 s2, s2, s33
	s_addc_u32 s28, 0, s31
	s_add_u32 s2, s2, s30
	s_mul_hi_u32 s3, s12, s15
	s_addc_u32 s2, s28, s29
	s_addc_u32 s3, s3, 0
	s_mul_i32 s15, s12, s15
	s_add_u32 s2, s2, s15
	s_addc_u32 s3, 0, s3
	v_add_co_u32_e32 v10, vcc, s2, v10
	s_cmp_lg_u64 vcc, 0
	s_addc_u32 s12, s12, s3
	s_ashr_i32 s28, s19, 31
	s_add_u32 s2, s18, s28
	s_mov_b32 s29, s28
	s_addc_u32 s3, s19, s28
	s_xor_b64 s[30:31], s[2:3], s[28:29]
	v_readfirstlane_b32 s15, v10
	s_mul_i32 s3, s30, s12
	s_mul_hi_u32 s19, s30, s15
	s_mul_hi_u32 s2, s30, s12
	s_add_u32 s3, s19, s3
	s_addc_u32 s2, 0, s2
	s_mul_hi_u32 s33, s31, s15
	s_mul_i32 s15, s31, s15
	s_add_u32 s3, s3, s15
	s_mul_hi_u32 s19, s31, s12
	s_addc_u32 s2, s2, s33
	s_addc_u32 s3, s19, 0
	s_mul_i32 s12, s31, s12
	s_add_u32 s12, s2, s12
	s_addc_u32 s15, 0, s3
	s_mul_i32 s2, s26, s15
	s_mul_hi_u32 s3, s26, s12
	s_add_i32 s2, s3, s2
	s_mul_i32 s3, s27, s12
	s_add_i32 s19, s2, s3
	s_mul_i32 s3, s26, s12
	v_mov_b32_e32 v10, s3
	s_sub_i32 s2, s31, s19
	v_sub_co_u32_e32 v10, vcc, s30, v10
	s_cmp_lg_u64 vcc, 0
	s_subb_u32 s30, s2, s27
	v_subrev_co_u32_e64 v11, s[2:3], s26, v10
	s_cmp_lg_u64 s[2:3], 0
	s_subb_u32 s30, s30, 0
	s_cmp_ge_u32 s30, s27
	s_cselect_b32 s33, -1, 0
	v_cmp_le_u32_e64 s[2:3], s26, v11
	s_cmp_eq_u32 s30, s27
	v_cndmask_b32_e64 v11, 0, -1, s[2:3]
	v_mov_b32_e32 v16, s33
	s_cselect_b64 s[2:3], -1, 0
	v_cndmask_b32_e64 v11, v16, v11, s[2:3]
	s_add_u32 s2, s12, 1
	s_addc_u32 s30, s15, 0
	s_add_u32 s3, s12, 2
	s_addc_u32 s33, s15, 0
	v_mov_b32_e32 v16, s2
	v_mov_b32_e32 v17, s3
	v_cmp_ne_u32_e64 s[2:3], 0, v11
	v_cndmask_b32_e64 v11, v16, v17, s[2:3]
	v_mov_b32_e32 v16, s30
	v_mov_b32_e32 v17, s33
	s_cmp_lg_u64 vcc, 0
	v_cndmask_b32_e64 v16, v16, v17, s[2:3]
	s_subb_u32 s2, s31, s19
	s_cmp_ge_u32 s2, s27
	s_cselect_b32 s3, -1, 0
	v_cmp_le_u32_e32 vcc, s26, v10
	s_cmp_eq_u32 s2, s27
	v_cndmask_b32_e64 v10, 0, -1, vcc
	v_mov_b32_e32 v17, s3
	s_cselect_b64 vcc, -1, 0
	v_cndmask_b32_e32 v10, v17, v10, vcc
	v_mov_b32_e32 v17, s15
	v_cmp_ne_u32_e32 vcc, 0, v10
	v_cndmask_b32_e32 v10, v17, v16, vcc
	v_mov_b32_e32 v16, s12
	v_cndmask_b32_e32 v11, v16, v11, vcc
	s_xor_b64 s[2:3], s[28:29], s[24:25]
	v_xor_b32_e32 v11, s2, v11
	v_xor_b32_e32 v16, s3, v10
	v_mov_b32_e32 v17, s3
	v_subrev_co_u32_e32 v10, vcc, s2, v11
	v_subb_co_u32_e32 v11, vcc, v16, v17, vcc
	s_cbranch_execnz .LBB41_38
.LBB41_37:
	v_cvt_f32_u32_e32 v10, s14
	s_sub_i32 s2, 0, s14
	s_mov_b32 s3, 0
	v_rcp_iflag_f32_e32 v10, v10
	v_mul_f32_e32 v10, 0x4f7ffffe, v10
	v_cvt_u32_f32_e32 v10, v10
	v_readfirstlane_b32 s12, v10
	s_mul_i32 s2, s2, s12
	s_mul_hi_u32 s2, s12, s2
	s_add_i32 s12, s12, s2
	s_mul_hi_u32 s2, s18, s12
	s_mul_i32 s15, s2, s14
	s_sub_i32 s15, s18, s15
	s_add_i32 s12, s2, 1
	s_sub_i32 s18, s15, s14
	s_cmp_ge_u32 s15, s14
	s_cselect_b32 s2, s12, s2
	s_cselect_b32 s15, s18, s15
	s_add_i32 s12, s2, 1
	s_cmp_ge_u32 s15, s14
	s_cselect_b32 s2, s12, s2
	v_pk_mov_b32 v[10:11], s[2:3], s[2:3] op_sel:[0,1]
.LBB41_38:
	v_add_co_u32_e32 v10, vcc, v10, v15
	v_addc_co_u32_e32 v11, vcc, 0, v11, vcc
	s_branch .LBB41_41
.LBB41_39:
                                        ; implicit-def: $vgpr10_vgpr11
	s_cbranch_execz .LBB41_41
; %bb.40:
	v_mul_lo_u32 v10, v15, s8
	v_ashrrev_i32_e32 v11, 31, v10
	v_mov_b32_e32 v15, s7
	v_add_co_u32_e32 v10, vcc, s6, v10
	v_addc_co_u32_e32 v11, vcc, v11, v15, vcc
.LBB41_41:
	s_mov_b64 s[2:3], exec
.LBB41_42:
	s_or_b64 exec, exec, s[10:11]
	s_and_b64 vcc, exec, s[4:5]
	s_cbranch_vccz .LBB41_46
.LBB41_43:
	v_mov_b32_dpp v10, v12 quad_perm:[1,0,3,2] row_mask:0xf bank_mask:0xf
	v_cmp_gt_f32_e32 vcc, v12, v10
	v_cndmask_b32_e32 v10, v10, v12, vcc
	s_nop 1
	v_mov_b32_dpp v11, v10 quad_perm:[2,3,0,1] row_mask:0xf bank_mask:0xf
	v_cmp_gt_f32_e32 vcc, v10, v11
	v_cndmask_b32_e32 v10, v11, v10, vcc
	s_nop 1
	v_mov_b32_dpp v11, v10 row_half_mirror row_mask:0xf bank_mask:0xf
	v_cmp_gt_f32_e32 vcc, v10, v11
	v_cndmask_b32_e32 v10, v11, v10, vcc
	s_nop 1
	v_mov_b32_dpp v11, v10 row_mirror row_mask:0xf bank_mask:0xf
	v_cmp_gt_f32_e32 vcc, v10, v11
	v_cndmask_b32_e32 v10, v11, v10, vcc
	s_nop 1
	v_mov_b32_dpp v11, v10 row_bcast:15 row_mask:0xf bank_mask:0xf
	v_cmp_gt_f32_e32 vcc, v10, v11
	v_cndmask_b32_e32 v10, v11, v10, vcc
	s_nop 1
	v_mov_b32_dpp v11, v10 row_bcast:31 row_mask:0xf bank_mask:0xf
	s_and_saveexec_b64 s[2:3], s[0:1]
	s_cbranch_execz .LBB41_45
; %bb.44:
	v_lshrrev_b32_e32 v12, 4, v0
	v_cmp_gt_f32_e32 vcc, v10, v11
	v_and_b32_e32 v12, 60, v12
	v_cndmask_b32_e32 v10, v11, v10, vcc
	ds_write_b32 v12, v10
.LBB41_45:
	s_or_b64 exec, exec, s[2:3]
	s_waitcnt lgkmcnt(0)
	s_barrier
	ds_read_b32 v10, v14
	v_cmp_eq_u32_e64 s[2:3], 0, v0
	s_waitcnt lgkmcnt(0)
	v_mov_b32_dpp v11, v10 quad_perm:[1,0,3,2] row_mask:0xf bank_mask:0xf
	v_cmp_gt_f32_e32 vcc, v10, v11
	v_cndmask_b32_e32 v10, v11, v10, vcc
	s_nop 1
	v_mov_b32_dpp v11, v10 quad_perm:[2,3,0,1] row_mask:0xf bank_mask:0xf
	v_cmp_gt_f32_e32 vcc, v10, v11
	v_cndmask_b32_e32 v10, v11, v10, vcc
	v_mul_f32_e32 v13, 0x3c010204, v10
	v_pk_mov_b32 v[10:11], s[6:7], s[6:7] op_sel:[0,1]
.LBB41_46:
	s_and_saveexec_b64 s[0:1], s[2:3]
	s_cbranch_execz .LBB41_48
; %bb.47:
	v_lshlrev_b64 v[10:11], 2, v[10:11]
	v_mov_b32_e32 v0, s21
	v_add_co_u32_e32 v10, vcc, s20, v10
	v_addc_co_u32_e32 v11, vcc, v0, v11, vcc
	global_store_dword v[10:11], v13, off
.LBB41_48:
	s_or_b64 exec, exec, s[0:1]
	s_add_i32 s0, s9, 3
	s_ashr_i32 s1, s0, 31
	s_lshr_b32 s1, s1, 30
	;;#ASMSTART
	v_rcp_f32 v10, v13
	;;#ASMEND
	v_mov_b32_e32 v11, v10
	;;#ASMSTART
	v_pk_mul_f32 v[8:9], v[8:9], v[10:11]
	;;#ASMEND
	;;#ASMSTART
	v_pk_mul_f32 v[6:7], v[6:7], v[10:11]
	;;#ASMEND
	s_add_i32 s0, s0, s1
	v_cvt_i32_f32_e32 v0, v8
	v_cvt_i32_f32_sdwa v8, v9 dst_sel:BYTE_1 dst_unused:UNUSED_PAD src0_sel:DWORD
	v_cvt_i32_f32_e32 v6, v6
	v_cvt_i32_f32_sdwa v7, v7 dst_sel:BYTE_1 dst_unused:UNUSED_PAD src0_sel:DWORD
	;;#ASMSTART
	v_pk_mul_f32 v[4:5], v[4:5], v[10:11]
	;;#ASMEND
	;;#ASMSTART
	v_pk_mul_f32 v[2:3], v[2:3], v[10:11]
	;;#ASMEND
	s_and_b32 s2, s0, -4
	s_ashr_i32 s0, s13, 31
	v_cvt_i32_f32_e32 v4, v4
	v_cvt_i32_f32_sdwa v5, v5 dst_sel:BYTE_1 dst_unused:UNUSED_PAD src0_sel:DWORD
	v_cvt_i32_f32_e32 v9, v2
	v_cvt_i32_f32_sdwa v3, v3 dst_sel:BYTE_1 dst_unused:UNUSED_PAD src0_sel:DWORD
	s_mul_hi_u32 s1, s13, s6
	s_mul_i32 s0, s0, s6
	s_add_i32 s1, s1, s0
	s_mul_i32 s0, s13, s6
	s_add_u32 s0, s16, s0
	v_or_b32_sdwa v0, v0, v8 dst_sel:DWORD dst_unused:UNUSED_PAD src0_sel:BYTE_0 src1_sel:DWORD
	v_or_b32_sdwa v2, v6, v7 dst_sel:WORD_1 dst_unused:UNUSED_PAD src0_sel:BYTE_0 src1_sel:DWORD
	s_addc_u32 s1, s17, s1
	v_or_b32_sdwa v2, v0, v2 dst_sel:DWORD dst_unused:UNUSED_PAD src0_sel:WORD_0 src1_sel:DWORD
	v_or_b32_sdwa v0, v4, v5 dst_sel:DWORD dst_unused:UNUSED_PAD src0_sel:BYTE_0 src1_sel:DWORD
	v_or_b32_sdwa v3, v9, v3 dst_sel:WORD_1 dst_unused:UNUSED_PAD src0_sel:BYTE_0 src1_sel:DWORD
	s_and_b32 s1, s1, 0xffff
	s_mov_b32 s3, 0x20000
	v_or_b32_sdwa v3, v0, v3 dst_sel:DWORD dst_unused:UNUSED_PAD src0_sel:WORD_0 src1_sel:DWORD
	buffer_store_dwordx2 v[2:3], v1, s[0:3], 0 offen
	;;#ASMSTART
	s_nop 0
	;;#ASMEND
.LBB41_49:
	s_endpgm
.LBB41_50:
                                        ; implicit-def: $vgpr10_vgpr11
	s_branch .LBB41_37
	.section	.rodata,"a",@progbits
	.p2align	6, 0x0
	.amdhsa_kernel _ZN5aiter24add_rmsnorm_quant_kernelIDF16_aLi256ELi8ELb1ELb1ELb1ELi1EEEvPT0_PT_PfS4_S4_S4_diiiiiiib
		.amdhsa_group_segment_fixed_size 32
		.amdhsa_private_segment_fixed_size 0
		.amdhsa_kernarg_size 88
		.amdhsa_user_sgpr_count 6
		.amdhsa_user_sgpr_private_segment_buffer 1
		.amdhsa_user_sgpr_dispatch_ptr 0
		.amdhsa_user_sgpr_queue_ptr 0
		.amdhsa_user_sgpr_kernarg_segment_ptr 1
		.amdhsa_user_sgpr_dispatch_id 0
		.amdhsa_user_sgpr_flat_scratch_init 0
		.amdhsa_user_sgpr_kernarg_preload_length 0
		.amdhsa_user_sgpr_kernarg_preload_offset 0
		.amdhsa_user_sgpr_private_segment_size 0
		.amdhsa_uses_dynamic_stack 0
		.amdhsa_system_sgpr_private_segment_wavefront_offset 0
		.amdhsa_system_sgpr_workgroup_id_x 1
		.amdhsa_system_sgpr_workgroup_id_y 0
		.amdhsa_system_sgpr_workgroup_id_z 0
		.amdhsa_system_sgpr_workgroup_info 0
		.amdhsa_system_vgpr_workitem_id 0
		.amdhsa_next_free_vgpr 32
		.amdhsa_next_free_sgpr 40
		.amdhsa_accum_offset 32
		.amdhsa_reserve_vcc 1
		.amdhsa_reserve_flat_scratch 0
		.amdhsa_float_round_mode_32 0
		.amdhsa_float_round_mode_16_64 0
		.amdhsa_float_denorm_mode_32 3
		.amdhsa_float_denorm_mode_16_64 3
		.amdhsa_dx10_clamp 1
		.amdhsa_ieee_mode 1
		.amdhsa_fp16_overflow 0
		.amdhsa_tg_split 0
		.amdhsa_exception_fp_ieee_invalid_op 0
		.amdhsa_exception_fp_denorm_src 0
		.amdhsa_exception_fp_ieee_div_zero 0
		.amdhsa_exception_fp_ieee_overflow 0
		.amdhsa_exception_fp_ieee_underflow 0
		.amdhsa_exception_fp_ieee_inexact 0
		.amdhsa_exception_int_div_zero 0
	.end_amdhsa_kernel
	.section	.text._ZN5aiter24add_rmsnorm_quant_kernelIDF16_aLi256ELi8ELb1ELb1ELb1ELi1EEEvPT0_PT_PfS4_S4_S4_diiiiiiib,"axG",@progbits,_ZN5aiter24add_rmsnorm_quant_kernelIDF16_aLi256ELi8ELb1ELb1ELb1ELi1EEEvPT0_PT_PfS4_S4_S4_diiiiiiib,comdat
.Lfunc_end41:
	.size	_ZN5aiter24add_rmsnorm_quant_kernelIDF16_aLi256ELi8ELb1ELb1ELb1ELi1EEEvPT0_PT_PfS4_S4_S4_diiiiiiib, .Lfunc_end41-_ZN5aiter24add_rmsnorm_quant_kernelIDF16_aLi256ELi8ELb1ELb1ELb1ELi1EEEvPT0_PT_PfS4_S4_S4_diiiiiiib
                                        ; -- End function
	.section	.AMDGPU.csdata,"",@progbits
; Kernel info:
; codeLenInByte = 3292
; NumSgprs: 44
; NumVgprs: 32
; NumAgprs: 0
; TotalNumVgprs: 32
; ScratchSize: 0
; MemoryBound: 0
; FloatMode: 240
; IeeeMode: 1
; LDSByteSize: 32 bytes/workgroup (compile time only)
; SGPRBlocks: 5
; VGPRBlocks: 3
; NumSGPRsForWavesPerEU: 44
; NumVGPRsForWavesPerEU: 32
; AccumOffset: 32
; Occupancy: 8
; WaveLimiterHint : 0
; COMPUTE_PGM_RSRC2:SCRATCH_EN: 0
; COMPUTE_PGM_RSRC2:USER_SGPR: 6
; COMPUTE_PGM_RSRC2:TRAP_HANDLER: 0
; COMPUTE_PGM_RSRC2:TGID_X_EN: 1
; COMPUTE_PGM_RSRC2:TGID_Y_EN: 0
; COMPUTE_PGM_RSRC2:TGID_Z_EN: 0
; COMPUTE_PGM_RSRC2:TIDIG_COMP_CNT: 0
; COMPUTE_PGM_RSRC3_GFX90A:ACCUM_OFFSET: 7
; COMPUTE_PGM_RSRC3_GFX90A:TG_SPLIT: 0
	.section	.text._ZN5aiter24add_rmsnorm_quant_kernelItaLi256ELi8ELb1ELb1ELb1ELi1EEEvPT0_PT_PfS4_S4_S4_diiiiiiib,"axG",@progbits,_ZN5aiter24add_rmsnorm_quant_kernelItaLi256ELi8ELb1ELb1ELb1ELi1EEEvPT0_PT_PfS4_S4_S4_diiiiiiib,comdat
	.protected	_ZN5aiter24add_rmsnorm_quant_kernelItaLi256ELi8ELb1ELb1ELb1ELi1EEEvPT0_PT_PfS4_S4_S4_diiiiiiib ; -- Begin function _ZN5aiter24add_rmsnorm_quant_kernelItaLi256ELi8ELb1ELb1ELb1ELi1EEEvPT0_PT_PfS4_S4_S4_diiiiiiib
	.globl	_ZN5aiter24add_rmsnorm_quant_kernelItaLi256ELi8ELb1ELb1ELb1ELi1EEEvPT0_PT_PfS4_S4_S4_diiiiiiib
	.p2align	8
	.type	_ZN5aiter24add_rmsnorm_quant_kernelItaLi256ELi8ELb1ELb1ELb1ELi1EEEvPT0_PT_PfS4_S4_S4_diiiiiiib,@function
_ZN5aiter24add_rmsnorm_quant_kernelItaLi256ELi8ELb1ELb1ELb1ELi1EEEvPT0_PT_PfS4_S4_S4_diiiiiiib: ; @_ZN5aiter24add_rmsnorm_quant_kernelItaLi256ELi8ELb1ELb1ELb1ELi1EEEvPT0_PT_PfS4_S4_S4_diiiiiiib
; %bb.0:
	s_load_dwordx8 s[8:15], s[4:5], 0x38
	s_mov_b32 s7, 0
	s_waitcnt lgkmcnt(0)
	s_ashr_i32 s0, s8, 31
	v_mov_b32_e32 v2, s8
	v_mov_b32_e32 v3, s0
	v_cmp_ge_i64_e32 vcc, s[6:7], v[2:3]
	s_cbranch_vccnz .LBB42_49
; %bb.1:
	s_load_dwordx8 s[16:23], s[4:5], 0x0
	s_load_dwordx8 s[24:31], s[4:5], 0x20
	s_ashr_i32 s0, s10, 31
	s_mul_hi_u32 s1, s10, s6
	s_mul_i32 s0, s0, s6
	s_add_i32 s1, s1, s0
	s_mul_i32 s0, s10, s6
	s_lshl_b64 s[0:1], s[0:1], 1
	s_waitcnt lgkmcnt(0)
	s_add_u32 s0, s22, s0
	s_addc_u32 s1, s23, s1
	s_add_i32 s2, s9, 1
	s_lshr_b32 s3, s2, 31
	s_add_i32 s2, s2, s3
	s_lshl_b32 s2, s2, 1
	s_and_b32 s2, s2, -4
	s_and_b32 s1, s1, 0xffff
	s_mov_b32 s3, 0x20000
	v_lshlrev_b32_e32 v1, 4, v0
	buffer_load_dwordx4 v[6:9], v1, s[0:3], 0 offen glc slc
	s_ashr_i32 s0, s11, 31
	s_mul_hi_u32 s1, s11, s6
	s_mul_i32 s0, s0, s6
	s_add_i32 s1, s1, s0
	s_mul_i32 s0, s11, s6
	s_and_b32 s37, s27, 0xffff
	s_lshl_b64 s[0:1], s[0:1], 1
	s_add_u32 s0, s24, s0
	s_addc_u32 s1, s25, s1
	s_and_b32 s1, s1, 0xffff
	buffer_load_dwordx4 v[10:13], v1, s[0:3], 0 offen glc slc
	s_mov_b32 s39, s3
	s_mov_b32 s36, s26
	;; [unrolled: 1-line block ×3, first 2 shown]
	buffer_load_dwordx4 v[2:5], v1, s[36:39], 0 offen
	s_ashr_i32 s5, s12, 31
	s_mul_hi_u32 s1, s12, s6
	s_mul_i32 s5, s5, s6
	s_mul_i32 s0, s12, s6
	s_add_i32 s1, s1, s5
	s_lshl_b64 s[0:1], s[0:1], 1
	s_add_u32 s0, s18, s0
	s_mov_b32 s4, 0x7060302
	s_addc_u32 s1, s19, s1
	s_and_b32 s1, s1, 0xffff
	v_and_b32_e32 v26, 63, v0
	s_waitcnt vmcnt(2)
	v_cvt_f32_u32_sdwa v15, v6 dst_sel:DWORD dst_unused:UNUSED_PAD src0_sel:WORD_1
	v_cvt_f32_u32_sdwa v14, v6 dst_sel:DWORD dst_unused:UNUSED_PAD src0_sel:WORD_0
	v_cvt_f32_u32_sdwa v17, v7 dst_sel:DWORD dst_unused:UNUSED_PAD src0_sel:WORD_1
	v_cvt_f32_u32_sdwa v16, v7 dst_sel:DWORD dst_unused:UNUSED_PAD src0_sel:WORD_0
	;; [unrolled: 2-line block ×4, first 2 shown]
	s_waitcnt vmcnt(1)
	v_cvt_f32_u32_sdwa v9, v10 dst_sel:DWORD dst_unused:UNUSED_PAD src0_sel:WORD_1
	v_cvt_f32_u32_sdwa v8, v10 dst_sel:DWORD dst_unused:UNUSED_PAD src0_sel:WORD_0
	v_cvt_f32_u32_sdwa v21, v11 dst_sel:DWORD dst_unused:UNUSED_PAD src0_sel:WORD_1
	v_cvt_f32_u32_sdwa v20, v11 dst_sel:DWORD dst_unused:UNUSED_PAD src0_sel:WORD_0
	v_cvt_f32_u32_sdwa v23, v12 dst_sel:DWORD dst_unused:UNUSED_PAD src0_sel:WORD_1
	v_cvt_f32_u32_sdwa v22, v12 dst_sel:DWORD dst_unused:UNUSED_PAD src0_sel:WORD_0
	v_cvt_f32_u32_sdwa v25, v13 dst_sel:DWORD dst_unused:UNUSED_PAD src0_sel:WORD_1
	v_cvt_f32_u32_sdwa v24, v13 dst_sel:DWORD dst_unused:UNUSED_PAD src0_sel:WORD_0
	v_pk_add_f32 v[12:13], v[14:15], v[8:9]
	v_pk_add_f32 v[10:11], v[16:17], v[20:21]
	;; [unrolled: 1-line block ×4, first 2 shown]
	v_perm_b32 v17, v7, v6, s4
	v_perm_b32 v16, v9, v8, s4
	;; [unrolled: 1-line block ×4, first 2 shown]
	v_pk_mul_f32 v[18:19], v[12:13], v[12:13]
	v_pk_mul_f32 v[20:21], v[10:11], v[10:11]
	buffer_store_dwordx4 v[14:17], v1, s[0:3], 0 offen glc slc
	v_add_f32_e32 v1, v18, v19
	v_add_f32_e32 v1, v20, v1
	v_pk_mul_f32 v[22:23], v[8:9], v[8:9]
	v_add_f32_e32 v1, v21, v1
	v_add_f32_e32 v1, v22, v1
	v_pk_mul_f32 v[24:25], v[6:7], v[6:7]
	v_add_f32_e32 v1, v23, v1
	v_add_f32_e32 v1, v24, v1
	;; [unrolled: 1-line block ×3, first 2 shown]
	v_cmp_eq_u32_e64 s[0:1], 63, v26
	;;#ASMSTART
	s_nop 0
	;;#ASMEND
	s_nop 0
	v_mov_b32_dpp v14, v1 quad_perm:[1,0,3,2] row_mask:0xf bank_mask:0xf
	v_add_f32_e32 v1, v1, v14
	s_nop 1
	v_mov_b32_dpp v14, v1 quad_perm:[2,3,0,1] row_mask:0xf bank_mask:0xf
	v_add_f32_e32 v1, v1, v14
	s_nop 1
	v_mov_b32_dpp v14, v1 row_half_mirror row_mask:0xf bank_mask:0xf
	v_add_f32_e32 v1, v1, v14
	s_nop 1
	v_mov_b32_dpp v14, v1 row_mirror row_mask:0xf bank_mask:0xf
	v_add_f32_e32 v1, v1, v14
	s_nop 1
	v_mov_b32_dpp v14, v1 row_bcast:15 row_mask:0xf bank_mask:0xf
	v_add_f32_e32 v1, v1, v14
	s_nop 1
	v_mov_b32_dpp v14, v1 row_bcast:31 row_mask:0xf bank_mask:0xf
	s_and_saveexec_b64 s[2:3], s[0:1]
	s_cbranch_execz .LBB42_3
; %bb.2:
	v_lshrrev_b32_e32 v15, 4, v0
	v_and_b32_e32 v15, 60, v15
	v_add_f32_e32 v1, v1, v14
	ds_write_b32 v15, v1 offset:16
.LBB42_3:
	s_or_b64 exec, exec, s[2:3]
	v_and_b32_e32 v1, 3, v0
	v_lshlrev_b32_e32 v14, 2, v1
	s_waitcnt lgkmcnt(0)
	s_barrier
	ds_read_b32 v1, v14 offset:16
	v_cvt_f32_i32_e32 v15, s9
	s_waitcnt vmcnt(1)
	v_cvt_f32_u32_sdwa v21, v3 dst_sel:DWORD dst_unused:UNUSED_PAD src0_sel:WORD_1
	v_cvt_f32_u32_sdwa v23, v5 dst_sel:DWORD dst_unused:UNUSED_PAD src0_sel:WORD_1
	v_cvt_f32_u32_sdwa v22, v5 dst_sel:DWORD dst_unused:UNUSED_PAD src0_sel:WORD_0
	s_waitcnt lgkmcnt(0)
	v_mov_b32_dpp v16, v1 quad_perm:[1,0,3,2] row_mask:0xf bank_mask:0xf
	v_add_f32_e32 v1, v1, v16
	s_cmp_lg_u32 s14, 0
	s_nop 0
	v_mov_b32_dpp v16, v1 quad_perm:[2,3,0,1] row_mask:0xf bank_mask:0xf
	v_add_f32_e32 v1, v1, v16
	v_div_scale_f32 v16, s[2:3], v15, v15, v1
	v_rcp_f32_e32 v17, v16
	v_div_scale_f32 v18, vcc, v1, v15, v1
	s_mov_b32 s2, 0x800000
	v_fma_f32 v19, -v16, v17, 1.0
	v_fmac_f32_e32 v17, v19, v17
	v_mul_f32_e32 v19, v18, v17
	v_fma_f32 v20, -v16, v19, v18
	v_fmac_f32_e32 v19, v20, v17
	v_fma_f32 v16, -v16, v19, v18
	v_div_fmas_f32 v16, v16, v17, v19
	v_div_fixup_f32 v1, v16, v15, v1
	v_cvt_f64_f32_e32 v[16:17], v1
	v_add_f64 v[16:17], v[16:17], s[28:29]
	v_cvt_f32_f64_e32 v1, v[16:17]
	v_mul_f32_e32 v15, 0x4b800000, v1
	v_cmp_gt_f32_e32 vcc, s2, v1
	v_cndmask_b32_e32 v1, v1, v15, vcc
	v_rsq_f32_e32 v15, v1
	v_cvt_f32_u32_sdwa v20, v3 dst_sel:DWORD dst_unused:UNUSED_PAD src0_sel:WORD_0
	v_cvt_f32_u32_sdwa v3, v4 dst_sel:DWORD dst_unused:UNUSED_PAD src0_sel:WORD_1
	v_lshlrev_b32_e32 v1, 3, v0
	v_mul_f32_e32 v16, 0x45800000, v15
	v_cndmask_b32_e32 v16, v15, v16, vcc
	v_mov_b32_e32 v17, v16
	;;#ASMSTART
	v_pk_mul_f32 v[12:13], v[12:13], v[16:17]
	;;#ASMEND
	;;#ASMSTART
	v_pk_mul_f32 v[10:11], v[10:11], v[16:17]
	;;#ASMEND
	;; [unrolled: 3-line block ×4, first 2 shown]
	v_cvt_f32_u32_sdwa v7, v2 dst_sel:DWORD dst_unused:UNUSED_PAD src0_sel:WORD_1
	v_cvt_f32_u32_sdwa v6, v2 dst_sel:DWORD dst_unused:UNUSED_PAD src0_sel:WORD_0
	v_cvt_f32_u32_sdwa v2, v4 dst_sel:DWORD dst_unused:UNUSED_PAD src0_sel:WORD_0
	;;#ASMSTART
	v_pk_mul_f32 v[8:9], v[12:13], v[6:7]
	;;#ASMEND
	;;#ASMSTART
	v_pk_mul_f32 v[6:7], v[10:11], v[20:21]
	;;#ASMEND
	v_and_b32_e32 v10, 0x7fffffff, v8
	v_mov_b32_e32 v12, 0x2edbe6ff
	;;#ASMSTART
	v_pk_mul_f32 v[4:5], v[18:19], v[2:3]
	;;#ASMEND
	;;#ASMSTART
	v_pk_mul_f32 v[2:3], v[16:17], v[22:23]
	;;#ASMEND
	v_and_b32_e32 v11, 0x7fffffff, v9
	;;#ASMSTART
	v_max3_f32 v10, v12, v10, v11

	;;#ASMEND
	v_and_b32_e32 v12, 0x7fffffff, v7
	v_and_b32_e32 v11, 0x7fffffff, v6
	;;#ASMSTART
	v_max3_f32 v10, v10, v11, v12

	;;#ASMEND
	v_and_b32_e32 v12, 0x7fffffff, v5
	;; [unrolled: 6-line block ×3, first 2 shown]
	v_and_b32_e32 v11, 0x7fffffff, v2
	;;#ASMSTART
	v_max3_f32 v12, v10, v11, v12

	;;#ASMEND
	s_cbranch_scc0 .LBB42_10
; %bb.4:
	s_ashr_i32 s12, s14, 31
	s_lshr_b32 s2, s12, 29
	s_add_i32 s2, s14, s2
	s_ashr_i32 s10, s2, 3
	s_cmp_lt_i32 s10, 16
	s_cbranch_scc1 .LBB42_11
; %bb.5:
	s_cmp_lt_i32 s10, 32
	s_cbranch_scc1 .LBB42_12
; %bb.6:
	;; [unrolled: 3-line block ×3, first 2 shown]
	s_cmp_eq_u32 s10, 64
	v_mov_b32_e32 v10, v12
	s_cbranch_scc0 .LBB42_9
; %bb.8:
	s_nop 0
	v_mov_b32_dpp v10, v12 quad_perm:[1,0,3,2] row_mask:0xf bank_mask:0xf
	v_cmp_gt_f32_e32 vcc, v12, v10
	v_cndmask_b32_e32 v10, v10, v12, vcc
	v_bfrev_b32_e32 v13, 0.5
	s_nop 0
	v_mov_b32_dpp v11, v10 quad_perm:[2,3,0,1] row_mask:0xf bank_mask:0xf
	v_cmp_gt_f32_e32 vcc, v10, v11
	v_cndmask_b32_e32 v10, v11, v10, vcc
	s_nop 1
	v_mov_b32_dpp v11, v10 row_ror:4 row_mask:0xf bank_mask:0xf
	v_cmp_gt_f32_e32 vcc, v10, v11
	v_cndmask_b32_e32 v10, v11, v10, vcc
	s_nop 1
	v_mov_b32_dpp v11, v10 row_ror:8 row_mask:0xf bank_mask:0xf
	v_cmp_gt_f32_e32 vcc, v10, v11
	v_cndmask_b32_e32 v10, v11, v10, vcc
	s_nop 1
	v_mov_b32_dpp v11, v10 row_bcast:15 row_mask:0xf bank_mask:0xf
	v_cmp_gt_f32_e32 vcc, v10, v11
	v_cndmask_b32_e32 v10, v11, v10, vcc
	s_nop 1
	v_mov_b32_dpp v11, v10 row_bcast:31 row_mask:0xf bank_mask:0xf
	v_cmp_gt_f32_e32 vcc, v10, v11
	v_cndmask_b32_e32 v10, v11, v10, vcc
	v_mbcnt_lo_u32_b32 v11, -1, 0
	v_mbcnt_hi_u32_b32 v11, -1, v11
	v_lshl_or_b32 v11, v11, 2, v13
	ds_bpermute_b32 v10, v11, v10
.LBB42_9:
	s_mov_b64 s[2:3], 0
	s_branch .LBB42_14
.LBB42_10:
	s_mov_b64 s[2:3], 0
                                        ; implicit-def: $vgpr13
                                        ; implicit-def: $vgpr10_vgpr11
	s_cbranch_execnz .LBB42_43
	s_branch .LBB42_46
.LBB42_11:
                                        ; implicit-def: $vgpr10
	s_branch .LBB42_21
.LBB42_12:
                                        ; implicit-def: $vgpr10
	s_branch .LBB42_18
.LBB42_13:
	s_mov_b64 s[2:3], -1
                                        ; implicit-def: $vgpr10
.LBB42_14:
	s_andn2_b64 vcc, exec, s[2:3]
	s_cbranch_vccnz .LBB42_17
; %bb.15:
	s_cmp_eq_u32 s10, 32
	s_waitcnt lgkmcnt(0)
	v_mov_b32_e32 v10, v12
	s_cbranch_scc0 .LBB42_17
; %bb.16:
	s_nop 0
	v_mov_b32_dpp v10, v12 quad_perm:[1,0,3,2] row_mask:0xf bank_mask:0xf
	v_cmp_gt_f32_e32 vcc, v12, v10
	v_cndmask_b32_e32 v10, v10, v12, vcc
	v_mov_b32_e32 v13, 0x7c
	s_nop 0
	v_mov_b32_dpp v11, v10 quad_perm:[2,3,0,1] row_mask:0xf bank_mask:0xf
	v_cmp_gt_f32_e32 vcc, v10, v11
	v_cndmask_b32_e32 v10, v11, v10, vcc
	s_nop 1
	v_mov_b32_dpp v11, v10 row_half_mirror row_mask:0xf bank_mask:0xf
	v_cmp_gt_f32_e32 vcc, v10, v11
	v_cndmask_b32_e32 v10, v11, v10, vcc
	s_nop 1
	v_mov_b32_dpp v11, v10 row_mirror row_mask:0xf bank_mask:0xf
	v_cmp_gt_f32_e32 vcc, v10, v11
	v_cndmask_b32_e32 v10, v11, v10, vcc
	s_nop 1
	v_mov_b32_dpp v11, v10 row_bcast:15 row_mask:0xa bank_mask:0xf
	v_cmp_gt_f32_e32 vcc, v10, v11
	v_cndmask_b32_e32 v10, v11, v10, vcc
	v_mbcnt_lo_u32_b32 v11, -1, 0
	v_mbcnt_hi_u32_b32 v11, -1, v11
	v_lshl_or_b32 v11, v11, 2, v13
	ds_bpermute_b32 v10, v11, v10
.LBB42_17:
	s_cbranch_execnz .LBB42_20
.LBB42_18:
	s_cmp_eq_u32 s10, 16
	s_waitcnt lgkmcnt(0)
	v_mov_b32_e32 v10, v12
	s_cbranch_scc0 .LBB42_20
; %bb.19:
	s_nop 0
	v_mov_b32_dpp v10, v12 quad_perm:[1,0,3,2] row_mask:0xf bank_mask:0xf
	v_cmp_gt_f32_e32 vcc, v12, v10
	v_cndmask_b32_e32 v10, v10, v12, vcc
	s_nop 1
	v_mov_b32_dpp v11, v10 quad_perm:[2,3,0,1] row_mask:0xf bank_mask:0xf
	v_cmp_gt_f32_e32 vcc, v10, v11
	v_cndmask_b32_e32 v10, v11, v10, vcc
	s_nop 1
	v_mov_b32_dpp v11, v10 row_half_mirror row_mask:0xf bank_mask:0xf
	v_cmp_gt_f32_e32 vcc, v10, v11
	v_cndmask_b32_e32 v10, v11, v10, vcc
	s_nop 1
	v_mov_b32_dpp v11, v10 row_mirror row_mask:0xf bank_mask:0xf
	v_cmp_gt_f32_e32 vcc, v10, v11
	v_cndmask_b32_e32 v10, v11, v10, vcc
.LBB42_20:
	s_cbranch_execnz .LBB42_33
.LBB42_21:
	s_cmp_lt_i32 s10, 4
	s_cbranch_scc1 .LBB42_25
; %bb.22:
	s_cmp_lt_i32 s10, 8
	s_cbranch_scc1 .LBB42_26
; %bb.23:
	s_cmp_eq_u32 s10, 8
	s_waitcnt lgkmcnt(0)
	v_mov_b32_e32 v10, v12
	s_cbranch_scc0 .LBB42_27
; %bb.24:
	s_nop 0
	v_mov_b32_dpp v10, v12 quad_perm:[1,0,3,2] row_mask:0xf bank_mask:0xf
	v_cmp_gt_f32_e32 vcc, v12, v10
	v_cndmask_b32_e32 v10, v10, v12, vcc
	s_nop 1
	v_mov_b32_dpp v11, v10 quad_perm:[2,3,0,1] row_mask:0xf bank_mask:0xf
	v_cmp_gt_f32_e32 vcc, v10, v11
	v_cndmask_b32_e32 v10, v11, v10, vcc
	s_nop 1
	v_mov_b32_dpp v11, v10 row_half_mirror row_mask:0xf bank_mask:0xf
	v_cmp_gt_f32_e32 vcc, v10, v11
	v_cndmask_b32_e32 v10, v11, v10, vcc
	s_cbranch_execz .LBB42_28
	s_branch .LBB42_30
.LBB42_25:
                                        ; implicit-def: $vgpr10
	s_branch .LBB42_31
.LBB42_26:
                                        ; implicit-def: $vgpr10
	s_branch .LBB42_28
.LBB42_27:
	s_cbranch_execnz .LBB42_30
.LBB42_28:
	s_cmp_eq_u32 s10, 4
	s_waitcnt lgkmcnt(0)
	v_mov_b32_e32 v10, v12
	s_cbranch_scc0 .LBB42_30
; %bb.29:
	s_nop 0
	v_mov_b32_dpp v10, v12 quad_perm:[1,0,3,2] row_mask:0xf bank_mask:0xf
	v_cmp_gt_f32_e32 vcc, v12, v10
	v_cndmask_b32_e32 v10, v10, v12, vcc
	s_nop 1
	v_mov_b32_dpp v11, v10 quad_perm:[2,3,0,1] row_mask:0xf bank_mask:0xf
	v_cmp_gt_f32_e32 vcc, v10, v11
	v_cndmask_b32_e32 v10, v11, v10, vcc
.LBB42_30:
	s_cbranch_execnz .LBB42_33
.LBB42_31:
	s_cmp_lg_u32 s10, 2
	s_waitcnt lgkmcnt(0)
	v_mov_b32_e32 v10, v12
	s_cbranch_scc1 .LBB42_33
; %bb.32:
	s_nop 0
	v_mov_b32_dpp v10, v12 quad_perm:[1,0,3,2] row_mask:0xf bank_mask:0xf
	v_cmp_gt_f32_e32 vcc, v12, v10
	v_cndmask_b32_e32 v10, v10, v12, vcc
.LBB42_33:
	v_cvt_f32_u32_e32 v11, s10
	s_waitcnt lgkmcnt(0)
	v_mul_f32_e32 v13, 0x3c010204, v10
	s_sub_i32 s2, 0, s10
	v_cmp_gt_u32_e32 vcc, s9, v1
	v_rcp_iflag_f32_e32 v11, v11
	s_mov_b64 s[4:5], 0
	v_mul_f32_e32 v10, 0x4f7ffffe, v11
	v_cvt_u32_f32_e32 v10, v10
	v_mul_lo_u32 v11, s2, v10
	v_mul_hi_u32 v11, v10, v11
	v_add_u32_e32 v10, v10, v11
	v_mul_hi_u32 v10, v0, v10
	v_mul_lo_u32 v11, v10, s10
	v_sub_u32_e32 v11, v0, v11
	v_add_u32_e32 v15, 1, v10
	v_cmp_le_u32_e64 s[2:3], s10, v11
	v_cndmask_b32_e64 v10, v10, v15, s[2:3]
	v_subrev_u32_e32 v15, s10, v11
	v_cndmask_b32_e64 v11, v11, v15, s[2:3]
	v_add_u32_e32 v15, 1, v10
	v_cmp_le_u32_e64 s[2:3], s10, v11
	v_cndmask_b32_e64 v15, v10, v15, s[2:3]
	v_mul_lo_u32 v10, v15, s10
	v_sub_u32_e32 v10, v0, v10
	v_cmp_eq_u32_e64 s[2:3], 0, v10
	s_and_b64 s[10:11], s[2:3], vcc
	s_mov_b64 s[2:3], 0
                                        ; implicit-def: $vgpr10_vgpr11
	s_and_saveexec_b64 s[18:19], s[10:11]
	s_xor_b64 s[10:11], exec, s[18:19]
	s_cbranch_execz .LBB42_42
; %bb.34:
	s_bitcmp0_b32 s15, 0
	s_cbranch_scc0 .LBB42_39
; %bb.35:
	s_ashr_i32 s2, s9, 31
	s_mul_hi_u32 s3, s9, s6
	s_mul_i32 s2, s2, s6
	s_add_i32 s19, s3, s2
	s_mul_i32 s18, s9, s6
	s_mov_b32 s15, s12
	s_or_b64 s[2:3], s[18:19], s[14:15]
	s_mov_b32 s2, 0
	s_cmp_lg_u64 s[2:3], 0
	s_cbranch_scc0 .LBB42_50
; %bb.36:
	s_add_u32 s2, s14, s15
	s_mov_b32 s24, s15
	s_mov_b32 s25, s15
	s_addc_u32 s3, s15, s15
	s_xor_b64 s[26:27], s[2:3], s[24:25]
	v_cvt_f32_u32_e32 v10, s26
	v_cvt_f32_u32_e32 v11, s27
	s_sub_u32 s2, 0, s26
	s_subb_u32 s3, 0, s27
	v_madmk_f32 v10, v11, 0x4f800000, v10
	v_rcp_f32_e32 v10, v10
	v_mul_f32_e32 v10, 0x5f7ffffc, v10
	v_mul_f32_e32 v11, 0x2f800000, v10
	v_trunc_f32_e32 v11, v11
	v_madmk_f32 v10, v11, 0xcf800000, v10
	v_cvt_u32_f32_e32 v11, v11
	v_cvt_u32_f32_e32 v10, v10
	v_readfirstlane_b32 s12, v11
	v_readfirstlane_b32 s15, v10
	s_mul_i32 s28, s2, s12
	s_mul_hi_u32 s30, s2, s15
	s_mul_i32 s29, s3, s15
	s_add_i32 s28, s30, s28
	s_add_i32 s28, s28, s29
	s_mul_i32 s31, s2, s15
	s_mul_hi_u32 s29, s15, s28
	s_mul_i32 s30, s15, s28
	s_mul_hi_u32 s15, s15, s31
	s_add_u32 s15, s15, s30
	s_addc_u32 s29, 0, s29
	s_mul_hi_u32 s33, s12, s31
	s_mul_i32 s31, s12, s31
	s_add_u32 s15, s15, s31
	s_mul_hi_u32 s30, s12, s28
	s_addc_u32 s15, s29, s33
	s_addc_u32 s29, s30, 0
	s_mul_i32 s28, s12, s28
	s_add_u32 s15, s15, s28
	s_addc_u32 s28, 0, s29
	v_add_co_u32_e32 v10, vcc, s15, v10
	s_cmp_lg_u64 vcc, 0
	s_addc_u32 s12, s12, s28
	v_readfirstlane_b32 s28, v10
	s_mul_i32 s15, s2, s12
	s_mul_hi_u32 s29, s2, s28
	s_add_i32 s15, s29, s15
	s_mul_i32 s3, s3, s28
	s_add_i32 s15, s15, s3
	s_mul_i32 s2, s2, s28
	s_mul_hi_u32 s29, s12, s2
	s_mul_i32 s30, s12, s2
	s_mul_i32 s33, s28, s15
	s_mul_hi_u32 s2, s28, s2
	s_mul_hi_u32 s31, s28, s15
	s_add_u32 s2, s2, s33
	s_addc_u32 s28, 0, s31
	s_add_u32 s2, s2, s30
	s_mul_hi_u32 s3, s12, s15
	s_addc_u32 s2, s28, s29
	s_addc_u32 s3, s3, 0
	s_mul_i32 s15, s12, s15
	s_add_u32 s2, s2, s15
	s_addc_u32 s3, 0, s3
	v_add_co_u32_e32 v10, vcc, s2, v10
	s_cmp_lg_u64 vcc, 0
	s_addc_u32 s12, s12, s3
	s_ashr_i32 s28, s19, 31
	s_add_u32 s2, s18, s28
	s_mov_b32 s29, s28
	s_addc_u32 s3, s19, s28
	s_xor_b64 s[30:31], s[2:3], s[28:29]
	v_readfirstlane_b32 s15, v10
	s_mul_i32 s3, s30, s12
	s_mul_hi_u32 s19, s30, s15
	s_mul_hi_u32 s2, s30, s12
	s_add_u32 s3, s19, s3
	s_addc_u32 s2, 0, s2
	s_mul_hi_u32 s33, s31, s15
	s_mul_i32 s15, s31, s15
	s_add_u32 s3, s3, s15
	s_mul_hi_u32 s19, s31, s12
	s_addc_u32 s2, s2, s33
	s_addc_u32 s3, s19, 0
	s_mul_i32 s12, s31, s12
	s_add_u32 s12, s2, s12
	s_addc_u32 s15, 0, s3
	s_mul_i32 s2, s26, s15
	s_mul_hi_u32 s3, s26, s12
	s_add_i32 s2, s3, s2
	s_mul_i32 s3, s27, s12
	s_add_i32 s19, s2, s3
	s_mul_i32 s3, s26, s12
	v_mov_b32_e32 v10, s3
	s_sub_i32 s2, s31, s19
	v_sub_co_u32_e32 v10, vcc, s30, v10
	s_cmp_lg_u64 vcc, 0
	s_subb_u32 s30, s2, s27
	v_subrev_co_u32_e64 v11, s[2:3], s26, v10
	s_cmp_lg_u64 s[2:3], 0
	s_subb_u32 s30, s30, 0
	s_cmp_ge_u32 s30, s27
	s_cselect_b32 s33, -1, 0
	v_cmp_le_u32_e64 s[2:3], s26, v11
	s_cmp_eq_u32 s30, s27
	v_cndmask_b32_e64 v11, 0, -1, s[2:3]
	v_mov_b32_e32 v16, s33
	s_cselect_b64 s[2:3], -1, 0
	v_cndmask_b32_e64 v11, v16, v11, s[2:3]
	s_add_u32 s2, s12, 1
	s_addc_u32 s30, s15, 0
	s_add_u32 s3, s12, 2
	s_addc_u32 s33, s15, 0
	v_mov_b32_e32 v16, s2
	v_mov_b32_e32 v17, s3
	v_cmp_ne_u32_e64 s[2:3], 0, v11
	v_cndmask_b32_e64 v11, v16, v17, s[2:3]
	v_mov_b32_e32 v16, s30
	v_mov_b32_e32 v17, s33
	s_cmp_lg_u64 vcc, 0
	v_cndmask_b32_e64 v16, v16, v17, s[2:3]
	s_subb_u32 s2, s31, s19
	s_cmp_ge_u32 s2, s27
	s_cselect_b32 s3, -1, 0
	v_cmp_le_u32_e32 vcc, s26, v10
	s_cmp_eq_u32 s2, s27
	v_cndmask_b32_e64 v10, 0, -1, vcc
	v_mov_b32_e32 v17, s3
	s_cselect_b64 vcc, -1, 0
	v_cndmask_b32_e32 v10, v17, v10, vcc
	v_mov_b32_e32 v17, s15
	v_cmp_ne_u32_e32 vcc, 0, v10
	v_cndmask_b32_e32 v10, v17, v16, vcc
	v_mov_b32_e32 v16, s12
	v_cndmask_b32_e32 v11, v16, v11, vcc
	s_xor_b64 s[2:3], s[28:29], s[24:25]
	v_xor_b32_e32 v11, s2, v11
	v_xor_b32_e32 v16, s3, v10
	v_mov_b32_e32 v17, s3
	v_subrev_co_u32_e32 v10, vcc, s2, v11
	v_subb_co_u32_e32 v11, vcc, v16, v17, vcc
	s_cbranch_execnz .LBB42_38
.LBB42_37:
	v_cvt_f32_u32_e32 v10, s14
	s_sub_i32 s2, 0, s14
	s_mov_b32 s3, 0
	v_rcp_iflag_f32_e32 v10, v10
	v_mul_f32_e32 v10, 0x4f7ffffe, v10
	v_cvt_u32_f32_e32 v10, v10
	v_readfirstlane_b32 s12, v10
	s_mul_i32 s2, s2, s12
	s_mul_hi_u32 s2, s12, s2
	s_add_i32 s12, s12, s2
	s_mul_hi_u32 s2, s18, s12
	s_mul_i32 s15, s2, s14
	s_sub_i32 s15, s18, s15
	s_add_i32 s12, s2, 1
	s_sub_i32 s18, s15, s14
	s_cmp_ge_u32 s15, s14
	s_cselect_b32 s2, s12, s2
	s_cselect_b32 s15, s18, s15
	s_add_i32 s12, s2, 1
	s_cmp_ge_u32 s15, s14
	s_cselect_b32 s2, s12, s2
	v_pk_mov_b32 v[10:11], s[2:3], s[2:3] op_sel:[0,1]
.LBB42_38:
	v_add_co_u32_e32 v10, vcc, v10, v15
	v_addc_co_u32_e32 v11, vcc, 0, v11, vcc
	s_branch .LBB42_41
.LBB42_39:
                                        ; implicit-def: $vgpr10_vgpr11
	s_cbranch_execz .LBB42_41
; %bb.40:
	v_mul_lo_u32 v10, v15, s8
	v_ashrrev_i32_e32 v11, 31, v10
	v_mov_b32_e32 v15, s7
	v_add_co_u32_e32 v10, vcc, s6, v10
	v_addc_co_u32_e32 v11, vcc, v11, v15, vcc
.LBB42_41:
	s_mov_b64 s[2:3], exec
.LBB42_42:
	s_or_b64 exec, exec, s[10:11]
	s_and_b64 vcc, exec, s[4:5]
	s_cbranch_vccz .LBB42_46
.LBB42_43:
	v_mov_b32_dpp v10, v12 quad_perm:[1,0,3,2] row_mask:0xf bank_mask:0xf
	v_cmp_gt_f32_e32 vcc, v12, v10
	v_cndmask_b32_e32 v10, v10, v12, vcc
	s_nop 1
	v_mov_b32_dpp v11, v10 quad_perm:[2,3,0,1] row_mask:0xf bank_mask:0xf
	v_cmp_gt_f32_e32 vcc, v10, v11
	v_cndmask_b32_e32 v10, v11, v10, vcc
	s_nop 1
	v_mov_b32_dpp v11, v10 row_half_mirror row_mask:0xf bank_mask:0xf
	v_cmp_gt_f32_e32 vcc, v10, v11
	v_cndmask_b32_e32 v10, v11, v10, vcc
	s_nop 1
	v_mov_b32_dpp v11, v10 row_mirror row_mask:0xf bank_mask:0xf
	v_cmp_gt_f32_e32 vcc, v10, v11
	v_cndmask_b32_e32 v10, v11, v10, vcc
	s_nop 1
	v_mov_b32_dpp v11, v10 row_bcast:15 row_mask:0xf bank_mask:0xf
	v_cmp_gt_f32_e32 vcc, v10, v11
	v_cndmask_b32_e32 v10, v11, v10, vcc
	s_nop 1
	v_mov_b32_dpp v11, v10 row_bcast:31 row_mask:0xf bank_mask:0xf
	s_and_saveexec_b64 s[2:3], s[0:1]
	s_cbranch_execz .LBB42_45
; %bb.44:
	v_lshrrev_b32_e32 v12, 4, v0
	v_cmp_gt_f32_e32 vcc, v10, v11
	v_and_b32_e32 v12, 60, v12
	v_cndmask_b32_e32 v10, v11, v10, vcc
	ds_write_b32 v12, v10
.LBB42_45:
	s_or_b64 exec, exec, s[2:3]
	s_waitcnt lgkmcnt(0)
	s_barrier
	ds_read_b32 v10, v14
	v_cmp_eq_u32_e64 s[2:3], 0, v0
	s_waitcnt lgkmcnt(0)
	v_mov_b32_dpp v11, v10 quad_perm:[1,0,3,2] row_mask:0xf bank_mask:0xf
	v_cmp_gt_f32_e32 vcc, v10, v11
	v_cndmask_b32_e32 v10, v11, v10, vcc
	s_nop 1
	v_mov_b32_dpp v11, v10 quad_perm:[2,3,0,1] row_mask:0xf bank_mask:0xf
	v_cmp_gt_f32_e32 vcc, v10, v11
	v_cndmask_b32_e32 v10, v11, v10, vcc
	v_mul_f32_e32 v13, 0x3c010204, v10
	v_pk_mov_b32 v[10:11], s[6:7], s[6:7] op_sel:[0,1]
.LBB42_46:
	s_and_saveexec_b64 s[0:1], s[2:3]
	s_cbranch_execz .LBB42_48
; %bb.47:
	v_lshlrev_b64 v[10:11], 2, v[10:11]
	v_mov_b32_e32 v0, s21
	v_add_co_u32_e32 v10, vcc, s20, v10
	v_addc_co_u32_e32 v11, vcc, v0, v11, vcc
	global_store_dword v[10:11], v13, off
.LBB42_48:
	s_or_b64 exec, exec, s[0:1]
	s_add_i32 s0, s9, 3
	s_ashr_i32 s1, s0, 31
	s_lshr_b32 s1, s1, 30
	;;#ASMSTART
	v_rcp_f32 v10, v13
	;;#ASMEND
	v_mov_b32_e32 v11, v10
	;;#ASMSTART
	v_pk_mul_f32 v[8:9], v[8:9], v[10:11]
	;;#ASMEND
	;;#ASMSTART
	v_pk_mul_f32 v[6:7], v[6:7], v[10:11]
	;;#ASMEND
	s_add_i32 s0, s0, s1
	v_cvt_i32_f32_e32 v0, v8
	v_cvt_i32_f32_sdwa v8, v9 dst_sel:BYTE_1 dst_unused:UNUSED_PAD src0_sel:DWORD
	v_cvt_i32_f32_e32 v6, v6
	v_cvt_i32_f32_sdwa v7, v7 dst_sel:BYTE_1 dst_unused:UNUSED_PAD src0_sel:DWORD
	;;#ASMSTART
	v_pk_mul_f32 v[4:5], v[4:5], v[10:11]
	;;#ASMEND
	;;#ASMSTART
	v_pk_mul_f32 v[2:3], v[2:3], v[10:11]
	;;#ASMEND
	s_and_b32 s2, s0, -4
	s_ashr_i32 s0, s13, 31
	v_cvt_i32_f32_e32 v4, v4
	v_cvt_i32_f32_sdwa v5, v5 dst_sel:BYTE_1 dst_unused:UNUSED_PAD src0_sel:DWORD
	v_cvt_i32_f32_e32 v9, v2
	v_cvt_i32_f32_sdwa v3, v3 dst_sel:BYTE_1 dst_unused:UNUSED_PAD src0_sel:DWORD
	s_mul_hi_u32 s1, s13, s6
	s_mul_i32 s0, s0, s6
	s_add_i32 s1, s1, s0
	s_mul_i32 s0, s13, s6
	s_add_u32 s0, s16, s0
	v_or_b32_sdwa v0, v0, v8 dst_sel:DWORD dst_unused:UNUSED_PAD src0_sel:BYTE_0 src1_sel:DWORD
	v_or_b32_sdwa v2, v6, v7 dst_sel:WORD_1 dst_unused:UNUSED_PAD src0_sel:BYTE_0 src1_sel:DWORD
	s_addc_u32 s1, s17, s1
	v_or_b32_sdwa v2, v0, v2 dst_sel:DWORD dst_unused:UNUSED_PAD src0_sel:WORD_0 src1_sel:DWORD
	v_or_b32_sdwa v0, v4, v5 dst_sel:DWORD dst_unused:UNUSED_PAD src0_sel:BYTE_0 src1_sel:DWORD
	v_or_b32_sdwa v3, v9, v3 dst_sel:WORD_1 dst_unused:UNUSED_PAD src0_sel:BYTE_0 src1_sel:DWORD
	s_and_b32 s1, s1, 0xffff
	s_mov_b32 s3, 0x20000
	v_or_b32_sdwa v3, v0, v3 dst_sel:DWORD dst_unused:UNUSED_PAD src0_sel:WORD_0 src1_sel:DWORD
	buffer_store_dwordx2 v[2:3], v1, s[0:3], 0 offen
	;;#ASMSTART
	s_nop 0
	;;#ASMEND
.LBB42_49:
	s_endpgm
.LBB42_50:
                                        ; implicit-def: $vgpr10_vgpr11
	s_branch .LBB42_37
	.section	.rodata,"a",@progbits
	.p2align	6, 0x0
	.amdhsa_kernel _ZN5aiter24add_rmsnorm_quant_kernelItaLi256ELi8ELb1ELb1ELb1ELi1EEEvPT0_PT_PfS4_S4_S4_diiiiiiib
		.amdhsa_group_segment_fixed_size 32
		.amdhsa_private_segment_fixed_size 0
		.amdhsa_kernarg_size 88
		.amdhsa_user_sgpr_count 6
		.amdhsa_user_sgpr_private_segment_buffer 1
		.amdhsa_user_sgpr_dispatch_ptr 0
		.amdhsa_user_sgpr_queue_ptr 0
		.amdhsa_user_sgpr_kernarg_segment_ptr 1
		.amdhsa_user_sgpr_dispatch_id 0
		.amdhsa_user_sgpr_flat_scratch_init 0
		.amdhsa_user_sgpr_kernarg_preload_length 0
		.amdhsa_user_sgpr_kernarg_preload_offset 0
		.amdhsa_user_sgpr_private_segment_size 0
		.amdhsa_uses_dynamic_stack 0
		.amdhsa_system_sgpr_private_segment_wavefront_offset 0
		.amdhsa_system_sgpr_workgroup_id_x 1
		.amdhsa_system_sgpr_workgroup_id_y 0
		.amdhsa_system_sgpr_workgroup_id_z 0
		.amdhsa_system_sgpr_workgroup_info 0
		.amdhsa_system_vgpr_workitem_id 0
		.amdhsa_next_free_vgpr 27
		.amdhsa_next_free_sgpr 40
		.amdhsa_accum_offset 28
		.amdhsa_reserve_vcc 1
		.amdhsa_reserve_flat_scratch 0
		.amdhsa_float_round_mode_32 0
		.amdhsa_float_round_mode_16_64 0
		.amdhsa_float_denorm_mode_32 3
		.amdhsa_float_denorm_mode_16_64 3
		.amdhsa_dx10_clamp 1
		.amdhsa_ieee_mode 1
		.amdhsa_fp16_overflow 0
		.amdhsa_tg_split 0
		.amdhsa_exception_fp_ieee_invalid_op 0
		.amdhsa_exception_fp_denorm_src 0
		.amdhsa_exception_fp_ieee_div_zero 0
		.amdhsa_exception_fp_ieee_overflow 0
		.amdhsa_exception_fp_ieee_underflow 0
		.amdhsa_exception_fp_ieee_inexact 0
		.amdhsa_exception_int_div_zero 0
	.end_amdhsa_kernel
	.section	.text._ZN5aiter24add_rmsnorm_quant_kernelItaLi256ELi8ELb1ELb1ELb1ELi1EEEvPT0_PT_PfS4_S4_S4_diiiiiiib,"axG",@progbits,_ZN5aiter24add_rmsnorm_quant_kernelItaLi256ELi8ELb1ELb1ELb1ELi1EEEvPT0_PT_PfS4_S4_S4_diiiiiiib,comdat
.Lfunc_end42:
	.size	_ZN5aiter24add_rmsnorm_quant_kernelItaLi256ELi8ELb1ELb1ELb1ELi1EEEvPT0_PT_PfS4_S4_S4_diiiiiiib, .Lfunc_end42-_ZN5aiter24add_rmsnorm_quant_kernelItaLi256ELi8ELb1ELb1ELb1ELi1EEEvPT0_PT_PfS4_S4_S4_diiiiiiib
                                        ; -- End function
	.section	.AMDGPU.csdata,"",@progbits
; Kernel info:
; codeLenInByte = 3316
; NumSgprs: 44
; NumVgprs: 27
; NumAgprs: 0
; TotalNumVgprs: 27
; ScratchSize: 0
; MemoryBound: 0
; FloatMode: 240
; IeeeMode: 1
; LDSByteSize: 32 bytes/workgroup (compile time only)
; SGPRBlocks: 5
; VGPRBlocks: 3
; NumSGPRsForWavesPerEU: 44
; NumVGPRsForWavesPerEU: 27
; AccumOffset: 28
; Occupancy: 8
; WaveLimiterHint : 0
; COMPUTE_PGM_RSRC2:SCRATCH_EN: 0
; COMPUTE_PGM_RSRC2:USER_SGPR: 6
; COMPUTE_PGM_RSRC2:TRAP_HANDLER: 0
; COMPUTE_PGM_RSRC2:TGID_X_EN: 1
; COMPUTE_PGM_RSRC2:TGID_Y_EN: 0
; COMPUTE_PGM_RSRC2:TGID_Z_EN: 0
; COMPUTE_PGM_RSRC2:TIDIG_COMP_CNT: 0
; COMPUTE_PGM_RSRC3_GFX90A:ACCUM_OFFSET: 6
; COMPUTE_PGM_RSRC3_GFX90A:TG_SPLIT: 0
	.section	.text._ZN5aiter24add_rmsnorm_quant_kernelIDF16_aLi256ELi8ELb1ELb1ELb0ELi1EEEvPT0_PT_PfS4_S4_S4_diiiiiiib,"axG",@progbits,_ZN5aiter24add_rmsnorm_quant_kernelIDF16_aLi256ELi8ELb1ELb1ELb0ELi1EEEvPT0_PT_PfS4_S4_S4_diiiiiiib,comdat
	.protected	_ZN5aiter24add_rmsnorm_quant_kernelIDF16_aLi256ELi8ELb1ELb1ELb0ELi1EEEvPT0_PT_PfS4_S4_S4_diiiiiiib ; -- Begin function _ZN5aiter24add_rmsnorm_quant_kernelIDF16_aLi256ELi8ELb1ELb1ELb0ELi1EEEvPT0_PT_PfS4_S4_S4_diiiiiiib
	.globl	_ZN5aiter24add_rmsnorm_quant_kernelIDF16_aLi256ELi8ELb1ELb1ELb0ELi1EEEvPT0_PT_PfS4_S4_S4_diiiiiiib
	.p2align	8
	.type	_ZN5aiter24add_rmsnorm_quant_kernelIDF16_aLi256ELi8ELb1ELb1ELb0ELi1EEEvPT0_PT_PfS4_S4_S4_diiiiiiib,@function
_ZN5aiter24add_rmsnorm_quant_kernelIDF16_aLi256ELi8ELb1ELb1ELb0ELi1EEEvPT0_PT_PfS4_S4_S4_diiiiiiib: ; @_ZN5aiter24add_rmsnorm_quant_kernelIDF16_aLi256ELi8ELb1ELb1ELb0ELi1EEEvPT0_PT_PfS4_S4_S4_diiiiiiib
; %bb.0:
	s_load_dwordx8 s[8:15], s[4:5], 0x38
	s_mov_b32 s7, 0
	s_waitcnt lgkmcnt(0)
	s_ashr_i32 s0, s8, 31
	v_mov_b32_e32 v2, s8
	v_mov_b32_e32 v3, s0
	v_cmp_ge_i64_e32 vcc, s[6:7], v[2:3]
	s_cbranch_vccnz .LBB43_49
; %bb.1:
	s_load_dwordx8 s[16:23], s[4:5], 0x0
	s_load_dwordx8 s[24:31], s[4:5], 0x20
	s_ashr_i32 s0, s10, 31
	s_mul_hi_u32 s1, s10, s6
	s_mul_i32 s0, s0, s6
	s_add_i32 s1, s1, s0
	s_mul_i32 s0, s10, s6
	s_lshl_b64 s[0:1], s[0:1], 1
	s_waitcnt lgkmcnt(0)
	s_add_u32 s0, s22, s0
	s_addc_u32 s1, s23, s1
	s_add_i32 s2, s9, 1
	s_lshr_b32 s3, s2, 31
	s_add_i32 s2, s2, s3
	s_lshl_b32 s2, s2, 1
	s_and_b32 s2, s2, -4
	s_and_b32 s1, s1, 0xffff
	s_mov_b32 s3, 0x20000
	v_lshlrev_b32_e32 v1, 4, v0
	buffer_load_dwordx4 v[6:9], v1, s[0:3], 0 offen glc slc
	s_ashr_i32 s0, s11, 31
	s_mul_hi_u32 s1, s11, s6
	s_mul_i32 s0, s0, s6
	s_add_i32 s1, s1, s0
	s_mul_i32 s0, s11, s6
	s_and_b32 s37, s27, 0xffff
	s_lshl_b64 s[0:1], s[0:1], 1
	s_add_u32 s0, s24, s0
	s_addc_u32 s1, s25, s1
	s_and_b32 s1, s1, 0xffff
	buffer_load_dwordx4 v[10:13], v1, s[0:3], 0 offen glc slc
	s_mov_b32 s39, s3
	s_mov_b32 s36, s26
	;; [unrolled: 1-line block ×3, first 2 shown]
	buffer_load_dwordx4 v[2:5], v1, s[36:39], 0 offen
	s_ashr_i32 s4, s12, 31
	s_mul_hi_u32 s1, s12, s6
	s_mul_i32 s4, s4, s6
	s_mul_i32 s0, s12, s6
	s_add_i32 s1, s1, s4
	s_lshl_b64 s[0:1], s[0:1], 1
	s_add_u32 s0, s18, s0
	s_addc_u32 s1, s19, s1
	s_and_b32 s1, s1, 0xffff
	v_and_b32_e32 v24, 63, v0
	s_waitcnt vmcnt(2)
	v_cvt_f32_f16_e32 v14, v6
	v_cvt_f32_f16_sdwa v15, v6 dst_sel:DWORD dst_unused:UNUSED_PAD src0_sel:WORD_1
	v_cvt_f32_f16_e32 v6, v7
	v_cvt_f32_f16_sdwa v7, v7 dst_sel:DWORD dst_unused:UNUSED_PAD src0_sel:WORD_1
	;; [unrolled: 2-line block ×4, first 2 shown]
	s_waitcnt vmcnt(1)
	v_cvt_f32_f16_e32 v8, v10
	v_cvt_f32_f16_sdwa v9, v10 dst_sel:DWORD dst_unused:UNUSED_PAD src0_sel:WORD_1
	v_cvt_f32_f16_e32 v10, v11
	v_cvt_f32_f16_sdwa v11, v11 dst_sel:DWORD dst_unused:UNUSED_PAD src0_sel:WORD_1
	;; [unrolled: 2-line block ×4, first 2 shown]
	v_pk_add_f32 v[12:13], v[14:15], v[8:9]
	v_pk_add_f32 v[10:11], v[6:7], v[10:11]
	;; [unrolled: 1-line block ×4, first 2 shown]
	v_cvt_f16_f32_e32 v22, v13
	v_cvt_f16_f32_e32 v23, v12
	;; [unrolled: 1-line block ×8, first 2 shown]
	v_pk_mul_f32 v[14:15], v[12:13], v[12:13]
	v_pk_mul_f32 v[16:17], v[10:11], v[10:11]
	v_add_f32_e32 v14, v14, v15
	v_add_f32_e32 v14, v16, v14
	v_pk_mul_f32 v[18:19], v[8:9], v[8:9]
	v_add_f32_e32 v31, v17, v14
	v_pack_b32_f16 v17, v30, v29
	v_pack_b32_f16 v16, v28, v27
	;; [unrolled: 1-line block ×4, first 2 shown]
	v_add_f32_e32 v18, v18, v31
	v_pk_mul_f32 v[20:21], v[6:7], v[6:7]
	buffer_store_dwordx4 v[14:17], v1, s[0:3], 0 offen glc slc
	v_add_f32_e32 v1, v19, v18
	v_add_f32_e32 v1, v20, v1
	;; [unrolled: 1-line block ×3, first 2 shown]
	v_cmp_eq_u32_e64 s[0:1], 63, v24
	;;#ASMSTART
	s_nop 0
	;;#ASMEND
	s_nop 0
	v_mov_b32_dpp v14, v1 quad_perm:[1,0,3,2] row_mask:0xf bank_mask:0xf
	v_add_f32_e32 v1, v1, v14
	s_nop 1
	v_mov_b32_dpp v14, v1 quad_perm:[2,3,0,1] row_mask:0xf bank_mask:0xf
	v_add_f32_e32 v1, v1, v14
	s_nop 1
	v_mov_b32_dpp v14, v1 row_half_mirror row_mask:0xf bank_mask:0xf
	v_add_f32_e32 v1, v1, v14
	s_nop 1
	v_mov_b32_dpp v14, v1 row_mirror row_mask:0xf bank_mask:0xf
	v_add_f32_e32 v1, v1, v14
	s_nop 1
	v_mov_b32_dpp v14, v1 row_bcast:15 row_mask:0xf bank_mask:0xf
	v_add_f32_e32 v1, v1, v14
	s_nop 1
	v_mov_b32_dpp v14, v1 row_bcast:31 row_mask:0xf bank_mask:0xf
	s_and_saveexec_b64 s[2:3], s[0:1]
	s_cbranch_execz .LBB43_3
; %bb.2:
	v_lshrrev_b32_e32 v15, 4, v0
	v_and_b32_e32 v15, 60, v15
	v_add_f32_e32 v1, v1, v14
	ds_write_b32 v15, v1 offset:16
.LBB43_3:
	s_or_b64 exec, exec, s[2:3]
	v_and_b32_e32 v1, 3, v0
	v_lshlrev_b32_e32 v14, 2, v1
	s_waitcnt lgkmcnt(0)
	s_barrier
	ds_read_b32 v1, v14 offset:16
	v_cvt_f32_i32_e32 v15, s9
	s_waitcnt vmcnt(1)
	v_cvt_f32_f16_sdwa v21, v3 dst_sel:DWORD dst_unused:UNUSED_PAD src0_sel:WORD_1
	v_cvt_f32_f16_sdwa v23, v5 dst_sel:DWORD dst_unused:UNUSED_PAD src0_sel:WORD_1
	v_cvt_f32_f16_e32 v22, v5
	s_waitcnt lgkmcnt(0)
	v_mov_b32_dpp v16, v1 quad_perm:[1,0,3,2] row_mask:0xf bank_mask:0xf
	v_add_f32_e32 v1, v1, v16
	s_cmp_lg_u32 s14, 0
	s_nop 0
	v_mov_b32_dpp v16, v1 quad_perm:[2,3,0,1] row_mask:0xf bank_mask:0xf
	v_add_f32_e32 v1, v1, v16
	v_div_scale_f32 v16, s[2:3], v15, v15, v1
	v_rcp_f32_e32 v17, v16
	v_div_scale_f32 v18, vcc, v1, v15, v1
	s_mov_b32 s2, 0x800000
	v_fma_f32 v19, -v16, v17, 1.0
	v_fmac_f32_e32 v17, v19, v17
	v_mul_f32_e32 v19, v18, v17
	v_fma_f32 v20, -v16, v19, v18
	v_fmac_f32_e32 v19, v20, v17
	v_fma_f32 v16, -v16, v19, v18
	v_div_fmas_f32 v16, v16, v17, v19
	v_div_fixup_f32 v1, v16, v15, v1
	v_cvt_f64_f32_e32 v[16:17], v1
	v_add_f64 v[16:17], v[16:17], s[28:29]
	v_cvt_f32_f64_e32 v1, v[16:17]
	v_mul_f32_e32 v15, 0x4b800000, v1
	v_cmp_gt_f32_e32 vcc, s2, v1
	v_cndmask_b32_e32 v1, v1, v15, vcc
	v_rsq_f32_e32 v15, v1
	v_cvt_f32_f16_e32 v20, v3
	v_cvt_f32_f16_sdwa v3, v4 dst_sel:DWORD dst_unused:UNUSED_PAD src0_sel:WORD_1
	v_lshlrev_b32_e32 v1, 3, v0
	v_mul_f32_e32 v16, 0x45800000, v15
	v_cndmask_b32_e32 v16, v15, v16, vcc
	v_mov_b32_e32 v17, v16
	;;#ASMSTART
	v_pk_mul_f32 v[12:13], v[12:13], v[16:17]
	;;#ASMEND
	;;#ASMSTART
	v_pk_mul_f32 v[10:11], v[10:11], v[16:17]
	;;#ASMEND
	;; [unrolled: 3-line block ×4, first 2 shown]
	v_cvt_f32_f16_sdwa v7, v2 dst_sel:DWORD dst_unused:UNUSED_PAD src0_sel:WORD_1
	v_cvt_f32_f16_e32 v6, v2
	v_cvt_f32_f16_e32 v2, v4
	;;#ASMSTART
	v_pk_mul_f32 v[8:9], v[12:13], v[6:7]
	;;#ASMEND
	;;#ASMSTART
	v_pk_mul_f32 v[6:7], v[10:11], v[20:21]
	;;#ASMEND
	v_and_b32_e32 v10, 0x7fffffff, v8
	v_mov_b32_e32 v12, 0x2edbe6ff
	;;#ASMSTART
	v_pk_mul_f32 v[4:5], v[18:19], v[2:3]
	;;#ASMEND
	;;#ASMSTART
	v_pk_mul_f32 v[2:3], v[16:17], v[22:23]
	;;#ASMEND
	v_and_b32_e32 v11, 0x7fffffff, v9
	;;#ASMSTART
	v_max3_f32 v10, v12, v10, v11

	;;#ASMEND
	v_and_b32_e32 v12, 0x7fffffff, v7
	v_and_b32_e32 v11, 0x7fffffff, v6
	;;#ASMSTART
	v_max3_f32 v10, v10, v11, v12

	;;#ASMEND
	v_and_b32_e32 v12, 0x7fffffff, v5
	;; [unrolled: 6-line block ×3, first 2 shown]
	v_and_b32_e32 v11, 0x7fffffff, v2
	;;#ASMSTART
	v_max3_f32 v12, v10, v11, v12

	;;#ASMEND
	s_cbranch_scc0 .LBB43_10
; %bb.4:
	s_ashr_i32 s12, s14, 31
	s_lshr_b32 s2, s12, 29
	s_add_i32 s2, s14, s2
	s_ashr_i32 s10, s2, 3
	s_cmp_lt_i32 s10, 16
	s_cbranch_scc1 .LBB43_11
; %bb.5:
	s_cmp_lt_i32 s10, 32
	s_cbranch_scc1 .LBB43_12
; %bb.6:
	;; [unrolled: 3-line block ×3, first 2 shown]
	s_cmp_eq_u32 s10, 64
	v_mov_b32_e32 v10, v12
	s_cbranch_scc0 .LBB43_9
; %bb.8:
	s_nop 0
	v_mov_b32_dpp v10, v12 quad_perm:[1,0,3,2] row_mask:0xf bank_mask:0xf
	v_cmp_gt_f32_e32 vcc, v12, v10
	v_cndmask_b32_e32 v10, v10, v12, vcc
	v_bfrev_b32_e32 v13, 0.5
	s_nop 0
	v_mov_b32_dpp v11, v10 quad_perm:[2,3,0,1] row_mask:0xf bank_mask:0xf
	v_cmp_gt_f32_e32 vcc, v10, v11
	v_cndmask_b32_e32 v10, v11, v10, vcc
	s_nop 1
	v_mov_b32_dpp v11, v10 row_ror:4 row_mask:0xf bank_mask:0xf
	v_cmp_gt_f32_e32 vcc, v10, v11
	v_cndmask_b32_e32 v10, v11, v10, vcc
	s_nop 1
	v_mov_b32_dpp v11, v10 row_ror:8 row_mask:0xf bank_mask:0xf
	v_cmp_gt_f32_e32 vcc, v10, v11
	v_cndmask_b32_e32 v10, v11, v10, vcc
	s_nop 1
	v_mov_b32_dpp v11, v10 row_bcast:15 row_mask:0xf bank_mask:0xf
	v_cmp_gt_f32_e32 vcc, v10, v11
	v_cndmask_b32_e32 v10, v11, v10, vcc
	s_nop 1
	v_mov_b32_dpp v11, v10 row_bcast:31 row_mask:0xf bank_mask:0xf
	v_cmp_gt_f32_e32 vcc, v10, v11
	v_cndmask_b32_e32 v10, v11, v10, vcc
	v_mbcnt_lo_u32_b32 v11, -1, 0
	v_mbcnt_hi_u32_b32 v11, -1, v11
	v_lshl_or_b32 v11, v11, 2, v13
	ds_bpermute_b32 v10, v11, v10
.LBB43_9:
	s_mov_b64 s[2:3], 0
	s_branch .LBB43_14
.LBB43_10:
	s_mov_b64 s[2:3], 0
                                        ; implicit-def: $vgpr13
                                        ; implicit-def: $vgpr10_vgpr11
	s_cbranch_execnz .LBB43_43
	s_branch .LBB43_46
.LBB43_11:
                                        ; implicit-def: $vgpr10
	s_branch .LBB43_21
.LBB43_12:
                                        ; implicit-def: $vgpr10
	s_branch .LBB43_18
.LBB43_13:
	s_mov_b64 s[2:3], -1
                                        ; implicit-def: $vgpr10
.LBB43_14:
	s_andn2_b64 vcc, exec, s[2:3]
	s_cbranch_vccnz .LBB43_17
; %bb.15:
	s_cmp_eq_u32 s10, 32
	s_waitcnt lgkmcnt(0)
	v_mov_b32_e32 v10, v12
	s_cbranch_scc0 .LBB43_17
; %bb.16:
	s_nop 0
	v_mov_b32_dpp v10, v12 quad_perm:[1,0,3,2] row_mask:0xf bank_mask:0xf
	v_cmp_gt_f32_e32 vcc, v12, v10
	v_cndmask_b32_e32 v10, v10, v12, vcc
	v_mov_b32_e32 v13, 0x7c
	s_nop 0
	v_mov_b32_dpp v11, v10 quad_perm:[2,3,0,1] row_mask:0xf bank_mask:0xf
	v_cmp_gt_f32_e32 vcc, v10, v11
	v_cndmask_b32_e32 v10, v11, v10, vcc
	s_nop 1
	v_mov_b32_dpp v11, v10 row_half_mirror row_mask:0xf bank_mask:0xf
	v_cmp_gt_f32_e32 vcc, v10, v11
	v_cndmask_b32_e32 v10, v11, v10, vcc
	s_nop 1
	v_mov_b32_dpp v11, v10 row_mirror row_mask:0xf bank_mask:0xf
	v_cmp_gt_f32_e32 vcc, v10, v11
	v_cndmask_b32_e32 v10, v11, v10, vcc
	s_nop 1
	v_mov_b32_dpp v11, v10 row_bcast:15 row_mask:0xa bank_mask:0xf
	v_cmp_gt_f32_e32 vcc, v10, v11
	v_cndmask_b32_e32 v10, v11, v10, vcc
	v_mbcnt_lo_u32_b32 v11, -1, 0
	v_mbcnt_hi_u32_b32 v11, -1, v11
	v_lshl_or_b32 v11, v11, 2, v13
	ds_bpermute_b32 v10, v11, v10
.LBB43_17:
	s_cbranch_execnz .LBB43_20
.LBB43_18:
	s_cmp_eq_u32 s10, 16
	s_waitcnt lgkmcnt(0)
	v_mov_b32_e32 v10, v12
	s_cbranch_scc0 .LBB43_20
; %bb.19:
	s_nop 0
	v_mov_b32_dpp v10, v12 quad_perm:[1,0,3,2] row_mask:0xf bank_mask:0xf
	v_cmp_gt_f32_e32 vcc, v12, v10
	v_cndmask_b32_e32 v10, v10, v12, vcc
	s_nop 1
	v_mov_b32_dpp v11, v10 quad_perm:[2,3,0,1] row_mask:0xf bank_mask:0xf
	v_cmp_gt_f32_e32 vcc, v10, v11
	v_cndmask_b32_e32 v10, v11, v10, vcc
	s_nop 1
	v_mov_b32_dpp v11, v10 row_half_mirror row_mask:0xf bank_mask:0xf
	v_cmp_gt_f32_e32 vcc, v10, v11
	v_cndmask_b32_e32 v10, v11, v10, vcc
	s_nop 1
	v_mov_b32_dpp v11, v10 row_mirror row_mask:0xf bank_mask:0xf
	v_cmp_gt_f32_e32 vcc, v10, v11
	v_cndmask_b32_e32 v10, v11, v10, vcc
.LBB43_20:
	s_cbranch_execnz .LBB43_33
.LBB43_21:
	s_cmp_lt_i32 s10, 4
	s_cbranch_scc1 .LBB43_25
; %bb.22:
	s_cmp_lt_i32 s10, 8
	s_cbranch_scc1 .LBB43_26
; %bb.23:
	s_cmp_eq_u32 s10, 8
	s_waitcnt lgkmcnt(0)
	v_mov_b32_e32 v10, v12
	s_cbranch_scc0 .LBB43_27
; %bb.24:
	s_nop 0
	v_mov_b32_dpp v10, v12 quad_perm:[1,0,3,2] row_mask:0xf bank_mask:0xf
	v_cmp_gt_f32_e32 vcc, v12, v10
	v_cndmask_b32_e32 v10, v10, v12, vcc
	s_nop 1
	v_mov_b32_dpp v11, v10 quad_perm:[2,3,0,1] row_mask:0xf bank_mask:0xf
	v_cmp_gt_f32_e32 vcc, v10, v11
	v_cndmask_b32_e32 v10, v11, v10, vcc
	s_nop 1
	v_mov_b32_dpp v11, v10 row_half_mirror row_mask:0xf bank_mask:0xf
	v_cmp_gt_f32_e32 vcc, v10, v11
	v_cndmask_b32_e32 v10, v11, v10, vcc
	s_cbranch_execz .LBB43_28
	s_branch .LBB43_30
.LBB43_25:
                                        ; implicit-def: $vgpr10
	s_branch .LBB43_31
.LBB43_26:
                                        ; implicit-def: $vgpr10
	s_branch .LBB43_28
.LBB43_27:
	s_cbranch_execnz .LBB43_30
.LBB43_28:
	s_cmp_eq_u32 s10, 4
	s_waitcnt lgkmcnt(0)
	v_mov_b32_e32 v10, v12
	s_cbranch_scc0 .LBB43_30
; %bb.29:
	s_nop 0
	v_mov_b32_dpp v10, v12 quad_perm:[1,0,3,2] row_mask:0xf bank_mask:0xf
	v_cmp_gt_f32_e32 vcc, v12, v10
	v_cndmask_b32_e32 v10, v10, v12, vcc
	s_nop 1
	v_mov_b32_dpp v11, v10 quad_perm:[2,3,0,1] row_mask:0xf bank_mask:0xf
	v_cmp_gt_f32_e32 vcc, v10, v11
	v_cndmask_b32_e32 v10, v11, v10, vcc
.LBB43_30:
	s_cbranch_execnz .LBB43_33
.LBB43_31:
	s_cmp_lg_u32 s10, 2
	s_waitcnt lgkmcnt(0)
	v_mov_b32_e32 v10, v12
	s_cbranch_scc1 .LBB43_33
; %bb.32:
	s_nop 0
	v_mov_b32_dpp v10, v12 quad_perm:[1,0,3,2] row_mask:0xf bank_mask:0xf
	v_cmp_gt_f32_e32 vcc, v12, v10
	v_cndmask_b32_e32 v10, v10, v12, vcc
.LBB43_33:
	v_cvt_f32_u32_e32 v11, s10
	s_waitcnt lgkmcnt(0)
	v_mul_f32_e32 v13, 0x3c010204, v10
	s_sub_i32 s2, 0, s10
	v_cmp_gt_u32_e32 vcc, s9, v1
	v_rcp_iflag_f32_e32 v11, v11
	s_mov_b64 s[4:5], 0
	v_mul_f32_e32 v10, 0x4f7ffffe, v11
	v_cvt_u32_f32_e32 v10, v10
	v_mul_lo_u32 v11, s2, v10
	v_mul_hi_u32 v11, v10, v11
	v_add_u32_e32 v10, v10, v11
	v_mul_hi_u32 v10, v0, v10
	v_mul_lo_u32 v11, v10, s10
	v_sub_u32_e32 v11, v0, v11
	v_add_u32_e32 v15, 1, v10
	v_cmp_le_u32_e64 s[2:3], s10, v11
	v_cndmask_b32_e64 v10, v10, v15, s[2:3]
	v_subrev_u32_e32 v15, s10, v11
	v_cndmask_b32_e64 v11, v11, v15, s[2:3]
	v_add_u32_e32 v15, 1, v10
	v_cmp_le_u32_e64 s[2:3], s10, v11
	v_cndmask_b32_e64 v15, v10, v15, s[2:3]
	v_mul_lo_u32 v10, v15, s10
	v_sub_u32_e32 v10, v0, v10
	v_cmp_eq_u32_e64 s[2:3], 0, v10
	s_and_b64 s[10:11], s[2:3], vcc
	s_mov_b64 s[2:3], 0
                                        ; implicit-def: $vgpr10_vgpr11
	s_and_saveexec_b64 s[18:19], s[10:11]
	s_xor_b64 s[10:11], exec, s[18:19]
	s_cbranch_execz .LBB43_42
; %bb.34:
	s_bitcmp0_b32 s15, 0
	s_cbranch_scc0 .LBB43_39
; %bb.35:
	s_ashr_i32 s2, s9, 31
	s_mul_hi_u32 s3, s9, s6
	s_mul_i32 s2, s2, s6
	s_add_i32 s19, s3, s2
	s_mul_i32 s18, s9, s6
	s_mov_b32 s15, s12
	s_or_b64 s[2:3], s[18:19], s[14:15]
	s_mov_b32 s2, 0
	s_cmp_lg_u64 s[2:3], 0
	s_cbranch_scc0 .LBB43_50
; %bb.36:
	s_add_u32 s2, s14, s15
	s_mov_b32 s24, s15
	s_mov_b32 s25, s15
	s_addc_u32 s3, s15, s15
	s_xor_b64 s[26:27], s[2:3], s[24:25]
	v_cvt_f32_u32_e32 v10, s26
	v_cvt_f32_u32_e32 v11, s27
	s_sub_u32 s2, 0, s26
	s_subb_u32 s3, 0, s27
	v_madmk_f32 v10, v11, 0x4f800000, v10
	v_rcp_f32_e32 v10, v10
	v_mul_f32_e32 v10, 0x5f7ffffc, v10
	v_mul_f32_e32 v11, 0x2f800000, v10
	v_trunc_f32_e32 v11, v11
	v_madmk_f32 v10, v11, 0xcf800000, v10
	v_cvt_u32_f32_e32 v11, v11
	v_cvt_u32_f32_e32 v10, v10
	v_readfirstlane_b32 s12, v11
	v_readfirstlane_b32 s15, v10
	s_mul_i32 s28, s2, s12
	s_mul_hi_u32 s30, s2, s15
	s_mul_i32 s29, s3, s15
	s_add_i32 s28, s30, s28
	s_add_i32 s28, s28, s29
	s_mul_i32 s31, s2, s15
	s_mul_hi_u32 s29, s15, s28
	s_mul_i32 s30, s15, s28
	s_mul_hi_u32 s15, s15, s31
	s_add_u32 s15, s15, s30
	s_addc_u32 s29, 0, s29
	s_mul_hi_u32 s33, s12, s31
	s_mul_i32 s31, s12, s31
	s_add_u32 s15, s15, s31
	s_mul_hi_u32 s30, s12, s28
	s_addc_u32 s15, s29, s33
	s_addc_u32 s29, s30, 0
	s_mul_i32 s28, s12, s28
	s_add_u32 s15, s15, s28
	s_addc_u32 s28, 0, s29
	v_add_co_u32_e32 v10, vcc, s15, v10
	s_cmp_lg_u64 vcc, 0
	s_addc_u32 s12, s12, s28
	v_readfirstlane_b32 s28, v10
	s_mul_i32 s15, s2, s12
	s_mul_hi_u32 s29, s2, s28
	s_add_i32 s15, s29, s15
	s_mul_i32 s3, s3, s28
	s_add_i32 s15, s15, s3
	s_mul_i32 s2, s2, s28
	s_mul_hi_u32 s29, s12, s2
	s_mul_i32 s30, s12, s2
	s_mul_i32 s33, s28, s15
	s_mul_hi_u32 s2, s28, s2
	s_mul_hi_u32 s31, s28, s15
	s_add_u32 s2, s2, s33
	s_addc_u32 s28, 0, s31
	s_add_u32 s2, s2, s30
	s_mul_hi_u32 s3, s12, s15
	s_addc_u32 s2, s28, s29
	s_addc_u32 s3, s3, 0
	s_mul_i32 s15, s12, s15
	s_add_u32 s2, s2, s15
	s_addc_u32 s3, 0, s3
	v_add_co_u32_e32 v10, vcc, s2, v10
	s_cmp_lg_u64 vcc, 0
	s_addc_u32 s12, s12, s3
	s_ashr_i32 s28, s19, 31
	s_add_u32 s2, s18, s28
	s_mov_b32 s29, s28
	s_addc_u32 s3, s19, s28
	s_xor_b64 s[30:31], s[2:3], s[28:29]
	v_readfirstlane_b32 s15, v10
	s_mul_i32 s3, s30, s12
	s_mul_hi_u32 s19, s30, s15
	s_mul_hi_u32 s2, s30, s12
	s_add_u32 s3, s19, s3
	s_addc_u32 s2, 0, s2
	s_mul_hi_u32 s33, s31, s15
	s_mul_i32 s15, s31, s15
	s_add_u32 s3, s3, s15
	s_mul_hi_u32 s19, s31, s12
	s_addc_u32 s2, s2, s33
	s_addc_u32 s3, s19, 0
	s_mul_i32 s12, s31, s12
	s_add_u32 s12, s2, s12
	s_addc_u32 s15, 0, s3
	s_mul_i32 s2, s26, s15
	s_mul_hi_u32 s3, s26, s12
	s_add_i32 s2, s3, s2
	s_mul_i32 s3, s27, s12
	s_add_i32 s19, s2, s3
	s_mul_i32 s3, s26, s12
	v_mov_b32_e32 v10, s3
	s_sub_i32 s2, s31, s19
	v_sub_co_u32_e32 v10, vcc, s30, v10
	s_cmp_lg_u64 vcc, 0
	s_subb_u32 s30, s2, s27
	v_subrev_co_u32_e64 v11, s[2:3], s26, v10
	s_cmp_lg_u64 s[2:3], 0
	s_subb_u32 s30, s30, 0
	s_cmp_ge_u32 s30, s27
	s_cselect_b32 s33, -1, 0
	v_cmp_le_u32_e64 s[2:3], s26, v11
	s_cmp_eq_u32 s30, s27
	v_cndmask_b32_e64 v11, 0, -1, s[2:3]
	v_mov_b32_e32 v16, s33
	s_cselect_b64 s[2:3], -1, 0
	v_cndmask_b32_e64 v11, v16, v11, s[2:3]
	s_add_u32 s2, s12, 1
	s_addc_u32 s30, s15, 0
	s_add_u32 s3, s12, 2
	s_addc_u32 s33, s15, 0
	v_mov_b32_e32 v16, s2
	v_mov_b32_e32 v17, s3
	v_cmp_ne_u32_e64 s[2:3], 0, v11
	v_cndmask_b32_e64 v11, v16, v17, s[2:3]
	v_mov_b32_e32 v16, s30
	v_mov_b32_e32 v17, s33
	s_cmp_lg_u64 vcc, 0
	v_cndmask_b32_e64 v16, v16, v17, s[2:3]
	s_subb_u32 s2, s31, s19
	s_cmp_ge_u32 s2, s27
	s_cselect_b32 s3, -1, 0
	v_cmp_le_u32_e32 vcc, s26, v10
	s_cmp_eq_u32 s2, s27
	v_cndmask_b32_e64 v10, 0, -1, vcc
	v_mov_b32_e32 v17, s3
	s_cselect_b64 vcc, -1, 0
	v_cndmask_b32_e32 v10, v17, v10, vcc
	v_mov_b32_e32 v17, s15
	v_cmp_ne_u32_e32 vcc, 0, v10
	v_cndmask_b32_e32 v10, v17, v16, vcc
	v_mov_b32_e32 v16, s12
	v_cndmask_b32_e32 v11, v16, v11, vcc
	s_xor_b64 s[2:3], s[28:29], s[24:25]
	v_xor_b32_e32 v11, s2, v11
	v_xor_b32_e32 v16, s3, v10
	v_mov_b32_e32 v17, s3
	v_subrev_co_u32_e32 v10, vcc, s2, v11
	v_subb_co_u32_e32 v11, vcc, v16, v17, vcc
	s_cbranch_execnz .LBB43_38
.LBB43_37:
	v_cvt_f32_u32_e32 v10, s14
	s_sub_i32 s2, 0, s14
	s_mov_b32 s3, 0
	v_rcp_iflag_f32_e32 v10, v10
	v_mul_f32_e32 v10, 0x4f7ffffe, v10
	v_cvt_u32_f32_e32 v10, v10
	v_readfirstlane_b32 s12, v10
	s_mul_i32 s2, s2, s12
	s_mul_hi_u32 s2, s12, s2
	s_add_i32 s12, s12, s2
	s_mul_hi_u32 s2, s18, s12
	s_mul_i32 s15, s2, s14
	s_sub_i32 s15, s18, s15
	s_add_i32 s12, s2, 1
	s_sub_i32 s18, s15, s14
	s_cmp_ge_u32 s15, s14
	s_cselect_b32 s2, s12, s2
	s_cselect_b32 s15, s18, s15
	s_add_i32 s12, s2, 1
	s_cmp_ge_u32 s15, s14
	s_cselect_b32 s2, s12, s2
	v_pk_mov_b32 v[10:11], s[2:3], s[2:3] op_sel:[0,1]
.LBB43_38:
	v_add_co_u32_e32 v10, vcc, v10, v15
	v_addc_co_u32_e32 v11, vcc, 0, v11, vcc
	s_branch .LBB43_41
.LBB43_39:
                                        ; implicit-def: $vgpr10_vgpr11
	s_cbranch_execz .LBB43_41
; %bb.40:
	v_mul_lo_u32 v10, v15, s8
	v_ashrrev_i32_e32 v11, 31, v10
	v_mov_b32_e32 v15, s7
	v_add_co_u32_e32 v10, vcc, s6, v10
	v_addc_co_u32_e32 v11, vcc, v11, v15, vcc
.LBB43_41:
	s_mov_b64 s[2:3], exec
.LBB43_42:
	s_or_b64 exec, exec, s[10:11]
	s_and_b64 vcc, exec, s[4:5]
	s_cbranch_vccz .LBB43_46
.LBB43_43:
	v_mov_b32_dpp v10, v12 quad_perm:[1,0,3,2] row_mask:0xf bank_mask:0xf
	v_cmp_gt_f32_e32 vcc, v12, v10
	v_cndmask_b32_e32 v10, v10, v12, vcc
	s_nop 1
	v_mov_b32_dpp v11, v10 quad_perm:[2,3,0,1] row_mask:0xf bank_mask:0xf
	v_cmp_gt_f32_e32 vcc, v10, v11
	v_cndmask_b32_e32 v10, v11, v10, vcc
	s_nop 1
	v_mov_b32_dpp v11, v10 row_half_mirror row_mask:0xf bank_mask:0xf
	v_cmp_gt_f32_e32 vcc, v10, v11
	v_cndmask_b32_e32 v10, v11, v10, vcc
	s_nop 1
	v_mov_b32_dpp v11, v10 row_mirror row_mask:0xf bank_mask:0xf
	v_cmp_gt_f32_e32 vcc, v10, v11
	v_cndmask_b32_e32 v10, v11, v10, vcc
	s_nop 1
	v_mov_b32_dpp v11, v10 row_bcast:15 row_mask:0xf bank_mask:0xf
	v_cmp_gt_f32_e32 vcc, v10, v11
	v_cndmask_b32_e32 v10, v11, v10, vcc
	s_nop 1
	v_mov_b32_dpp v11, v10 row_bcast:31 row_mask:0xf bank_mask:0xf
	s_and_saveexec_b64 s[2:3], s[0:1]
	s_cbranch_execz .LBB43_45
; %bb.44:
	v_lshrrev_b32_e32 v12, 4, v0
	v_cmp_gt_f32_e32 vcc, v10, v11
	v_and_b32_e32 v12, 60, v12
	v_cndmask_b32_e32 v10, v11, v10, vcc
	ds_write_b32 v12, v10
.LBB43_45:
	s_or_b64 exec, exec, s[2:3]
	s_waitcnt lgkmcnt(0)
	s_barrier
	ds_read_b32 v10, v14
	v_cmp_eq_u32_e64 s[2:3], 0, v0
	s_waitcnt lgkmcnt(0)
	v_mov_b32_dpp v11, v10 quad_perm:[1,0,3,2] row_mask:0xf bank_mask:0xf
	v_cmp_gt_f32_e32 vcc, v10, v11
	v_cndmask_b32_e32 v10, v11, v10, vcc
	s_nop 1
	v_mov_b32_dpp v11, v10 quad_perm:[2,3,0,1] row_mask:0xf bank_mask:0xf
	v_cmp_gt_f32_e32 vcc, v10, v11
	v_cndmask_b32_e32 v10, v11, v10, vcc
	v_mul_f32_e32 v13, 0x3c010204, v10
	v_pk_mov_b32 v[10:11], s[6:7], s[6:7] op_sel:[0,1]
.LBB43_46:
	s_and_saveexec_b64 s[0:1], s[2:3]
	s_cbranch_execz .LBB43_48
; %bb.47:
	v_lshlrev_b64 v[10:11], 2, v[10:11]
	v_mov_b32_e32 v0, s21
	v_add_co_u32_e32 v10, vcc, s20, v10
	v_addc_co_u32_e32 v11, vcc, v0, v11, vcc
	global_store_dword v[10:11], v13, off
.LBB43_48:
	s_or_b64 exec, exec, s[0:1]
	s_add_i32 s0, s9, 3
	s_ashr_i32 s1, s0, 31
	s_lshr_b32 s1, s1, 30
	;;#ASMSTART
	v_rcp_f32 v10, v13
	;;#ASMEND
	v_mov_b32_e32 v11, v10
	;;#ASMSTART
	v_pk_mul_f32 v[8:9], v[8:9], v[10:11]
	;;#ASMEND
	;;#ASMSTART
	v_pk_mul_f32 v[6:7], v[6:7], v[10:11]
	;;#ASMEND
	s_add_i32 s0, s0, s1
	v_cvt_i32_f32_e32 v0, v8
	v_cvt_i32_f32_sdwa v8, v9 dst_sel:BYTE_1 dst_unused:UNUSED_PAD src0_sel:DWORD
	v_cvt_i32_f32_e32 v6, v6
	v_cvt_i32_f32_sdwa v7, v7 dst_sel:BYTE_1 dst_unused:UNUSED_PAD src0_sel:DWORD
	;;#ASMSTART
	v_pk_mul_f32 v[4:5], v[4:5], v[10:11]
	;;#ASMEND
	;;#ASMSTART
	v_pk_mul_f32 v[2:3], v[2:3], v[10:11]
	;;#ASMEND
	s_and_b32 s2, s0, -4
	s_ashr_i32 s0, s13, 31
	v_cvt_i32_f32_e32 v4, v4
	v_cvt_i32_f32_sdwa v5, v5 dst_sel:BYTE_1 dst_unused:UNUSED_PAD src0_sel:DWORD
	v_cvt_i32_f32_e32 v9, v2
	v_cvt_i32_f32_sdwa v3, v3 dst_sel:BYTE_1 dst_unused:UNUSED_PAD src0_sel:DWORD
	s_mul_hi_u32 s1, s13, s6
	s_mul_i32 s0, s0, s6
	s_add_i32 s1, s1, s0
	s_mul_i32 s0, s13, s6
	s_add_u32 s0, s16, s0
	v_or_b32_sdwa v0, v0, v8 dst_sel:DWORD dst_unused:UNUSED_PAD src0_sel:BYTE_0 src1_sel:DWORD
	v_or_b32_sdwa v2, v6, v7 dst_sel:WORD_1 dst_unused:UNUSED_PAD src0_sel:BYTE_0 src1_sel:DWORD
	s_addc_u32 s1, s17, s1
	v_or_b32_sdwa v2, v0, v2 dst_sel:DWORD dst_unused:UNUSED_PAD src0_sel:WORD_0 src1_sel:DWORD
	v_or_b32_sdwa v0, v4, v5 dst_sel:DWORD dst_unused:UNUSED_PAD src0_sel:BYTE_0 src1_sel:DWORD
	v_or_b32_sdwa v3, v9, v3 dst_sel:WORD_1 dst_unused:UNUSED_PAD src0_sel:BYTE_0 src1_sel:DWORD
	s_and_b32 s1, s1, 0xffff
	s_mov_b32 s3, 0x20000
	v_or_b32_sdwa v3, v0, v3 dst_sel:DWORD dst_unused:UNUSED_PAD src0_sel:WORD_0 src1_sel:DWORD
	buffer_store_dwordx2 v[2:3], v1, s[0:3], 0 offen
	;;#ASMSTART
	s_nop 0
	;;#ASMEND
.LBB43_49:
	s_endpgm
.LBB43_50:
                                        ; implicit-def: $vgpr10_vgpr11
	s_branch .LBB43_37
	.section	.rodata,"a",@progbits
	.p2align	6, 0x0
	.amdhsa_kernel _ZN5aiter24add_rmsnorm_quant_kernelIDF16_aLi256ELi8ELb1ELb1ELb0ELi1EEEvPT0_PT_PfS4_S4_S4_diiiiiiib
		.amdhsa_group_segment_fixed_size 32
		.amdhsa_private_segment_fixed_size 0
		.amdhsa_kernarg_size 88
		.amdhsa_user_sgpr_count 6
		.amdhsa_user_sgpr_private_segment_buffer 1
		.amdhsa_user_sgpr_dispatch_ptr 0
		.amdhsa_user_sgpr_queue_ptr 0
		.amdhsa_user_sgpr_kernarg_segment_ptr 1
		.amdhsa_user_sgpr_dispatch_id 0
		.amdhsa_user_sgpr_flat_scratch_init 0
		.amdhsa_user_sgpr_kernarg_preload_length 0
		.amdhsa_user_sgpr_kernarg_preload_offset 0
		.amdhsa_user_sgpr_private_segment_size 0
		.amdhsa_uses_dynamic_stack 0
		.amdhsa_system_sgpr_private_segment_wavefront_offset 0
		.amdhsa_system_sgpr_workgroup_id_x 1
		.amdhsa_system_sgpr_workgroup_id_y 0
		.amdhsa_system_sgpr_workgroup_id_z 0
		.amdhsa_system_sgpr_workgroup_info 0
		.amdhsa_system_vgpr_workitem_id 0
		.amdhsa_next_free_vgpr 32
		.amdhsa_next_free_sgpr 40
		.amdhsa_accum_offset 32
		.amdhsa_reserve_vcc 1
		.amdhsa_reserve_flat_scratch 0
		.amdhsa_float_round_mode_32 0
		.amdhsa_float_round_mode_16_64 0
		.amdhsa_float_denorm_mode_32 3
		.amdhsa_float_denorm_mode_16_64 3
		.amdhsa_dx10_clamp 1
		.amdhsa_ieee_mode 1
		.amdhsa_fp16_overflow 0
		.amdhsa_tg_split 0
		.amdhsa_exception_fp_ieee_invalid_op 0
		.amdhsa_exception_fp_denorm_src 0
		.amdhsa_exception_fp_ieee_div_zero 0
		.amdhsa_exception_fp_ieee_overflow 0
		.amdhsa_exception_fp_ieee_underflow 0
		.amdhsa_exception_fp_ieee_inexact 0
		.amdhsa_exception_int_div_zero 0
	.end_amdhsa_kernel
	.section	.text._ZN5aiter24add_rmsnorm_quant_kernelIDF16_aLi256ELi8ELb1ELb1ELb0ELi1EEEvPT0_PT_PfS4_S4_S4_diiiiiiib,"axG",@progbits,_ZN5aiter24add_rmsnorm_quant_kernelIDF16_aLi256ELi8ELb1ELb1ELb0ELi1EEEvPT0_PT_PfS4_S4_S4_diiiiiiib,comdat
.Lfunc_end43:
	.size	_ZN5aiter24add_rmsnorm_quant_kernelIDF16_aLi256ELi8ELb1ELb1ELb0ELi1EEEvPT0_PT_PfS4_S4_S4_diiiiiiib, .Lfunc_end43-_ZN5aiter24add_rmsnorm_quant_kernelIDF16_aLi256ELi8ELb1ELb1ELb0ELi1EEEvPT0_PT_PfS4_S4_S4_diiiiiiib
                                        ; -- End function
	.section	.AMDGPU.csdata,"",@progbits
; Kernel info:
; codeLenInByte = 3292
; NumSgprs: 44
; NumVgprs: 32
; NumAgprs: 0
; TotalNumVgprs: 32
; ScratchSize: 0
; MemoryBound: 0
; FloatMode: 240
; IeeeMode: 1
; LDSByteSize: 32 bytes/workgroup (compile time only)
; SGPRBlocks: 5
; VGPRBlocks: 3
; NumSGPRsForWavesPerEU: 44
; NumVGPRsForWavesPerEU: 32
; AccumOffset: 32
; Occupancy: 8
; WaveLimiterHint : 0
; COMPUTE_PGM_RSRC2:SCRATCH_EN: 0
; COMPUTE_PGM_RSRC2:USER_SGPR: 6
; COMPUTE_PGM_RSRC2:TRAP_HANDLER: 0
; COMPUTE_PGM_RSRC2:TGID_X_EN: 1
; COMPUTE_PGM_RSRC2:TGID_Y_EN: 0
; COMPUTE_PGM_RSRC2:TGID_Z_EN: 0
; COMPUTE_PGM_RSRC2:TIDIG_COMP_CNT: 0
; COMPUTE_PGM_RSRC3_GFX90A:ACCUM_OFFSET: 7
; COMPUTE_PGM_RSRC3_GFX90A:TG_SPLIT: 0
	.section	.text._ZN5aiter24add_rmsnorm_quant_kernelItaLi256ELi8ELb1ELb1ELb0ELi1EEEvPT0_PT_PfS4_S4_S4_diiiiiiib,"axG",@progbits,_ZN5aiter24add_rmsnorm_quant_kernelItaLi256ELi8ELb1ELb1ELb0ELi1EEEvPT0_PT_PfS4_S4_S4_diiiiiiib,comdat
	.protected	_ZN5aiter24add_rmsnorm_quant_kernelItaLi256ELi8ELb1ELb1ELb0ELi1EEEvPT0_PT_PfS4_S4_S4_diiiiiiib ; -- Begin function _ZN5aiter24add_rmsnorm_quant_kernelItaLi256ELi8ELb1ELb1ELb0ELi1EEEvPT0_PT_PfS4_S4_S4_diiiiiiib
	.globl	_ZN5aiter24add_rmsnorm_quant_kernelItaLi256ELi8ELb1ELb1ELb0ELi1EEEvPT0_PT_PfS4_S4_S4_diiiiiiib
	.p2align	8
	.type	_ZN5aiter24add_rmsnorm_quant_kernelItaLi256ELi8ELb1ELb1ELb0ELi1EEEvPT0_PT_PfS4_S4_S4_diiiiiiib,@function
_ZN5aiter24add_rmsnorm_quant_kernelItaLi256ELi8ELb1ELb1ELb0ELi1EEEvPT0_PT_PfS4_S4_S4_diiiiiiib: ; @_ZN5aiter24add_rmsnorm_quant_kernelItaLi256ELi8ELb1ELb1ELb0ELi1EEEvPT0_PT_PfS4_S4_S4_diiiiiiib
; %bb.0:
	s_load_dwordx8 s[8:15], s[4:5], 0x38
	s_mov_b32 s7, 0
	s_waitcnt lgkmcnt(0)
	s_ashr_i32 s0, s8, 31
	v_mov_b32_e32 v2, s8
	v_mov_b32_e32 v3, s0
	v_cmp_ge_i64_e32 vcc, s[6:7], v[2:3]
	s_cbranch_vccnz .LBB44_49
; %bb.1:
	s_load_dwordx8 s[16:23], s[4:5], 0x0
	s_load_dwordx8 s[24:31], s[4:5], 0x20
	s_ashr_i32 s0, s10, 31
	s_mul_hi_u32 s1, s10, s6
	s_mul_i32 s0, s0, s6
	s_add_i32 s1, s1, s0
	s_mul_i32 s0, s10, s6
	s_lshl_b64 s[0:1], s[0:1], 1
	s_waitcnt lgkmcnt(0)
	s_add_u32 s0, s22, s0
	s_addc_u32 s1, s23, s1
	s_add_i32 s2, s9, 1
	s_lshr_b32 s3, s2, 31
	s_add_i32 s2, s2, s3
	s_lshl_b32 s2, s2, 1
	s_and_b32 s2, s2, -4
	s_and_b32 s1, s1, 0xffff
	s_mov_b32 s3, 0x20000
	v_lshlrev_b32_e32 v1, 4, v0
	buffer_load_dwordx4 v[6:9], v1, s[0:3], 0 offen glc slc
	s_ashr_i32 s0, s11, 31
	s_mul_hi_u32 s1, s11, s6
	s_mul_i32 s0, s0, s6
	s_add_i32 s1, s1, s0
	s_mul_i32 s0, s11, s6
	s_and_b32 s37, s27, 0xffff
	s_lshl_b64 s[0:1], s[0:1], 1
	s_add_u32 s0, s24, s0
	s_addc_u32 s1, s25, s1
	s_and_b32 s1, s1, 0xffff
	buffer_load_dwordx4 v[10:13], v1, s[0:3], 0 offen glc slc
	s_mov_b32 s39, s3
	s_mov_b32 s36, s26
	;; [unrolled: 1-line block ×3, first 2 shown]
	buffer_load_dwordx4 v[2:5], v1, s[36:39], 0 offen
	s_ashr_i32 s5, s12, 31
	s_mul_hi_u32 s1, s12, s6
	s_mul_i32 s5, s5, s6
	s_mul_i32 s0, s12, s6
	s_add_i32 s1, s1, s5
	s_lshl_b64 s[0:1], s[0:1], 1
	s_add_u32 s0, s18, s0
	s_mov_b32 s4, 0x7060302
	s_addc_u32 s1, s19, s1
	s_and_b32 s1, s1, 0xffff
	v_and_b32_e32 v26, 63, v0
	s_waitcnt vmcnt(2)
	v_cvt_f32_u32_sdwa v15, v6 dst_sel:DWORD dst_unused:UNUSED_PAD src0_sel:WORD_1
	v_cvt_f32_u32_sdwa v14, v6 dst_sel:DWORD dst_unused:UNUSED_PAD src0_sel:WORD_0
	v_cvt_f32_u32_sdwa v17, v7 dst_sel:DWORD dst_unused:UNUSED_PAD src0_sel:WORD_1
	v_cvt_f32_u32_sdwa v16, v7 dst_sel:DWORD dst_unused:UNUSED_PAD src0_sel:WORD_0
	;; [unrolled: 2-line block ×4, first 2 shown]
	s_waitcnt vmcnt(1)
	v_cvt_f32_u32_sdwa v9, v10 dst_sel:DWORD dst_unused:UNUSED_PAD src0_sel:WORD_1
	v_cvt_f32_u32_sdwa v8, v10 dst_sel:DWORD dst_unused:UNUSED_PAD src0_sel:WORD_0
	v_cvt_f32_u32_sdwa v21, v11 dst_sel:DWORD dst_unused:UNUSED_PAD src0_sel:WORD_1
	v_cvt_f32_u32_sdwa v20, v11 dst_sel:DWORD dst_unused:UNUSED_PAD src0_sel:WORD_0
	;; [unrolled: 2-line block ×4, first 2 shown]
	v_pk_add_f32 v[12:13], v[14:15], v[8:9]
	v_pk_add_f32 v[10:11], v[16:17], v[20:21]
	;; [unrolled: 1-line block ×4, first 2 shown]
	v_perm_b32 v17, v7, v6, s4
	v_perm_b32 v16, v9, v8, s4
	;; [unrolled: 1-line block ×4, first 2 shown]
	v_pk_mul_f32 v[18:19], v[12:13], v[12:13]
	v_pk_mul_f32 v[20:21], v[10:11], v[10:11]
	buffer_store_dwordx4 v[14:17], v1, s[0:3], 0 offen glc slc
	v_add_f32_e32 v1, v18, v19
	v_add_f32_e32 v1, v20, v1
	v_pk_mul_f32 v[22:23], v[8:9], v[8:9]
	v_add_f32_e32 v1, v21, v1
	v_add_f32_e32 v1, v22, v1
	v_pk_mul_f32 v[24:25], v[6:7], v[6:7]
	v_add_f32_e32 v1, v23, v1
	v_add_f32_e32 v1, v24, v1
	;; [unrolled: 1-line block ×3, first 2 shown]
	v_cmp_eq_u32_e64 s[0:1], 63, v26
	;;#ASMSTART
	s_nop 0
	;;#ASMEND
	s_nop 0
	v_mov_b32_dpp v14, v1 quad_perm:[1,0,3,2] row_mask:0xf bank_mask:0xf
	v_add_f32_e32 v1, v1, v14
	s_nop 1
	v_mov_b32_dpp v14, v1 quad_perm:[2,3,0,1] row_mask:0xf bank_mask:0xf
	v_add_f32_e32 v1, v1, v14
	s_nop 1
	v_mov_b32_dpp v14, v1 row_half_mirror row_mask:0xf bank_mask:0xf
	v_add_f32_e32 v1, v1, v14
	s_nop 1
	v_mov_b32_dpp v14, v1 row_mirror row_mask:0xf bank_mask:0xf
	v_add_f32_e32 v1, v1, v14
	s_nop 1
	v_mov_b32_dpp v14, v1 row_bcast:15 row_mask:0xf bank_mask:0xf
	v_add_f32_e32 v1, v1, v14
	s_nop 1
	v_mov_b32_dpp v14, v1 row_bcast:31 row_mask:0xf bank_mask:0xf
	s_and_saveexec_b64 s[2:3], s[0:1]
	s_cbranch_execz .LBB44_3
; %bb.2:
	v_lshrrev_b32_e32 v15, 4, v0
	v_and_b32_e32 v15, 60, v15
	v_add_f32_e32 v1, v1, v14
	ds_write_b32 v15, v1 offset:16
.LBB44_3:
	s_or_b64 exec, exec, s[2:3]
	v_and_b32_e32 v1, 3, v0
	v_lshlrev_b32_e32 v14, 2, v1
	s_waitcnt lgkmcnt(0)
	s_barrier
	ds_read_b32 v1, v14 offset:16
	v_cvt_f32_i32_e32 v15, s9
	s_waitcnt vmcnt(1)
	v_cvt_f32_u32_sdwa v21, v3 dst_sel:DWORD dst_unused:UNUSED_PAD src0_sel:WORD_1
	v_cvt_f32_u32_sdwa v23, v5 dst_sel:DWORD dst_unused:UNUSED_PAD src0_sel:WORD_1
	v_cvt_f32_u32_sdwa v22, v5 dst_sel:DWORD dst_unused:UNUSED_PAD src0_sel:WORD_0
	s_waitcnt lgkmcnt(0)
	v_mov_b32_dpp v16, v1 quad_perm:[1,0,3,2] row_mask:0xf bank_mask:0xf
	v_add_f32_e32 v1, v1, v16
	s_cmp_lg_u32 s14, 0
	s_nop 0
	v_mov_b32_dpp v16, v1 quad_perm:[2,3,0,1] row_mask:0xf bank_mask:0xf
	v_add_f32_e32 v1, v1, v16
	v_div_scale_f32 v16, s[2:3], v15, v15, v1
	v_rcp_f32_e32 v17, v16
	v_div_scale_f32 v18, vcc, v1, v15, v1
	s_mov_b32 s2, 0x800000
	v_fma_f32 v19, -v16, v17, 1.0
	v_fmac_f32_e32 v17, v19, v17
	v_mul_f32_e32 v19, v18, v17
	v_fma_f32 v20, -v16, v19, v18
	v_fmac_f32_e32 v19, v20, v17
	v_fma_f32 v16, -v16, v19, v18
	v_div_fmas_f32 v16, v16, v17, v19
	v_div_fixup_f32 v1, v16, v15, v1
	v_cvt_f64_f32_e32 v[16:17], v1
	v_add_f64 v[16:17], v[16:17], s[28:29]
	v_cvt_f32_f64_e32 v1, v[16:17]
	v_mul_f32_e32 v15, 0x4b800000, v1
	v_cmp_gt_f32_e32 vcc, s2, v1
	v_cndmask_b32_e32 v1, v1, v15, vcc
	v_rsq_f32_e32 v15, v1
	v_cvt_f32_u32_sdwa v20, v3 dst_sel:DWORD dst_unused:UNUSED_PAD src0_sel:WORD_0
	v_cvt_f32_u32_sdwa v3, v4 dst_sel:DWORD dst_unused:UNUSED_PAD src0_sel:WORD_1
	v_lshlrev_b32_e32 v1, 3, v0
	v_mul_f32_e32 v16, 0x45800000, v15
	v_cndmask_b32_e32 v16, v15, v16, vcc
	v_mov_b32_e32 v17, v16
	;;#ASMSTART
	v_pk_mul_f32 v[12:13], v[12:13], v[16:17]
	;;#ASMEND
	;;#ASMSTART
	v_pk_mul_f32 v[10:11], v[10:11], v[16:17]
	;;#ASMEND
	;; [unrolled: 3-line block ×4, first 2 shown]
	v_cvt_f32_u32_sdwa v7, v2 dst_sel:DWORD dst_unused:UNUSED_PAD src0_sel:WORD_1
	v_cvt_f32_u32_sdwa v6, v2 dst_sel:DWORD dst_unused:UNUSED_PAD src0_sel:WORD_0
	v_cvt_f32_u32_sdwa v2, v4 dst_sel:DWORD dst_unused:UNUSED_PAD src0_sel:WORD_0
	;;#ASMSTART
	v_pk_mul_f32 v[8:9], v[12:13], v[6:7]
	;;#ASMEND
	;;#ASMSTART
	v_pk_mul_f32 v[6:7], v[10:11], v[20:21]
	;;#ASMEND
	v_and_b32_e32 v10, 0x7fffffff, v8
	v_mov_b32_e32 v12, 0x2edbe6ff
	;;#ASMSTART
	v_pk_mul_f32 v[4:5], v[18:19], v[2:3]
	;;#ASMEND
	;;#ASMSTART
	v_pk_mul_f32 v[2:3], v[16:17], v[22:23]
	;;#ASMEND
	v_and_b32_e32 v11, 0x7fffffff, v9
	;;#ASMSTART
	v_max3_f32 v10, v12, v10, v11

	;;#ASMEND
	v_and_b32_e32 v12, 0x7fffffff, v7
	v_and_b32_e32 v11, 0x7fffffff, v6
	;;#ASMSTART
	v_max3_f32 v10, v10, v11, v12

	;;#ASMEND
	v_and_b32_e32 v12, 0x7fffffff, v5
	v_and_b32_e32 v11, 0x7fffffff, v4
	;;#ASMSTART
	v_max3_f32 v10, v10, v11, v12

	;;#ASMEND
	v_and_b32_e32 v12, 0x7fffffff, v3
	v_and_b32_e32 v11, 0x7fffffff, v2
	;;#ASMSTART
	v_max3_f32 v12, v10, v11, v12

	;;#ASMEND
	s_cbranch_scc0 .LBB44_10
; %bb.4:
	s_ashr_i32 s12, s14, 31
	s_lshr_b32 s2, s12, 29
	s_add_i32 s2, s14, s2
	s_ashr_i32 s10, s2, 3
	s_cmp_lt_i32 s10, 16
	s_cbranch_scc1 .LBB44_11
; %bb.5:
	s_cmp_lt_i32 s10, 32
	s_cbranch_scc1 .LBB44_12
; %bb.6:
	;; [unrolled: 3-line block ×3, first 2 shown]
	s_cmp_eq_u32 s10, 64
	v_mov_b32_e32 v10, v12
	s_cbranch_scc0 .LBB44_9
; %bb.8:
	s_nop 0
	v_mov_b32_dpp v10, v12 quad_perm:[1,0,3,2] row_mask:0xf bank_mask:0xf
	v_cmp_gt_f32_e32 vcc, v12, v10
	v_cndmask_b32_e32 v10, v10, v12, vcc
	v_bfrev_b32_e32 v13, 0.5
	s_nop 0
	v_mov_b32_dpp v11, v10 quad_perm:[2,3,0,1] row_mask:0xf bank_mask:0xf
	v_cmp_gt_f32_e32 vcc, v10, v11
	v_cndmask_b32_e32 v10, v11, v10, vcc
	s_nop 1
	v_mov_b32_dpp v11, v10 row_ror:4 row_mask:0xf bank_mask:0xf
	v_cmp_gt_f32_e32 vcc, v10, v11
	v_cndmask_b32_e32 v10, v11, v10, vcc
	s_nop 1
	v_mov_b32_dpp v11, v10 row_ror:8 row_mask:0xf bank_mask:0xf
	v_cmp_gt_f32_e32 vcc, v10, v11
	v_cndmask_b32_e32 v10, v11, v10, vcc
	s_nop 1
	v_mov_b32_dpp v11, v10 row_bcast:15 row_mask:0xf bank_mask:0xf
	v_cmp_gt_f32_e32 vcc, v10, v11
	v_cndmask_b32_e32 v10, v11, v10, vcc
	s_nop 1
	v_mov_b32_dpp v11, v10 row_bcast:31 row_mask:0xf bank_mask:0xf
	v_cmp_gt_f32_e32 vcc, v10, v11
	v_cndmask_b32_e32 v10, v11, v10, vcc
	v_mbcnt_lo_u32_b32 v11, -1, 0
	v_mbcnt_hi_u32_b32 v11, -1, v11
	v_lshl_or_b32 v11, v11, 2, v13
	ds_bpermute_b32 v10, v11, v10
.LBB44_9:
	s_mov_b64 s[2:3], 0
	s_branch .LBB44_14
.LBB44_10:
	s_mov_b64 s[2:3], 0
                                        ; implicit-def: $vgpr13
                                        ; implicit-def: $vgpr10_vgpr11
	s_cbranch_execnz .LBB44_43
	s_branch .LBB44_46
.LBB44_11:
                                        ; implicit-def: $vgpr10
	s_branch .LBB44_21
.LBB44_12:
                                        ; implicit-def: $vgpr10
	s_branch .LBB44_18
.LBB44_13:
	s_mov_b64 s[2:3], -1
                                        ; implicit-def: $vgpr10
.LBB44_14:
	s_andn2_b64 vcc, exec, s[2:3]
	s_cbranch_vccnz .LBB44_17
; %bb.15:
	s_cmp_eq_u32 s10, 32
	s_waitcnt lgkmcnt(0)
	v_mov_b32_e32 v10, v12
	s_cbranch_scc0 .LBB44_17
; %bb.16:
	s_nop 0
	v_mov_b32_dpp v10, v12 quad_perm:[1,0,3,2] row_mask:0xf bank_mask:0xf
	v_cmp_gt_f32_e32 vcc, v12, v10
	v_cndmask_b32_e32 v10, v10, v12, vcc
	v_mov_b32_e32 v13, 0x7c
	s_nop 0
	v_mov_b32_dpp v11, v10 quad_perm:[2,3,0,1] row_mask:0xf bank_mask:0xf
	v_cmp_gt_f32_e32 vcc, v10, v11
	v_cndmask_b32_e32 v10, v11, v10, vcc
	s_nop 1
	v_mov_b32_dpp v11, v10 row_half_mirror row_mask:0xf bank_mask:0xf
	v_cmp_gt_f32_e32 vcc, v10, v11
	v_cndmask_b32_e32 v10, v11, v10, vcc
	s_nop 1
	v_mov_b32_dpp v11, v10 row_mirror row_mask:0xf bank_mask:0xf
	v_cmp_gt_f32_e32 vcc, v10, v11
	v_cndmask_b32_e32 v10, v11, v10, vcc
	s_nop 1
	v_mov_b32_dpp v11, v10 row_bcast:15 row_mask:0xa bank_mask:0xf
	v_cmp_gt_f32_e32 vcc, v10, v11
	v_cndmask_b32_e32 v10, v11, v10, vcc
	v_mbcnt_lo_u32_b32 v11, -1, 0
	v_mbcnt_hi_u32_b32 v11, -1, v11
	v_lshl_or_b32 v11, v11, 2, v13
	ds_bpermute_b32 v10, v11, v10
.LBB44_17:
	s_cbranch_execnz .LBB44_20
.LBB44_18:
	s_cmp_eq_u32 s10, 16
	s_waitcnt lgkmcnt(0)
	v_mov_b32_e32 v10, v12
	s_cbranch_scc0 .LBB44_20
; %bb.19:
	s_nop 0
	v_mov_b32_dpp v10, v12 quad_perm:[1,0,3,2] row_mask:0xf bank_mask:0xf
	v_cmp_gt_f32_e32 vcc, v12, v10
	v_cndmask_b32_e32 v10, v10, v12, vcc
	s_nop 1
	v_mov_b32_dpp v11, v10 quad_perm:[2,3,0,1] row_mask:0xf bank_mask:0xf
	v_cmp_gt_f32_e32 vcc, v10, v11
	v_cndmask_b32_e32 v10, v11, v10, vcc
	s_nop 1
	v_mov_b32_dpp v11, v10 row_half_mirror row_mask:0xf bank_mask:0xf
	v_cmp_gt_f32_e32 vcc, v10, v11
	v_cndmask_b32_e32 v10, v11, v10, vcc
	s_nop 1
	v_mov_b32_dpp v11, v10 row_mirror row_mask:0xf bank_mask:0xf
	v_cmp_gt_f32_e32 vcc, v10, v11
	v_cndmask_b32_e32 v10, v11, v10, vcc
.LBB44_20:
	s_cbranch_execnz .LBB44_33
.LBB44_21:
	s_cmp_lt_i32 s10, 4
	s_cbranch_scc1 .LBB44_25
; %bb.22:
	s_cmp_lt_i32 s10, 8
	s_cbranch_scc1 .LBB44_26
; %bb.23:
	s_cmp_eq_u32 s10, 8
	s_waitcnt lgkmcnt(0)
	v_mov_b32_e32 v10, v12
	s_cbranch_scc0 .LBB44_27
; %bb.24:
	s_nop 0
	v_mov_b32_dpp v10, v12 quad_perm:[1,0,3,2] row_mask:0xf bank_mask:0xf
	v_cmp_gt_f32_e32 vcc, v12, v10
	v_cndmask_b32_e32 v10, v10, v12, vcc
	s_nop 1
	v_mov_b32_dpp v11, v10 quad_perm:[2,3,0,1] row_mask:0xf bank_mask:0xf
	v_cmp_gt_f32_e32 vcc, v10, v11
	v_cndmask_b32_e32 v10, v11, v10, vcc
	s_nop 1
	v_mov_b32_dpp v11, v10 row_half_mirror row_mask:0xf bank_mask:0xf
	v_cmp_gt_f32_e32 vcc, v10, v11
	v_cndmask_b32_e32 v10, v11, v10, vcc
	s_cbranch_execz .LBB44_28
	s_branch .LBB44_30
.LBB44_25:
                                        ; implicit-def: $vgpr10
	s_branch .LBB44_31
.LBB44_26:
                                        ; implicit-def: $vgpr10
	s_branch .LBB44_28
.LBB44_27:
	s_cbranch_execnz .LBB44_30
.LBB44_28:
	s_cmp_eq_u32 s10, 4
	s_waitcnt lgkmcnt(0)
	v_mov_b32_e32 v10, v12
	s_cbranch_scc0 .LBB44_30
; %bb.29:
	s_nop 0
	v_mov_b32_dpp v10, v12 quad_perm:[1,0,3,2] row_mask:0xf bank_mask:0xf
	v_cmp_gt_f32_e32 vcc, v12, v10
	v_cndmask_b32_e32 v10, v10, v12, vcc
	s_nop 1
	v_mov_b32_dpp v11, v10 quad_perm:[2,3,0,1] row_mask:0xf bank_mask:0xf
	v_cmp_gt_f32_e32 vcc, v10, v11
	v_cndmask_b32_e32 v10, v11, v10, vcc
.LBB44_30:
	s_cbranch_execnz .LBB44_33
.LBB44_31:
	s_cmp_lg_u32 s10, 2
	s_waitcnt lgkmcnt(0)
	v_mov_b32_e32 v10, v12
	s_cbranch_scc1 .LBB44_33
; %bb.32:
	s_nop 0
	v_mov_b32_dpp v10, v12 quad_perm:[1,0,3,2] row_mask:0xf bank_mask:0xf
	v_cmp_gt_f32_e32 vcc, v12, v10
	v_cndmask_b32_e32 v10, v10, v12, vcc
.LBB44_33:
	v_cvt_f32_u32_e32 v11, s10
	s_waitcnt lgkmcnt(0)
	v_mul_f32_e32 v13, 0x3c010204, v10
	s_sub_i32 s2, 0, s10
	v_cmp_gt_u32_e32 vcc, s9, v1
	v_rcp_iflag_f32_e32 v11, v11
	s_mov_b64 s[4:5], 0
	v_mul_f32_e32 v10, 0x4f7ffffe, v11
	v_cvt_u32_f32_e32 v10, v10
	v_mul_lo_u32 v11, s2, v10
	v_mul_hi_u32 v11, v10, v11
	v_add_u32_e32 v10, v10, v11
	v_mul_hi_u32 v10, v0, v10
	v_mul_lo_u32 v11, v10, s10
	v_sub_u32_e32 v11, v0, v11
	v_add_u32_e32 v15, 1, v10
	v_cmp_le_u32_e64 s[2:3], s10, v11
	v_cndmask_b32_e64 v10, v10, v15, s[2:3]
	v_subrev_u32_e32 v15, s10, v11
	v_cndmask_b32_e64 v11, v11, v15, s[2:3]
	v_add_u32_e32 v15, 1, v10
	v_cmp_le_u32_e64 s[2:3], s10, v11
	v_cndmask_b32_e64 v15, v10, v15, s[2:3]
	v_mul_lo_u32 v10, v15, s10
	v_sub_u32_e32 v10, v0, v10
	v_cmp_eq_u32_e64 s[2:3], 0, v10
	s_and_b64 s[10:11], s[2:3], vcc
	s_mov_b64 s[2:3], 0
                                        ; implicit-def: $vgpr10_vgpr11
	s_and_saveexec_b64 s[18:19], s[10:11]
	s_xor_b64 s[10:11], exec, s[18:19]
	s_cbranch_execz .LBB44_42
; %bb.34:
	s_bitcmp0_b32 s15, 0
	s_cbranch_scc0 .LBB44_39
; %bb.35:
	s_ashr_i32 s2, s9, 31
	s_mul_hi_u32 s3, s9, s6
	s_mul_i32 s2, s2, s6
	s_add_i32 s19, s3, s2
	s_mul_i32 s18, s9, s6
	s_mov_b32 s15, s12
	s_or_b64 s[2:3], s[18:19], s[14:15]
	s_mov_b32 s2, 0
	s_cmp_lg_u64 s[2:3], 0
	s_cbranch_scc0 .LBB44_50
; %bb.36:
	s_add_u32 s2, s14, s15
	s_mov_b32 s24, s15
	s_mov_b32 s25, s15
	s_addc_u32 s3, s15, s15
	s_xor_b64 s[26:27], s[2:3], s[24:25]
	v_cvt_f32_u32_e32 v10, s26
	v_cvt_f32_u32_e32 v11, s27
	s_sub_u32 s2, 0, s26
	s_subb_u32 s3, 0, s27
	v_madmk_f32 v10, v11, 0x4f800000, v10
	v_rcp_f32_e32 v10, v10
	v_mul_f32_e32 v10, 0x5f7ffffc, v10
	v_mul_f32_e32 v11, 0x2f800000, v10
	v_trunc_f32_e32 v11, v11
	v_madmk_f32 v10, v11, 0xcf800000, v10
	v_cvt_u32_f32_e32 v11, v11
	v_cvt_u32_f32_e32 v10, v10
	v_readfirstlane_b32 s12, v11
	v_readfirstlane_b32 s15, v10
	s_mul_i32 s28, s2, s12
	s_mul_hi_u32 s30, s2, s15
	s_mul_i32 s29, s3, s15
	s_add_i32 s28, s30, s28
	s_add_i32 s28, s28, s29
	s_mul_i32 s31, s2, s15
	s_mul_hi_u32 s29, s15, s28
	s_mul_i32 s30, s15, s28
	s_mul_hi_u32 s15, s15, s31
	s_add_u32 s15, s15, s30
	s_addc_u32 s29, 0, s29
	s_mul_hi_u32 s33, s12, s31
	s_mul_i32 s31, s12, s31
	s_add_u32 s15, s15, s31
	s_mul_hi_u32 s30, s12, s28
	s_addc_u32 s15, s29, s33
	s_addc_u32 s29, s30, 0
	s_mul_i32 s28, s12, s28
	s_add_u32 s15, s15, s28
	s_addc_u32 s28, 0, s29
	v_add_co_u32_e32 v10, vcc, s15, v10
	s_cmp_lg_u64 vcc, 0
	s_addc_u32 s12, s12, s28
	v_readfirstlane_b32 s28, v10
	s_mul_i32 s15, s2, s12
	s_mul_hi_u32 s29, s2, s28
	s_add_i32 s15, s29, s15
	s_mul_i32 s3, s3, s28
	s_add_i32 s15, s15, s3
	s_mul_i32 s2, s2, s28
	s_mul_hi_u32 s29, s12, s2
	s_mul_i32 s30, s12, s2
	s_mul_i32 s33, s28, s15
	s_mul_hi_u32 s2, s28, s2
	s_mul_hi_u32 s31, s28, s15
	s_add_u32 s2, s2, s33
	s_addc_u32 s28, 0, s31
	s_add_u32 s2, s2, s30
	s_mul_hi_u32 s3, s12, s15
	s_addc_u32 s2, s28, s29
	s_addc_u32 s3, s3, 0
	s_mul_i32 s15, s12, s15
	s_add_u32 s2, s2, s15
	s_addc_u32 s3, 0, s3
	v_add_co_u32_e32 v10, vcc, s2, v10
	s_cmp_lg_u64 vcc, 0
	s_addc_u32 s12, s12, s3
	s_ashr_i32 s28, s19, 31
	s_add_u32 s2, s18, s28
	s_mov_b32 s29, s28
	s_addc_u32 s3, s19, s28
	s_xor_b64 s[30:31], s[2:3], s[28:29]
	v_readfirstlane_b32 s15, v10
	s_mul_i32 s3, s30, s12
	s_mul_hi_u32 s19, s30, s15
	s_mul_hi_u32 s2, s30, s12
	s_add_u32 s3, s19, s3
	s_addc_u32 s2, 0, s2
	s_mul_hi_u32 s33, s31, s15
	s_mul_i32 s15, s31, s15
	s_add_u32 s3, s3, s15
	s_mul_hi_u32 s19, s31, s12
	s_addc_u32 s2, s2, s33
	s_addc_u32 s3, s19, 0
	s_mul_i32 s12, s31, s12
	s_add_u32 s12, s2, s12
	s_addc_u32 s15, 0, s3
	s_mul_i32 s2, s26, s15
	s_mul_hi_u32 s3, s26, s12
	s_add_i32 s2, s3, s2
	s_mul_i32 s3, s27, s12
	s_add_i32 s19, s2, s3
	s_mul_i32 s3, s26, s12
	v_mov_b32_e32 v10, s3
	s_sub_i32 s2, s31, s19
	v_sub_co_u32_e32 v10, vcc, s30, v10
	s_cmp_lg_u64 vcc, 0
	s_subb_u32 s30, s2, s27
	v_subrev_co_u32_e64 v11, s[2:3], s26, v10
	s_cmp_lg_u64 s[2:3], 0
	s_subb_u32 s30, s30, 0
	s_cmp_ge_u32 s30, s27
	s_cselect_b32 s33, -1, 0
	v_cmp_le_u32_e64 s[2:3], s26, v11
	s_cmp_eq_u32 s30, s27
	v_cndmask_b32_e64 v11, 0, -1, s[2:3]
	v_mov_b32_e32 v16, s33
	s_cselect_b64 s[2:3], -1, 0
	v_cndmask_b32_e64 v11, v16, v11, s[2:3]
	s_add_u32 s2, s12, 1
	s_addc_u32 s30, s15, 0
	s_add_u32 s3, s12, 2
	s_addc_u32 s33, s15, 0
	v_mov_b32_e32 v16, s2
	v_mov_b32_e32 v17, s3
	v_cmp_ne_u32_e64 s[2:3], 0, v11
	v_cndmask_b32_e64 v11, v16, v17, s[2:3]
	v_mov_b32_e32 v16, s30
	v_mov_b32_e32 v17, s33
	s_cmp_lg_u64 vcc, 0
	v_cndmask_b32_e64 v16, v16, v17, s[2:3]
	s_subb_u32 s2, s31, s19
	s_cmp_ge_u32 s2, s27
	s_cselect_b32 s3, -1, 0
	v_cmp_le_u32_e32 vcc, s26, v10
	s_cmp_eq_u32 s2, s27
	v_cndmask_b32_e64 v10, 0, -1, vcc
	v_mov_b32_e32 v17, s3
	s_cselect_b64 vcc, -1, 0
	v_cndmask_b32_e32 v10, v17, v10, vcc
	v_mov_b32_e32 v17, s15
	v_cmp_ne_u32_e32 vcc, 0, v10
	v_cndmask_b32_e32 v10, v17, v16, vcc
	v_mov_b32_e32 v16, s12
	v_cndmask_b32_e32 v11, v16, v11, vcc
	s_xor_b64 s[2:3], s[28:29], s[24:25]
	v_xor_b32_e32 v11, s2, v11
	v_xor_b32_e32 v16, s3, v10
	v_mov_b32_e32 v17, s3
	v_subrev_co_u32_e32 v10, vcc, s2, v11
	v_subb_co_u32_e32 v11, vcc, v16, v17, vcc
	s_cbranch_execnz .LBB44_38
.LBB44_37:
	v_cvt_f32_u32_e32 v10, s14
	s_sub_i32 s2, 0, s14
	s_mov_b32 s3, 0
	v_rcp_iflag_f32_e32 v10, v10
	v_mul_f32_e32 v10, 0x4f7ffffe, v10
	v_cvt_u32_f32_e32 v10, v10
	v_readfirstlane_b32 s12, v10
	s_mul_i32 s2, s2, s12
	s_mul_hi_u32 s2, s12, s2
	s_add_i32 s12, s12, s2
	s_mul_hi_u32 s2, s18, s12
	s_mul_i32 s15, s2, s14
	s_sub_i32 s15, s18, s15
	s_add_i32 s12, s2, 1
	s_sub_i32 s18, s15, s14
	s_cmp_ge_u32 s15, s14
	s_cselect_b32 s2, s12, s2
	s_cselect_b32 s15, s18, s15
	s_add_i32 s12, s2, 1
	s_cmp_ge_u32 s15, s14
	s_cselect_b32 s2, s12, s2
	v_pk_mov_b32 v[10:11], s[2:3], s[2:3] op_sel:[0,1]
.LBB44_38:
	v_add_co_u32_e32 v10, vcc, v10, v15
	v_addc_co_u32_e32 v11, vcc, 0, v11, vcc
	s_branch .LBB44_41
.LBB44_39:
                                        ; implicit-def: $vgpr10_vgpr11
	s_cbranch_execz .LBB44_41
; %bb.40:
	v_mul_lo_u32 v10, v15, s8
	v_ashrrev_i32_e32 v11, 31, v10
	v_mov_b32_e32 v15, s7
	v_add_co_u32_e32 v10, vcc, s6, v10
	v_addc_co_u32_e32 v11, vcc, v11, v15, vcc
.LBB44_41:
	s_mov_b64 s[2:3], exec
.LBB44_42:
	s_or_b64 exec, exec, s[10:11]
	s_and_b64 vcc, exec, s[4:5]
	s_cbranch_vccz .LBB44_46
.LBB44_43:
	v_mov_b32_dpp v10, v12 quad_perm:[1,0,3,2] row_mask:0xf bank_mask:0xf
	v_cmp_gt_f32_e32 vcc, v12, v10
	v_cndmask_b32_e32 v10, v10, v12, vcc
	s_nop 1
	v_mov_b32_dpp v11, v10 quad_perm:[2,3,0,1] row_mask:0xf bank_mask:0xf
	v_cmp_gt_f32_e32 vcc, v10, v11
	v_cndmask_b32_e32 v10, v11, v10, vcc
	s_nop 1
	v_mov_b32_dpp v11, v10 row_half_mirror row_mask:0xf bank_mask:0xf
	v_cmp_gt_f32_e32 vcc, v10, v11
	v_cndmask_b32_e32 v10, v11, v10, vcc
	s_nop 1
	v_mov_b32_dpp v11, v10 row_mirror row_mask:0xf bank_mask:0xf
	v_cmp_gt_f32_e32 vcc, v10, v11
	v_cndmask_b32_e32 v10, v11, v10, vcc
	s_nop 1
	v_mov_b32_dpp v11, v10 row_bcast:15 row_mask:0xf bank_mask:0xf
	v_cmp_gt_f32_e32 vcc, v10, v11
	v_cndmask_b32_e32 v10, v11, v10, vcc
	s_nop 1
	v_mov_b32_dpp v11, v10 row_bcast:31 row_mask:0xf bank_mask:0xf
	s_and_saveexec_b64 s[2:3], s[0:1]
	s_cbranch_execz .LBB44_45
; %bb.44:
	v_lshrrev_b32_e32 v12, 4, v0
	v_cmp_gt_f32_e32 vcc, v10, v11
	v_and_b32_e32 v12, 60, v12
	v_cndmask_b32_e32 v10, v11, v10, vcc
	ds_write_b32 v12, v10
.LBB44_45:
	s_or_b64 exec, exec, s[2:3]
	s_waitcnt lgkmcnt(0)
	s_barrier
	ds_read_b32 v10, v14
	v_cmp_eq_u32_e64 s[2:3], 0, v0
	s_waitcnt lgkmcnt(0)
	v_mov_b32_dpp v11, v10 quad_perm:[1,0,3,2] row_mask:0xf bank_mask:0xf
	v_cmp_gt_f32_e32 vcc, v10, v11
	v_cndmask_b32_e32 v10, v11, v10, vcc
	s_nop 1
	v_mov_b32_dpp v11, v10 quad_perm:[2,3,0,1] row_mask:0xf bank_mask:0xf
	v_cmp_gt_f32_e32 vcc, v10, v11
	v_cndmask_b32_e32 v10, v11, v10, vcc
	v_mul_f32_e32 v13, 0x3c010204, v10
	v_pk_mov_b32 v[10:11], s[6:7], s[6:7] op_sel:[0,1]
.LBB44_46:
	s_and_saveexec_b64 s[0:1], s[2:3]
	s_cbranch_execz .LBB44_48
; %bb.47:
	v_lshlrev_b64 v[10:11], 2, v[10:11]
	v_mov_b32_e32 v0, s21
	v_add_co_u32_e32 v10, vcc, s20, v10
	v_addc_co_u32_e32 v11, vcc, v0, v11, vcc
	global_store_dword v[10:11], v13, off
.LBB44_48:
	s_or_b64 exec, exec, s[0:1]
	s_add_i32 s0, s9, 3
	s_ashr_i32 s1, s0, 31
	s_lshr_b32 s1, s1, 30
	;;#ASMSTART
	v_rcp_f32 v10, v13
	;;#ASMEND
	v_mov_b32_e32 v11, v10
	;;#ASMSTART
	v_pk_mul_f32 v[8:9], v[8:9], v[10:11]
	;;#ASMEND
	;;#ASMSTART
	v_pk_mul_f32 v[6:7], v[6:7], v[10:11]
	;;#ASMEND
	s_add_i32 s0, s0, s1
	v_cvt_i32_f32_e32 v0, v8
	v_cvt_i32_f32_sdwa v8, v9 dst_sel:BYTE_1 dst_unused:UNUSED_PAD src0_sel:DWORD
	v_cvt_i32_f32_e32 v6, v6
	v_cvt_i32_f32_sdwa v7, v7 dst_sel:BYTE_1 dst_unused:UNUSED_PAD src0_sel:DWORD
	;;#ASMSTART
	v_pk_mul_f32 v[4:5], v[4:5], v[10:11]
	;;#ASMEND
	;;#ASMSTART
	v_pk_mul_f32 v[2:3], v[2:3], v[10:11]
	;;#ASMEND
	s_and_b32 s2, s0, -4
	s_ashr_i32 s0, s13, 31
	v_cvt_i32_f32_e32 v4, v4
	v_cvt_i32_f32_sdwa v5, v5 dst_sel:BYTE_1 dst_unused:UNUSED_PAD src0_sel:DWORD
	v_cvt_i32_f32_e32 v9, v2
	v_cvt_i32_f32_sdwa v3, v3 dst_sel:BYTE_1 dst_unused:UNUSED_PAD src0_sel:DWORD
	s_mul_hi_u32 s1, s13, s6
	s_mul_i32 s0, s0, s6
	s_add_i32 s1, s1, s0
	s_mul_i32 s0, s13, s6
	s_add_u32 s0, s16, s0
	v_or_b32_sdwa v0, v0, v8 dst_sel:DWORD dst_unused:UNUSED_PAD src0_sel:BYTE_0 src1_sel:DWORD
	v_or_b32_sdwa v2, v6, v7 dst_sel:WORD_1 dst_unused:UNUSED_PAD src0_sel:BYTE_0 src1_sel:DWORD
	s_addc_u32 s1, s17, s1
	v_or_b32_sdwa v2, v0, v2 dst_sel:DWORD dst_unused:UNUSED_PAD src0_sel:WORD_0 src1_sel:DWORD
	v_or_b32_sdwa v0, v4, v5 dst_sel:DWORD dst_unused:UNUSED_PAD src0_sel:BYTE_0 src1_sel:DWORD
	v_or_b32_sdwa v3, v9, v3 dst_sel:WORD_1 dst_unused:UNUSED_PAD src0_sel:BYTE_0 src1_sel:DWORD
	s_and_b32 s1, s1, 0xffff
	s_mov_b32 s3, 0x20000
	v_or_b32_sdwa v3, v0, v3 dst_sel:DWORD dst_unused:UNUSED_PAD src0_sel:WORD_0 src1_sel:DWORD
	buffer_store_dwordx2 v[2:3], v1, s[0:3], 0 offen
	;;#ASMSTART
	s_nop 0
	;;#ASMEND
.LBB44_49:
	s_endpgm
.LBB44_50:
                                        ; implicit-def: $vgpr10_vgpr11
	s_branch .LBB44_37
	.section	.rodata,"a",@progbits
	.p2align	6, 0x0
	.amdhsa_kernel _ZN5aiter24add_rmsnorm_quant_kernelItaLi256ELi8ELb1ELb1ELb0ELi1EEEvPT0_PT_PfS4_S4_S4_diiiiiiib
		.amdhsa_group_segment_fixed_size 32
		.amdhsa_private_segment_fixed_size 0
		.amdhsa_kernarg_size 88
		.amdhsa_user_sgpr_count 6
		.amdhsa_user_sgpr_private_segment_buffer 1
		.amdhsa_user_sgpr_dispatch_ptr 0
		.amdhsa_user_sgpr_queue_ptr 0
		.amdhsa_user_sgpr_kernarg_segment_ptr 1
		.amdhsa_user_sgpr_dispatch_id 0
		.amdhsa_user_sgpr_flat_scratch_init 0
		.amdhsa_user_sgpr_kernarg_preload_length 0
		.amdhsa_user_sgpr_kernarg_preload_offset 0
		.amdhsa_user_sgpr_private_segment_size 0
		.amdhsa_uses_dynamic_stack 0
		.amdhsa_system_sgpr_private_segment_wavefront_offset 0
		.amdhsa_system_sgpr_workgroup_id_x 1
		.amdhsa_system_sgpr_workgroup_id_y 0
		.amdhsa_system_sgpr_workgroup_id_z 0
		.amdhsa_system_sgpr_workgroup_info 0
		.amdhsa_system_vgpr_workitem_id 0
		.amdhsa_next_free_vgpr 27
		.amdhsa_next_free_sgpr 40
		.amdhsa_accum_offset 28
		.amdhsa_reserve_vcc 1
		.amdhsa_reserve_flat_scratch 0
		.amdhsa_float_round_mode_32 0
		.amdhsa_float_round_mode_16_64 0
		.amdhsa_float_denorm_mode_32 3
		.amdhsa_float_denorm_mode_16_64 3
		.amdhsa_dx10_clamp 1
		.amdhsa_ieee_mode 1
		.amdhsa_fp16_overflow 0
		.amdhsa_tg_split 0
		.amdhsa_exception_fp_ieee_invalid_op 0
		.amdhsa_exception_fp_denorm_src 0
		.amdhsa_exception_fp_ieee_div_zero 0
		.amdhsa_exception_fp_ieee_overflow 0
		.amdhsa_exception_fp_ieee_underflow 0
		.amdhsa_exception_fp_ieee_inexact 0
		.amdhsa_exception_int_div_zero 0
	.end_amdhsa_kernel
	.section	.text._ZN5aiter24add_rmsnorm_quant_kernelItaLi256ELi8ELb1ELb1ELb0ELi1EEEvPT0_PT_PfS4_S4_S4_diiiiiiib,"axG",@progbits,_ZN5aiter24add_rmsnorm_quant_kernelItaLi256ELi8ELb1ELb1ELb0ELi1EEEvPT0_PT_PfS4_S4_S4_diiiiiiib,comdat
.Lfunc_end44:
	.size	_ZN5aiter24add_rmsnorm_quant_kernelItaLi256ELi8ELb1ELb1ELb0ELi1EEEvPT0_PT_PfS4_S4_S4_diiiiiiib, .Lfunc_end44-_ZN5aiter24add_rmsnorm_quant_kernelItaLi256ELi8ELb1ELb1ELb0ELi1EEEvPT0_PT_PfS4_S4_S4_diiiiiiib
                                        ; -- End function
	.section	.AMDGPU.csdata,"",@progbits
; Kernel info:
; codeLenInByte = 3316
; NumSgprs: 44
; NumVgprs: 27
; NumAgprs: 0
; TotalNumVgprs: 27
; ScratchSize: 0
; MemoryBound: 0
; FloatMode: 240
; IeeeMode: 1
; LDSByteSize: 32 bytes/workgroup (compile time only)
; SGPRBlocks: 5
; VGPRBlocks: 3
; NumSGPRsForWavesPerEU: 44
; NumVGPRsForWavesPerEU: 27
; AccumOffset: 28
; Occupancy: 8
; WaveLimiterHint : 0
; COMPUTE_PGM_RSRC2:SCRATCH_EN: 0
; COMPUTE_PGM_RSRC2:USER_SGPR: 6
; COMPUTE_PGM_RSRC2:TRAP_HANDLER: 0
; COMPUTE_PGM_RSRC2:TGID_X_EN: 1
; COMPUTE_PGM_RSRC2:TGID_Y_EN: 0
; COMPUTE_PGM_RSRC2:TGID_Z_EN: 0
; COMPUTE_PGM_RSRC2:TIDIG_COMP_CNT: 0
; COMPUTE_PGM_RSRC3_GFX90A:ACCUM_OFFSET: 6
; COMPUTE_PGM_RSRC3_GFX90A:TG_SPLIT: 0
	.section	.text._ZN5aiter24add_rmsnorm_quant_kernelIDF16_aLi256ELi16ELb1ELb1ELb1ELi1EEEvPT0_PT_PfS4_S4_S4_diiiiiiib,"axG",@progbits,_ZN5aiter24add_rmsnorm_quant_kernelIDF16_aLi256ELi16ELb1ELb1ELb1ELi1EEEvPT0_PT_PfS4_S4_S4_diiiiiiib,comdat
	.protected	_ZN5aiter24add_rmsnorm_quant_kernelIDF16_aLi256ELi16ELb1ELb1ELb1ELi1EEEvPT0_PT_PfS4_S4_S4_diiiiiiib ; -- Begin function _ZN5aiter24add_rmsnorm_quant_kernelIDF16_aLi256ELi16ELb1ELb1ELb1ELi1EEEvPT0_PT_PfS4_S4_S4_diiiiiiib
	.globl	_ZN5aiter24add_rmsnorm_quant_kernelIDF16_aLi256ELi16ELb1ELb1ELb1ELi1EEEvPT0_PT_PfS4_S4_S4_diiiiiiib
	.p2align	8
	.type	_ZN5aiter24add_rmsnorm_quant_kernelIDF16_aLi256ELi16ELb1ELb1ELb1ELi1EEEvPT0_PT_PfS4_S4_S4_diiiiiiib,@function
_ZN5aiter24add_rmsnorm_quant_kernelIDF16_aLi256ELi16ELb1ELb1ELb1ELi1EEEvPT0_PT_PfS4_S4_S4_diiiiiiib: ; @_ZN5aiter24add_rmsnorm_quant_kernelIDF16_aLi256ELi16ELb1ELb1ELb1ELi1EEEvPT0_PT_PfS4_S4_S4_diiiiiiib
; %bb.0:
	s_load_dwordx8 s[8:15], s[4:5], 0x38
	s_mov_b32 s7, 0
	s_waitcnt lgkmcnt(0)
	s_ashr_i32 s0, s8, 31
	v_mov_b32_e32 v2, s8
	v_mov_b32_e32 v3, s0
	v_cmp_ge_i64_e32 vcc, s[6:7], v[2:3]
	s_cbranch_vccnz .LBB45_49
; %bb.1:
	s_load_dwordx8 s[16:23], s[4:5], 0x0
	s_ashr_i32 s0, s10, 31
	s_mul_hi_u32 s1, s10, s6
	s_mul_i32 s0, s0, s6
	s_add_i32 s1, s1, s0
	s_mul_i32 s0, s10, s6
	s_lshl_b64 s[0:1], s[0:1], 1
	s_waitcnt lgkmcnt(0)
	s_add_u32 s0, s22, s0
	s_addc_u32 s1, s23, s1
	s_add_i32 s2, s9, 1
	s_lshr_b32 s3, s2, 31
	v_lshlrev_b32_e32 v27, 4, v0
	s_add_i32 s2, s2, s3
	v_lshlrev_b32_e32 v1, 3, v0
	v_and_b32_e32 v2, 0x3c00, v27
	s_movk_i32 s10, 0x1f8
	s_lshl_b32 s2, s2, 1
	v_and_or_b32 v1, v1, s10, v2
	s_load_dwordx8 s[24:31], s[4:5], 0x20
	s_and_b32 s2, s2, -4
	s_and_b32 s1, s1, 0xffff
	s_mov_b32 s3, 0x20000
	v_lshlrev_b32_e32 v26, 1, v1
	s_movk_i32 s10, 0x400
	buffer_load_dwordx4 v[10:13], v26, s[0:3], s10 offen glc slc
	buffer_load_dwordx4 v[14:17], v26, s[0:3], 0 offen glc slc
	s_ashr_i32 s0, s11, 31
	s_mul_hi_u32 s1, s11, s6
	s_mul_i32 s0, s0, s6
	s_add_i32 s1, s1, s0
	s_mul_i32 s0, s11, s6
	s_waitcnt lgkmcnt(0)
	s_and_b32 s37, s27, 0xffff
	s_lshl_b64 s[0:1], s[0:1], 1
	s_add_u32 s0, s24, s0
	s_addc_u32 s1, s25, s1
	s_and_b32 s1, s1, 0xffff
	buffer_load_dwordx4 v[18:21], v26, s[0:3], s10 offen glc slc
	buffer_load_dwordx4 v[22:25], v26, s[0:3], 0 offen glc slc
	s_mov_b32 s39, s3
	s_mov_b32 s36, s26
	;; [unrolled: 1-line block ×3, first 2 shown]
	buffer_load_dwordx4 v[6:9], v26, s[36:39], 0 offen
	buffer_load_dwordx4 v[2:5], v26, s[36:39], s10 offen
	s_ashr_i32 s4, s12, 31
	s_mul_hi_u32 s1, s12, s6
	s_mul_i32 s4, s4, s6
	s_mul_i32 s0, s12, s6
	s_add_i32 s1, s1, s4
	s_lshl_b64 s[0:1], s[0:1], 1
	s_add_u32 s0, s18, s0
	s_addc_u32 s1, s19, s1
	s_and_b32 s1, s1, 0xffff
	s_waitcnt vmcnt(5)
	v_cvt_f32_f16_e32 v28, v10
	v_cvt_f32_f16_sdwa v29, v10 dst_sel:DWORD dst_unused:UNUSED_PAD src0_sel:WORD_1
	v_cvt_f32_f16_e32 v10, v11
	v_cvt_f32_f16_sdwa v11, v11 dst_sel:DWORD dst_unused:UNUSED_PAD src0_sel:WORD_1
	v_cvt_f32_f16_e32 v30, v12
	v_cvt_f32_f16_sdwa v31, v12 dst_sel:DWORD dst_unused:UNUSED_PAD src0_sel:WORD_1
	v_cvt_f32_f16_e32 v32, v13
	v_cvt_f32_f16_sdwa v33, v13 dst_sel:DWORD dst_unused:UNUSED_PAD src0_sel:WORD_1
	s_waitcnt vmcnt(4)
	v_cvt_f32_f16_e32 v34, v14
	v_cvt_f32_f16_sdwa v35, v14 dst_sel:DWORD dst_unused:UNUSED_PAD src0_sel:WORD_1
	v_cvt_f32_f16_e32 v36, v15
	v_cvt_f32_f16_sdwa v37, v15 dst_sel:DWORD dst_unused:UNUSED_PAD src0_sel:WORD_1
	v_cvt_f32_f16_e32 v38, v16
	v_cvt_f32_f16_sdwa v39, v16 dst_sel:DWORD dst_unused:UNUSED_PAD src0_sel:WORD_1
	v_cvt_f32_f16_e32 v40, v17
	v_cvt_f32_f16_sdwa v41, v17 dst_sel:DWORD dst_unused:UNUSED_PAD src0_sel:WORD_1
	s_waitcnt vmcnt(3)
	v_cvt_f32_f16_e32 v12, v18
	v_cvt_f32_f16_sdwa v13, v18 dst_sel:DWORD dst_unused:UNUSED_PAD src0_sel:WORD_1
	v_cvt_f32_f16_e32 v14, v19
	v_cvt_f32_f16_sdwa v15, v19 dst_sel:DWORD dst_unused:UNUSED_PAD src0_sel:WORD_1
	v_cvt_f32_f16_e32 v18, v20
	v_cvt_f32_f16_sdwa v19, v20 dst_sel:DWORD dst_unused:UNUSED_PAD src0_sel:WORD_1
	v_cvt_f32_f16_e32 v20, v21
	v_cvt_f32_f16_sdwa v21, v21 dst_sel:DWORD dst_unused:UNUSED_PAD src0_sel:WORD_1
	s_waitcnt vmcnt(2)
	v_cvt_f32_f16_e32 v42, v22
	v_cvt_f32_f16_sdwa v43, v22 dst_sel:DWORD dst_unused:UNUSED_PAD src0_sel:WORD_1
	v_cvt_f32_f16_e32 v22, v23
	v_cvt_f32_f16_sdwa v23, v23 dst_sel:DWORD dst_unused:UNUSED_PAD src0_sel:WORD_1
	v_cvt_f32_f16_e32 v44, v24
	v_cvt_f32_f16_sdwa v45, v24 dst_sel:DWORD dst_unused:UNUSED_PAD src0_sel:WORD_1
	v_cvt_f32_f16_e32 v46, v25
	v_cvt_f32_f16_sdwa v47, v25 dst_sel:DWORD dst_unused:UNUSED_PAD src0_sel:WORD_1
	v_pk_add_f32 v[16:17], v[28:29], v[12:13]
	v_pk_add_f32 v[14:15], v[10:11], v[14:15]
	;; [unrolled: 1-line block ×8, first 2 shown]
	v_cvt_f16_f32_e32 v28, v25
	v_cvt_f16_f32_e32 v29, v21
	;; [unrolled: 1-line block ×8, first 2 shown]
	v_pack_b32_f16 v31, v32, v31
	v_pack_b32_f16 v30, v33, v30
	;; [unrolled: 1-line block ×4, first 2 shown]
	buffer_store_dwordx4 v[28:31], v26, s[0:3], 0 offen glc slc
	v_cvt_f16_f32_e32 v32, v11
	v_cvt_f16_f32_e32 v28, v16
	;; [unrolled: 1-line block ×8, first 2 shown]
	v_pack_b32_f16 v31, v31, v32
	v_pack_b32_f16 v30, v30, v33
	v_pack_b32_f16 v29, v29, v34
	v_pack_b32_f16 v28, v28, v35
	;;#ASMSTART
	s_nop 0
	;;#ASMEND
	buffer_store_dwordx4 v[28:31], v26, s[0:3], s10 offen glc slc
	v_pk_mul_f32 v[28:29], v[24:25], v[24:25]
	v_pk_mul_f32 v[30:31], v[20:21], v[20:21]
	v_add_f32_e32 v26, v28, v29
	v_add_f32_e32 v26, v30, v26
	v_pk_mul_f32 v[32:33], v[18:19], v[18:19]
	v_add_f32_e32 v26, v31, v26
	v_add_f32_e32 v26, v32, v26
	;; [unrolled: 3-line block ×7, first 2 shown]
	v_add_f32_e32 v26, v43, v26
	v_and_b32_e32 v29, 63, v0
	v_cmp_eq_u32_e64 s[0:1], 63, v29
	v_mov_b32_dpp v28, v26 quad_perm:[1,0,3,2] row_mask:0xf bank_mask:0xf
	v_add_f32_e32 v26, v26, v28
	;;#ASMSTART
	s_nop 0
	;;#ASMEND
	s_nop 1
	v_mov_b32_dpp v28, v26 quad_perm:[2,3,0,1] row_mask:0xf bank_mask:0xf
	v_add_f32_e32 v26, v26, v28
	s_nop 1
	v_mov_b32_dpp v28, v26 row_half_mirror row_mask:0xf bank_mask:0xf
	v_add_f32_e32 v26, v26, v28
	s_nop 1
	v_mov_b32_dpp v28, v26 row_mirror row_mask:0xf bank_mask:0xf
	v_add_f32_e32 v26, v26, v28
	s_nop 1
	v_mov_b32_dpp v28, v26 row_bcast:15 row_mask:0xf bank_mask:0xf
	v_add_f32_e32 v26, v26, v28
	s_nop 1
	v_mov_b32_dpp v28, v26 row_bcast:31 row_mask:0xf bank_mask:0xf
	s_and_saveexec_b64 s[2:3], s[0:1]
	s_cbranch_execz .LBB45_3
; %bb.2:
	v_lshrrev_b32_e32 v29, 4, v0
	v_and_b32_e32 v29, 60, v29
	v_add_f32_e32 v26, v26, v28
	ds_write_b32 v29, v26 offset:16
.LBB45_3:
	s_or_b64 exec, exec, s[2:3]
	v_and_b32_e32 v26, 3, v0
	v_lshlrev_b32_e32 v26, 2, v26
	s_waitcnt lgkmcnt(0)
	s_barrier
	ds_read_b32 v28, v26 offset:16
	v_cvt_f32_i32_e32 v29, s9
	s_waitcnt vmcnt(3)
	v_cvt_f32_f16_sdwa v37, v9 dst_sel:DWORD dst_unused:UNUSED_PAD src0_sel:WORD_1
	v_cvt_f32_f16_e32 v36, v9
	s_cmp_lg_u32 s14, 0
	s_waitcnt lgkmcnt(0)
	v_mov_b32_dpp v30, v28 quad_perm:[1,0,3,2] row_mask:0xf bank_mask:0xf
	v_add_f32_e32 v28, v28, v30
	s_nop 1
	v_mov_b32_dpp v30, v28 quad_perm:[2,3,0,1] row_mask:0xf bank_mask:0xf
	v_add_f32_e32 v28, v28, v30
	v_div_scale_f32 v30, s[2:3], v29, v29, v28
	v_rcp_f32_e32 v31, v30
	v_div_scale_f32 v32, vcc, v28, v29, v28
	s_mov_b32 s2, 0x800000
	v_fma_f32 v33, -v30, v31, 1.0
	v_fmac_f32_e32 v31, v33, v31
	v_mul_f32_e32 v33, v32, v31
	v_fma_f32 v34, -v30, v33, v32
	v_fmac_f32_e32 v33, v34, v31
	v_fma_f32 v30, -v30, v33, v32
	v_div_fmas_f32 v30, v30, v31, v33
	v_div_fixup_f32 v28, v30, v29, v28
	v_cvt_f64_f32_e32 v[28:29], v28
	v_add_f64 v[28:29], v[28:29], s[28:29]
	v_cvt_f32_f64_e32 v28, v[28:29]
	v_mul_f32_e32 v29, 0x4b800000, v28
	v_cmp_gt_f32_e32 vcc, s2, v28
	v_cndmask_b32_e32 v28, v28, v29, vcc
	v_rsq_f32_e32 v28, v28
	v_mul_f32_e32 v29, 0x45800000, v28
	v_cndmask_b32_e32 v28, v28, v29, vcc
	v_mov_b32_e32 v29, v28
	;;#ASMSTART
	v_pk_mul_f32 v[24:25], v[24:25], v[28:29]
	;;#ASMEND
	;;#ASMSTART
	v_pk_mul_f32 v[20:21], v[20:21], v[28:29]
	;;#ASMEND
	;;#ASMSTART
	v_pk_mul_f32 v[18:19], v[18:19], v[28:29]
	;;#ASMEND
	;;#ASMSTART
	v_pk_mul_f32 v[22:23], v[22:23], v[28:29]
	;;#ASMEND
	;;#ASMSTART
	v_pk_mul_f32 v[30:31], v[16:17], v[28:29]
	;;#ASMEND
	;;#ASMSTART
	v_pk_mul_f32 v[32:33], v[14:15], v[28:29]
	;;#ASMEND
	;;#ASMSTART
	v_pk_mul_f32 v[34:35], v[12:13], v[28:29]
	;;#ASMEND
	;;#ASMSTART
	v_pk_mul_f32 v[28:29], v[10:11], v[28:29]
	;;#ASMEND
	v_cvt_f32_f16_sdwa v11, v6 dst_sel:DWORD dst_unused:UNUSED_PAD src0_sel:WORD_1
	v_cvt_f32_f16_e32 v10, v6
	v_cvt_f32_f16_sdwa v13, v7 dst_sel:DWORD dst_unused:UNUSED_PAD src0_sel:WORD_1
	v_cvt_f32_f16_e32 v12, v7
	;; [unrolled: 2-line block ×3, first 2 shown]
	;;#ASMSTART
	v_pk_mul_f32 v[16:17], v[24:25], v[10:11]
	;;#ASMEND
	;;#ASMSTART
	v_pk_mul_f32 v[14:15], v[20:21], v[12:13]
	;;#ASMEND
	;; [unrolled: 3-line block ×3, first 2 shown]
	s_waitcnt vmcnt(2)
	v_cvt_f32_f16_sdwa v7, v2 dst_sel:DWORD dst_unused:UNUSED_PAD src0_sel:WORD_1
	v_cvt_f32_f16_e32 v6, v2
	v_cvt_f32_f16_sdwa v19, v3 dst_sel:DWORD dst_unused:UNUSED_PAD src0_sel:WORD_1
	v_cvt_f32_f16_e32 v18, v3
	;; [unrolled: 2-line block ×3, first 2 shown]
	v_cvt_f32_f16_e32 v20, v5
	;;#ASMSTART
	v_pk_mul_f32 v[8:9], v[22:23], v[36:37]
	;;#ASMEND
	v_cvt_f32_f16_sdwa v21, v5 dst_sel:DWORD dst_unused:UNUSED_PAD src0_sel:WORD_1
	;;#ASMSTART
	v_pk_mul_f32 v[12:13], v[30:31], v[6:7]
	;;#ASMEND
	;;#ASMSTART
	v_pk_mul_f32 v[6:7], v[32:33], v[18:19]
	;;#ASMEND
	;; [unrolled: 3-line block ×4, first 2 shown]
	v_and_b32_e32 v18, 0x7fffffff, v16
	v_mov_b32_e32 v20, 0x2edbe6ff
	v_and_b32_e32 v19, 0x7fffffff, v17
	;;#ASMSTART
	v_max3_f32 v18, v20, v18, v19

	;;#ASMEND
	v_and_b32_e32 v20, 0x7fffffff, v15
	v_and_b32_e32 v19, 0x7fffffff, v14
	;;#ASMSTART
	v_max3_f32 v18, v18, v19, v20

	;;#ASMEND
	v_and_b32_e32 v20, 0x7fffffff, v11
	;; [unrolled: 6-line block ×7, first 2 shown]
	v_and_b32_e32 v19, 0x7fffffff, v2
	;;#ASMSTART
	v_max3_f32 v20, v18, v19, v20

	;;#ASMEND
	s_cbranch_scc0 .LBB45_10
; %bb.4:
	s_ashr_i32 s12, s14, 31
	s_lshr_b32 s2, s12, 28
	s_add_i32 s2, s14, s2
	s_ashr_i32 s10, s2, 4
	s_cmp_lt_i32 s10, 16
	s_cbranch_scc1 .LBB45_11
; %bb.5:
	s_cmp_lt_i32 s10, 32
	s_cbranch_scc1 .LBB45_12
; %bb.6:
	;; [unrolled: 3-line block ×3, first 2 shown]
	s_cmp_eq_u32 s10, 64
	v_mov_b32_e32 v18, v20
	s_cbranch_scc0 .LBB45_9
; %bb.8:
	s_nop 0
	v_mov_b32_dpp v18, v20 quad_perm:[1,0,3,2] row_mask:0xf bank_mask:0xf
	v_cmp_gt_f32_e32 vcc, v20, v18
	v_cndmask_b32_e32 v18, v18, v20, vcc
	v_bfrev_b32_e32 v21, 0.5
	s_nop 0
	v_mov_b32_dpp v19, v18 quad_perm:[2,3,0,1] row_mask:0xf bank_mask:0xf
	v_cmp_gt_f32_e32 vcc, v18, v19
	v_cndmask_b32_e32 v18, v19, v18, vcc
	s_nop 1
	v_mov_b32_dpp v19, v18 row_ror:4 row_mask:0xf bank_mask:0xf
	v_cmp_gt_f32_e32 vcc, v18, v19
	v_cndmask_b32_e32 v18, v19, v18, vcc
	s_nop 1
	v_mov_b32_dpp v19, v18 row_ror:8 row_mask:0xf bank_mask:0xf
	v_cmp_gt_f32_e32 vcc, v18, v19
	v_cndmask_b32_e32 v18, v19, v18, vcc
	s_nop 1
	v_mov_b32_dpp v19, v18 row_bcast:15 row_mask:0xf bank_mask:0xf
	v_cmp_gt_f32_e32 vcc, v18, v19
	v_cndmask_b32_e32 v18, v19, v18, vcc
	s_nop 1
	v_mov_b32_dpp v19, v18 row_bcast:31 row_mask:0xf bank_mask:0xf
	v_cmp_gt_f32_e32 vcc, v18, v19
	v_cndmask_b32_e32 v18, v19, v18, vcc
	v_mbcnt_lo_u32_b32 v19, -1, 0
	v_mbcnt_hi_u32_b32 v19, -1, v19
	v_lshl_or_b32 v19, v19, 2, v21
	ds_bpermute_b32 v18, v19, v18
.LBB45_9:
	s_mov_b64 s[2:3], 0
	s_branch .LBB45_14
.LBB45_10:
	s_mov_b64 s[2:3], 0
                                        ; implicit-def: $vgpr21
                                        ; implicit-def: $vgpr18_vgpr19
	s_cbranch_execnz .LBB45_43
	s_branch .LBB45_46
.LBB45_11:
                                        ; implicit-def: $vgpr18
	s_branch .LBB45_21
.LBB45_12:
                                        ; implicit-def: $vgpr18
	s_branch .LBB45_18
.LBB45_13:
	s_mov_b64 s[2:3], -1
                                        ; implicit-def: $vgpr18
.LBB45_14:
	s_andn2_b64 vcc, exec, s[2:3]
	s_cbranch_vccnz .LBB45_17
; %bb.15:
	s_cmp_eq_u32 s10, 32
	s_waitcnt lgkmcnt(0)
	v_mov_b32_e32 v18, v20
	s_cbranch_scc0 .LBB45_17
; %bb.16:
	s_nop 0
	v_mov_b32_dpp v18, v20 quad_perm:[1,0,3,2] row_mask:0xf bank_mask:0xf
	v_cmp_gt_f32_e32 vcc, v20, v18
	v_cndmask_b32_e32 v18, v18, v20, vcc
	v_mov_b32_e32 v21, 0x7c
	s_nop 0
	v_mov_b32_dpp v19, v18 quad_perm:[2,3,0,1] row_mask:0xf bank_mask:0xf
	v_cmp_gt_f32_e32 vcc, v18, v19
	v_cndmask_b32_e32 v18, v19, v18, vcc
	s_nop 1
	v_mov_b32_dpp v19, v18 row_half_mirror row_mask:0xf bank_mask:0xf
	v_cmp_gt_f32_e32 vcc, v18, v19
	v_cndmask_b32_e32 v18, v19, v18, vcc
	s_nop 1
	v_mov_b32_dpp v19, v18 row_mirror row_mask:0xf bank_mask:0xf
	v_cmp_gt_f32_e32 vcc, v18, v19
	v_cndmask_b32_e32 v18, v19, v18, vcc
	s_nop 1
	v_mov_b32_dpp v19, v18 row_bcast:15 row_mask:0xa bank_mask:0xf
	v_cmp_gt_f32_e32 vcc, v18, v19
	v_cndmask_b32_e32 v18, v19, v18, vcc
	v_mbcnt_lo_u32_b32 v19, -1, 0
	v_mbcnt_hi_u32_b32 v19, -1, v19
	v_lshl_or_b32 v19, v19, 2, v21
	ds_bpermute_b32 v18, v19, v18
.LBB45_17:
	s_cbranch_execnz .LBB45_20
.LBB45_18:
	s_cmp_eq_u32 s10, 16
	s_waitcnt lgkmcnt(0)
	v_mov_b32_e32 v18, v20
	s_cbranch_scc0 .LBB45_20
; %bb.19:
	s_nop 0
	v_mov_b32_dpp v18, v20 quad_perm:[1,0,3,2] row_mask:0xf bank_mask:0xf
	v_cmp_gt_f32_e32 vcc, v20, v18
	v_cndmask_b32_e32 v18, v18, v20, vcc
	s_nop 1
	v_mov_b32_dpp v19, v18 quad_perm:[2,3,0,1] row_mask:0xf bank_mask:0xf
	v_cmp_gt_f32_e32 vcc, v18, v19
	v_cndmask_b32_e32 v18, v19, v18, vcc
	s_nop 1
	v_mov_b32_dpp v19, v18 row_half_mirror row_mask:0xf bank_mask:0xf
	v_cmp_gt_f32_e32 vcc, v18, v19
	v_cndmask_b32_e32 v18, v19, v18, vcc
	s_nop 1
	v_mov_b32_dpp v19, v18 row_mirror row_mask:0xf bank_mask:0xf
	v_cmp_gt_f32_e32 vcc, v18, v19
	v_cndmask_b32_e32 v18, v19, v18, vcc
.LBB45_20:
	s_cbranch_execnz .LBB45_33
.LBB45_21:
	s_cmp_lt_i32 s10, 4
	s_cbranch_scc1 .LBB45_25
; %bb.22:
	s_cmp_lt_i32 s10, 8
	s_cbranch_scc1 .LBB45_26
; %bb.23:
	s_cmp_eq_u32 s10, 8
	s_waitcnt lgkmcnt(0)
	v_mov_b32_e32 v18, v20
	s_cbranch_scc0 .LBB45_27
; %bb.24:
	s_nop 0
	v_mov_b32_dpp v18, v20 quad_perm:[1,0,3,2] row_mask:0xf bank_mask:0xf
	v_cmp_gt_f32_e32 vcc, v20, v18
	v_cndmask_b32_e32 v18, v18, v20, vcc
	s_nop 1
	v_mov_b32_dpp v19, v18 quad_perm:[2,3,0,1] row_mask:0xf bank_mask:0xf
	v_cmp_gt_f32_e32 vcc, v18, v19
	v_cndmask_b32_e32 v18, v19, v18, vcc
	s_nop 1
	v_mov_b32_dpp v19, v18 row_half_mirror row_mask:0xf bank_mask:0xf
	v_cmp_gt_f32_e32 vcc, v18, v19
	v_cndmask_b32_e32 v18, v19, v18, vcc
	s_cbranch_execz .LBB45_28
	s_branch .LBB45_30
.LBB45_25:
                                        ; implicit-def: $vgpr18
	s_branch .LBB45_31
.LBB45_26:
                                        ; implicit-def: $vgpr18
	s_branch .LBB45_28
.LBB45_27:
	s_cbranch_execnz .LBB45_30
.LBB45_28:
	s_cmp_eq_u32 s10, 4
	s_waitcnt lgkmcnt(0)
	v_mov_b32_e32 v18, v20
	s_cbranch_scc0 .LBB45_30
; %bb.29:
	s_nop 0
	v_mov_b32_dpp v18, v20 quad_perm:[1,0,3,2] row_mask:0xf bank_mask:0xf
	v_cmp_gt_f32_e32 vcc, v20, v18
	v_cndmask_b32_e32 v18, v18, v20, vcc
	s_nop 1
	v_mov_b32_dpp v19, v18 quad_perm:[2,3,0,1] row_mask:0xf bank_mask:0xf
	v_cmp_gt_f32_e32 vcc, v18, v19
	v_cndmask_b32_e32 v18, v19, v18, vcc
.LBB45_30:
	s_cbranch_execnz .LBB45_33
.LBB45_31:
	s_cmp_lg_u32 s10, 2
	s_waitcnt lgkmcnt(0)
	v_mov_b32_e32 v18, v20
	s_cbranch_scc1 .LBB45_33
; %bb.32:
	s_nop 0
	v_mov_b32_dpp v18, v20 quad_perm:[1,0,3,2] row_mask:0xf bank_mask:0xf
	v_cmp_gt_f32_e32 vcc, v20, v18
	v_cndmask_b32_e32 v18, v18, v20, vcc
.LBB45_33:
	v_cvt_f32_u32_e32 v19, s10
	s_waitcnt lgkmcnt(0)
	v_mul_f32_e32 v21, 0x3c010204, v18
	s_sub_i32 s2, 0, s10
	v_cmp_gt_u32_e32 vcc, s9, v27
	v_rcp_iflag_f32_e32 v19, v19
	s_mov_b64 s[4:5], 0
	v_mul_f32_e32 v18, 0x4f7ffffe, v19
	v_cvt_u32_f32_e32 v18, v18
	v_mul_lo_u32 v19, s2, v18
	v_mul_hi_u32 v19, v18, v19
	v_add_u32_e32 v18, v18, v19
	v_mul_hi_u32 v18, v0, v18
	v_mul_lo_u32 v19, v18, s10
	v_sub_u32_e32 v19, v0, v19
	v_add_u32_e32 v22, 1, v18
	v_cmp_le_u32_e64 s[2:3], s10, v19
	v_cndmask_b32_e64 v18, v18, v22, s[2:3]
	v_subrev_u32_e32 v22, s10, v19
	v_cndmask_b32_e64 v19, v19, v22, s[2:3]
	v_add_u32_e32 v22, 1, v18
	v_cmp_le_u32_e64 s[2:3], s10, v19
	v_cndmask_b32_e64 v22, v18, v22, s[2:3]
	v_mul_lo_u32 v18, v22, s10
	v_sub_u32_e32 v18, v0, v18
	v_cmp_eq_u32_e64 s[2:3], 0, v18
	s_and_b64 s[10:11], s[2:3], vcc
	s_mov_b64 s[2:3], 0
                                        ; implicit-def: $vgpr18_vgpr19
	s_and_saveexec_b64 s[18:19], s[10:11]
	s_xor_b64 s[10:11], exec, s[18:19]
	s_cbranch_execz .LBB45_42
; %bb.34:
	s_bitcmp0_b32 s15, 0
	s_cbranch_scc0 .LBB45_39
; %bb.35:
	s_ashr_i32 s2, s9, 31
	s_mul_hi_u32 s3, s9, s6
	s_mul_i32 s2, s2, s6
	s_add_i32 s19, s3, s2
	s_mul_i32 s18, s9, s6
	s_mov_b32 s15, s12
	s_or_b64 s[2:3], s[18:19], s[14:15]
	s_mov_b32 s2, 0
	s_cmp_lg_u64 s[2:3], 0
	s_cbranch_scc0 .LBB45_50
; %bb.36:
	s_add_u32 s2, s14, s15
	s_mov_b32 s24, s15
	s_mov_b32 s25, s15
	s_addc_u32 s3, s15, s15
	s_xor_b64 s[26:27], s[2:3], s[24:25]
	v_cvt_f32_u32_e32 v18, s26
	v_cvt_f32_u32_e32 v19, s27
	s_sub_u32 s2, 0, s26
	s_subb_u32 s3, 0, s27
	v_madmk_f32 v18, v19, 0x4f800000, v18
	v_rcp_f32_e32 v18, v18
	v_mul_f32_e32 v18, 0x5f7ffffc, v18
	v_mul_f32_e32 v19, 0x2f800000, v18
	v_trunc_f32_e32 v19, v19
	v_madmk_f32 v18, v19, 0xcf800000, v18
	v_cvt_u32_f32_e32 v19, v19
	v_cvt_u32_f32_e32 v18, v18
	v_readfirstlane_b32 s12, v19
	v_readfirstlane_b32 s15, v18
	s_mul_i32 s28, s2, s12
	s_mul_hi_u32 s30, s2, s15
	s_mul_i32 s29, s3, s15
	s_add_i32 s28, s30, s28
	s_add_i32 s28, s28, s29
	s_mul_i32 s31, s2, s15
	s_mul_hi_u32 s29, s15, s28
	s_mul_i32 s30, s15, s28
	s_mul_hi_u32 s15, s15, s31
	s_add_u32 s15, s15, s30
	s_addc_u32 s29, 0, s29
	s_mul_hi_u32 s33, s12, s31
	s_mul_i32 s31, s12, s31
	s_add_u32 s15, s15, s31
	s_mul_hi_u32 s30, s12, s28
	s_addc_u32 s15, s29, s33
	s_addc_u32 s29, s30, 0
	s_mul_i32 s28, s12, s28
	s_add_u32 s15, s15, s28
	s_addc_u32 s28, 0, s29
	v_add_co_u32_e32 v18, vcc, s15, v18
	s_cmp_lg_u64 vcc, 0
	s_addc_u32 s12, s12, s28
	v_readfirstlane_b32 s28, v18
	s_mul_i32 s15, s2, s12
	s_mul_hi_u32 s29, s2, s28
	s_add_i32 s15, s29, s15
	s_mul_i32 s3, s3, s28
	s_add_i32 s15, s15, s3
	s_mul_i32 s2, s2, s28
	s_mul_hi_u32 s29, s12, s2
	s_mul_i32 s30, s12, s2
	s_mul_i32 s33, s28, s15
	s_mul_hi_u32 s2, s28, s2
	s_mul_hi_u32 s31, s28, s15
	s_add_u32 s2, s2, s33
	s_addc_u32 s28, 0, s31
	s_add_u32 s2, s2, s30
	s_mul_hi_u32 s3, s12, s15
	s_addc_u32 s2, s28, s29
	s_addc_u32 s3, s3, 0
	s_mul_i32 s15, s12, s15
	s_add_u32 s2, s2, s15
	s_addc_u32 s3, 0, s3
	v_add_co_u32_e32 v18, vcc, s2, v18
	s_cmp_lg_u64 vcc, 0
	s_addc_u32 s12, s12, s3
	s_ashr_i32 s28, s19, 31
	s_add_u32 s2, s18, s28
	s_mov_b32 s29, s28
	s_addc_u32 s3, s19, s28
	s_xor_b64 s[30:31], s[2:3], s[28:29]
	v_readfirstlane_b32 s15, v18
	s_mul_i32 s3, s30, s12
	s_mul_hi_u32 s19, s30, s15
	s_mul_hi_u32 s2, s30, s12
	s_add_u32 s3, s19, s3
	s_addc_u32 s2, 0, s2
	s_mul_hi_u32 s33, s31, s15
	s_mul_i32 s15, s31, s15
	s_add_u32 s3, s3, s15
	s_mul_hi_u32 s19, s31, s12
	s_addc_u32 s2, s2, s33
	s_addc_u32 s3, s19, 0
	s_mul_i32 s12, s31, s12
	s_add_u32 s12, s2, s12
	s_addc_u32 s15, 0, s3
	s_mul_i32 s2, s26, s15
	s_mul_hi_u32 s3, s26, s12
	s_add_i32 s2, s3, s2
	s_mul_i32 s3, s27, s12
	s_add_i32 s19, s2, s3
	s_mul_i32 s3, s26, s12
	v_mov_b32_e32 v18, s3
	s_sub_i32 s2, s31, s19
	v_sub_co_u32_e32 v18, vcc, s30, v18
	s_cmp_lg_u64 vcc, 0
	s_subb_u32 s30, s2, s27
	v_subrev_co_u32_e64 v19, s[2:3], s26, v18
	s_cmp_lg_u64 s[2:3], 0
	s_subb_u32 s30, s30, 0
	s_cmp_ge_u32 s30, s27
	s_cselect_b32 s33, -1, 0
	v_cmp_le_u32_e64 s[2:3], s26, v19
	s_cmp_eq_u32 s30, s27
	v_cndmask_b32_e64 v19, 0, -1, s[2:3]
	v_mov_b32_e32 v23, s33
	s_cselect_b64 s[2:3], -1, 0
	v_cndmask_b32_e64 v19, v23, v19, s[2:3]
	s_add_u32 s2, s12, 1
	s_addc_u32 s30, s15, 0
	s_add_u32 s3, s12, 2
	s_addc_u32 s33, s15, 0
	v_mov_b32_e32 v23, s2
	v_mov_b32_e32 v24, s3
	v_cmp_ne_u32_e64 s[2:3], 0, v19
	v_cndmask_b32_e64 v19, v23, v24, s[2:3]
	v_mov_b32_e32 v23, s30
	v_mov_b32_e32 v24, s33
	s_cmp_lg_u64 vcc, 0
	v_cndmask_b32_e64 v23, v23, v24, s[2:3]
	s_subb_u32 s2, s31, s19
	s_cmp_ge_u32 s2, s27
	s_cselect_b32 s3, -1, 0
	v_cmp_le_u32_e32 vcc, s26, v18
	s_cmp_eq_u32 s2, s27
	v_cndmask_b32_e64 v18, 0, -1, vcc
	v_mov_b32_e32 v24, s3
	s_cselect_b64 vcc, -1, 0
	v_cndmask_b32_e32 v18, v24, v18, vcc
	v_mov_b32_e32 v24, s15
	v_cmp_ne_u32_e32 vcc, 0, v18
	v_cndmask_b32_e32 v18, v24, v23, vcc
	v_mov_b32_e32 v23, s12
	v_cndmask_b32_e32 v19, v23, v19, vcc
	s_xor_b64 s[2:3], s[28:29], s[24:25]
	v_xor_b32_e32 v19, s2, v19
	v_xor_b32_e32 v23, s3, v18
	v_mov_b32_e32 v24, s3
	v_subrev_co_u32_e32 v18, vcc, s2, v19
	v_subb_co_u32_e32 v19, vcc, v23, v24, vcc
	s_cbranch_execnz .LBB45_38
.LBB45_37:
	v_cvt_f32_u32_e32 v18, s14
	s_sub_i32 s2, 0, s14
	s_mov_b32 s3, 0
	v_rcp_iflag_f32_e32 v18, v18
	v_mul_f32_e32 v18, 0x4f7ffffe, v18
	v_cvt_u32_f32_e32 v18, v18
	v_readfirstlane_b32 s12, v18
	s_mul_i32 s2, s2, s12
	s_mul_hi_u32 s2, s12, s2
	s_add_i32 s12, s12, s2
	s_mul_hi_u32 s2, s18, s12
	s_mul_i32 s15, s2, s14
	s_sub_i32 s15, s18, s15
	s_add_i32 s12, s2, 1
	s_sub_i32 s18, s15, s14
	s_cmp_ge_u32 s15, s14
	s_cselect_b32 s2, s12, s2
	s_cselect_b32 s15, s18, s15
	s_add_i32 s12, s2, 1
	s_cmp_ge_u32 s15, s14
	s_cselect_b32 s2, s12, s2
	v_pk_mov_b32 v[18:19], s[2:3], s[2:3] op_sel:[0,1]
.LBB45_38:
	v_add_co_u32_e32 v18, vcc, v18, v22
	v_addc_co_u32_e32 v19, vcc, 0, v19, vcc
	s_branch .LBB45_41
.LBB45_39:
                                        ; implicit-def: $vgpr18_vgpr19
	s_cbranch_execz .LBB45_41
; %bb.40:
	v_mul_lo_u32 v18, v22, s8
	v_ashrrev_i32_e32 v19, 31, v18
	v_mov_b32_e32 v22, s7
	v_add_co_u32_e32 v18, vcc, s6, v18
	v_addc_co_u32_e32 v19, vcc, v19, v22, vcc
.LBB45_41:
	s_mov_b64 s[2:3], exec
.LBB45_42:
	s_or_b64 exec, exec, s[10:11]
	s_and_b64 vcc, exec, s[4:5]
	s_cbranch_vccz .LBB45_46
.LBB45_43:
	v_mov_b32_dpp v18, v20 quad_perm:[1,0,3,2] row_mask:0xf bank_mask:0xf
	v_cmp_gt_f32_e32 vcc, v20, v18
	v_cndmask_b32_e32 v18, v18, v20, vcc
	s_nop 1
	v_mov_b32_dpp v19, v18 quad_perm:[2,3,0,1] row_mask:0xf bank_mask:0xf
	v_cmp_gt_f32_e32 vcc, v18, v19
	v_cndmask_b32_e32 v18, v19, v18, vcc
	s_nop 1
	v_mov_b32_dpp v19, v18 row_half_mirror row_mask:0xf bank_mask:0xf
	v_cmp_gt_f32_e32 vcc, v18, v19
	v_cndmask_b32_e32 v18, v19, v18, vcc
	s_nop 1
	v_mov_b32_dpp v19, v18 row_mirror row_mask:0xf bank_mask:0xf
	v_cmp_gt_f32_e32 vcc, v18, v19
	v_cndmask_b32_e32 v18, v19, v18, vcc
	s_nop 1
	v_mov_b32_dpp v19, v18 row_bcast:15 row_mask:0xf bank_mask:0xf
	v_cmp_gt_f32_e32 vcc, v18, v19
	v_cndmask_b32_e32 v18, v19, v18, vcc
	s_nop 1
	v_mov_b32_dpp v19, v18 row_bcast:31 row_mask:0xf bank_mask:0xf
	s_and_saveexec_b64 s[2:3], s[0:1]
	s_cbranch_execz .LBB45_45
; %bb.44:
	v_lshrrev_b32_e32 v20, 4, v0
	v_cmp_gt_f32_e32 vcc, v18, v19
	v_and_b32_e32 v20, 60, v20
	v_cndmask_b32_e32 v18, v19, v18, vcc
	ds_write_b32 v20, v18
.LBB45_45:
	s_or_b64 exec, exec, s[2:3]
	s_waitcnt lgkmcnt(0)
	s_barrier
	ds_read_b32 v18, v26
	v_cmp_eq_u32_e64 s[2:3], 0, v0
	s_waitcnt lgkmcnt(0)
	v_mov_b32_dpp v19, v18 quad_perm:[1,0,3,2] row_mask:0xf bank_mask:0xf
	v_cmp_gt_f32_e32 vcc, v18, v19
	v_cndmask_b32_e32 v18, v19, v18, vcc
	s_nop 1
	v_mov_b32_dpp v19, v18 quad_perm:[2,3,0,1] row_mask:0xf bank_mask:0xf
	v_cmp_gt_f32_e32 vcc, v18, v19
	v_cndmask_b32_e32 v18, v19, v18, vcc
	v_mul_f32_e32 v21, 0x3c010204, v18
	v_pk_mov_b32 v[18:19], s[6:7], s[6:7] op_sel:[0,1]
.LBB45_46:
	s_and_saveexec_b64 s[0:1], s[2:3]
	s_cbranch_execz .LBB45_48
; %bb.47:
	v_lshlrev_b64 v[18:19], 2, v[18:19]
	v_mov_b32_e32 v0, s21
	v_add_co_u32_e32 v18, vcc, s20, v18
	v_addc_co_u32_e32 v19, vcc, v0, v19, vcc
	global_store_dword v[18:19], v21, off
.LBB45_48:
	s_or_b64 exec, exec, s[0:1]
	s_add_i32 s0, s9, 3
	s_ashr_i32 s1, s0, 31
	s_lshr_b32 s1, s1, 30
	;;#ASMSTART
	v_rcp_f32 v18, v21
	;;#ASMEND
	v_mov_b32_e32 v19, v18
	;;#ASMSTART
	v_pk_mul_f32 v[16:17], v[16:17], v[18:19]
	;;#ASMEND
	;;#ASMSTART
	v_pk_mul_f32 v[14:15], v[14:15], v[18:19]
	;;#ASMEND
	s_add_i32 s0, s0, s1
	v_cvt_i32_f32_e32 v0, v16
	v_cvt_i32_f32_sdwa v16, v17 dst_sel:BYTE_1 dst_unused:UNUSED_PAD src0_sel:DWORD
	v_cvt_i32_f32_e32 v14, v14
	v_cvt_i32_f32_sdwa v15, v15 dst_sel:BYTE_1 dst_unused:UNUSED_PAD src0_sel:DWORD
	;;#ASMSTART
	v_pk_mul_f32 v[10:11], v[10:11], v[18:19]
	;;#ASMEND
	;;#ASMSTART
	v_pk_mul_f32 v[8:9], v[8:9], v[18:19]
	;;#ASMEND
	s_and_b32 s2, s0, -4
	s_ashr_i32 s0, s13, 31
	v_cvt_i32_f32_e32 v10, v10
	v_cvt_i32_f32_sdwa v11, v11 dst_sel:BYTE_1 dst_unused:UNUSED_PAD src0_sel:DWORD
	v_cvt_i32_f32_e32 v17, v8
	v_cvt_i32_f32_sdwa v9, v9 dst_sel:BYTE_1 dst_unused:UNUSED_PAD src0_sel:DWORD
	s_mul_hi_u32 s1, s13, s6
	s_mul_i32 s0, s0, s6
	s_add_i32 s1, s1, s0
	s_mul_i32 s0, s13, s6
	s_add_u32 s0, s16, s0
	v_or_b32_sdwa v0, v0, v16 dst_sel:DWORD dst_unused:UNUSED_PAD src0_sel:BYTE_0 src1_sel:DWORD
	v_or_b32_sdwa v8, v14, v15 dst_sel:WORD_1 dst_unused:UNUSED_PAD src0_sel:BYTE_0 src1_sel:DWORD
	s_addc_u32 s1, s17, s1
	v_or_b32_sdwa v8, v0, v8 dst_sel:DWORD dst_unused:UNUSED_PAD src0_sel:WORD_0 src1_sel:DWORD
	v_or_b32_sdwa v0, v10, v11 dst_sel:DWORD dst_unused:UNUSED_PAD src0_sel:BYTE_0 src1_sel:DWORD
	v_or_b32_sdwa v9, v17, v9 dst_sel:WORD_1 dst_unused:UNUSED_PAD src0_sel:BYTE_0 src1_sel:DWORD
	s_and_b32 s1, s1, 0xffff
	s_mov_b32 s3, 0x20000
	v_or_b32_sdwa v9, v0, v9 dst_sel:DWORD dst_unused:UNUSED_PAD src0_sel:WORD_0 src1_sel:DWORD
	buffer_store_dwordx2 v[8:9], v1, s[0:3], 0 offen
	;;#ASMSTART
	s_nop 0
	;;#ASMEND
	;;#ASMSTART
	v_pk_mul_f32 v[8:9], v[12:13], v[18:19]
	;;#ASMEND
	;;#ASMSTART
	v_pk_mul_f32 v[6:7], v[6:7], v[18:19]
	;;#ASMEND
	v_cvt_i32_f32_e32 v0, v8
	v_cvt_i32_f32_sdwa v8, v9 dst_sel:BYTE_1 dst_unused:UNUSED_PAD src0_sel:DWORD
	v_cvt_i32_f32_e32 v6, v6
	v_cvt_i32_f32_sdwa v7, v7 dst_sel:BYTE_1 dst_unused:UNUSED_PAD src0_sel:DWORD
	;;#ASMSTART
	v_pk_mul_f32 v[4:5], v[4:5], v[18:19]
	;;#ASMEND
	;;#ASMSTART
	v_pk_mul_f32 v[2:3], v[2:3], v[18:19]
	;;#ASMEND
	v_cvt_i32_f32_e32 v4, v4
	v_cvt_i32_f32_sdwa v5, v5 dst_sel:BYTE_1 dst_unused:UNUSED_PAD src0_sel:DWORD
	v_cvt_i32_f32_e32 v9, v2
	v_cvt_i32_f32_sdwa v3, v3 dst_sel:BYTE_1 dst_unused:UNUSED_PAD src0_sel:DWORD
	v_or_b32_sdwa v0, v0, v8 dst_sel:DWORD dst_unused:UNUSED_PAD src0_sel:BYTE_0 src1_sel:DWORD
	v_or_b32_sdwa v2, v6, v7 dst_sel:WORD_1 dst_unused:UNUSED_PAD src0_sel:BYTE_0 src1_sel:DWORD
	v_or_b32_sdwa v2, v0, v2 dst_sel:DWORD dst_unused:UNUSED_PAD src0_sel:WORD_0 src1_sel:DWORD
	v_or_b32_sdwa v0, v4, v5 dst_sel:DWORD dst_unused:UNUSED_PAD src0_sel:BYTE_0 src1_sel:DWORD
	v_or_b32_sdwa v3, v9, v3 dst_sel:WORD_1 dst_unused:UNUSED_PAD src0_sel:BYTE_0 src1_sel:DWORD
	v_or_b32_sdwa v3, v0, v3 dst_sel:DWORD dst_unused:UNUSED_PAD src0_sel:WORD_0 src1_sel:DWORD
	s_movk_i32 s4, 0x200
	buffer_store_dwordx2 v[2:3], v1, s[0:3], s4 offen
	;;#ASMSTART
	s_nop 0
	;;#ASMEND
.LBB45_49:
	s_endpgm
.LBB45_50:
                                        ; implicit-def: $vgpr18_vgpr19
	s_branch .LBB45_37
	.section	.rodata,"a",@progbits
	.p2align	6, 0x0
	.amdhsa_kernel _ZN5aiter24add_rmsnorm_quant_kernelIDF16_aLi256ELi16ELb1ELb1ELb1ELi1EEEvPT0_PT_PfS4_S4_S4_diiiiiiib
		.amdhsa_group_segment_fixed_size 32
		.amdhsa_private_segment_fixed_size 0
		.amdhsa_kernarg_size 88
		.amdhsa_user_sgpr_count 6
		.amdhsa_user_sgpr_private_segment_buffer 1
		.amdhsa_user_sgpr_dispatch_ptr 0
		.amdhsa_user_sgpr_queue_ptr 0
		.amdhsa_user_sgpr_kernarg_segment_ptr 1
		.amdhsa_user_sgpr_dispatch_id 0
		.amdhsa_user_sgpr_flat_scratch_init 0
		.amdhsa_user_sgpr_kernarg_preload_length 0
		.amdhsa_user_sgpr_kernarg_preload_offset 0
		.amdhsa_user_sgpr_private_segment_size 0
		.amdhsa_uses_dynamic_stack 0
		.amdhsa_system_sgpr_private_segment_wavefront_offset 0
		.amdhsa_system_sgpr_workgroup_id_x 1
		.amdhsa_system_sgpr_workgroup_id_y 0
		.amdhsa_system_sgpr_workgroup_id_z 0
		.amdhsa_system_sgpr_workgroup_info 0
		.amdhsa_system_vgpr_workitem_id 0
		.amdhsa_next_free_vgpr 48
		.amdhsa_next_free_sgpr 40
		.amdhsa_accum_offset 48
		.amdhsa_reserve_vcc 1
		.amdhsa_reserve_flat_scratch 0
		.amdhsa_float_round_mode_32 0
		.amdhsa_float_round_mode_16_64 0
		.amdhsa_float_denorm_mode_32 3
		.amdhsa_float_denorm_mode_16_64 3
		.amdhsa_dx10_clamp 1
		.amdhsa_ieee_mode 1
		.amdhsa_fp16_overflow 0
		.amdhsa_tg_split 0
		.amdhsa_exception_fp_ieee_invalid_op 0
		.amdhsa_exception_fp_denorm_src 0
		.amdhsa_exception_fp_ieee_div_zero 0
		.amdhsa_exception_fp_ieee_overflow 0
		.amdhsa_exception_fp_ieee_underflow 0
		.amdhsa_exception_fp_ieee_inexact 0
		.amdhsa_exception_int_div_zero 0
	.end_amdhsa_kernel
	.section	.text._ZN5aiter24add_rmsnorm_quant_kernelIDF16_aLi256ELi16ELb1ELb1ELb1ELi1EEEvPT0_PT_PfS4_S4_S4_diiiiiiib,"axG",@progbits,_ZN5aiter24add_rmsnorm_quant_kernelIDF16_aLi256ELi16ELb1ELb1ELb1ELi1EEEvPT0_PT_PfS4_S4_S4_diiiiiiib,comdat
.Lfunc_end45:
	.size	_ZN5aiter24add_rmsnorm_quant_kernelIDF16_aLi256ELi16ELb1ELb1ELb1ELi1EEEvPT0_PT_PfS4_S4_S4_diiiiiiib, .Lfunc_end45-_ZN5aiter24add_rmsnorm_quant_kernelIDF16_aLi256ELi16ELb1ELb1ELb1ELi1EEEvPT0_PT_PfS4_S4_S4_diiiiiiib
                                        ; -- End function
	.section	.AMDGPU.csdata,"",@progbits
; Kernel info:
; codeLenInByte = 3984
; NumSgprs: 44
; NumVgprs: 48
; NumAgprs: 0
; TotalNumVgprs: 48
; ScratchSize: 0
; MemoryBound: 0
; FloatMode: 240
; IeeeMode: 1
; LDSByteSize: 32 bytes/workgroup (compile time only)
; SGPRBlocks: 5
; VGPRBlocks: 5
; NumSGPRsForWavesPerEU: 44
; NumVGPRsForWavesPerEU: 48
; AccumOffset: 48
; Occupancy: 8
; WaveLimiterHint : 0
; COMPUTE_PGM_RSRC2:SCRATCH_EN: 0
; COMPUTE_PGM_RSRC2:USER_SGPR: 6
; COMPUTE_PGM_RSRC2:TRAP_HANDLER: 0
; COMPUTE_PGM_RSRC2:TGID_X_EN: 1
; COMPUTE_PGM_RSRC2:TGID_Y_EN: 0
; COMPUTE_PGM_RSRC2:TGID_Z_EN: 0
; COMPUTE_PGM_RSRC2:TIDIG_COMP_CNT: 0
; COMPUTE_PGM_RSRC3_GFX90A:ACCUM_OFFSET: 11
; COMPUTE_PGM_RSRC3_GFX90A:TG_SPLIT: 0
	.section	.text._ZN5aiter24add_rmsnorm_quant_kernelItaLi256ELi16ELb1ELb1ELb1ELi1EEEvPT0_PT_PfS4_S4_S4_diiiiiiib,"axG",@progbits,_ZN5aiter24add_rmsnorm_quant_kernelItaLi256ELi16ELb1ELb1ELb1ELi1EEEvPT0_PT_PfS4_S4_S4_diiiiiiib,comdat
	.protected	_ZN5aiter24add_rmsnorm_quant_kernelItaLi256ELi16ELb1ELb1ELb1ELi1EEEvPT0_PT_PfS4_S4_S4_diiiiiiib ; -- Begin function _ZN5aiter24add_rmsnorm_quant_kernelItaLi256ELi16ELb1ELb1ELb1ELi1EEEvPT0_PT_PfS4_S4_S4_diiiiiiib
	.globl	_ZN5aiter24add_rmsnorm_quant_kernelItaLi256ELi16ELb1ELb1ELb1ELi1EEEvPT0_PT_PfS4_S4_S4_diiiiiiib
	.p2align	8
	.type	_ZN5aiter24add_rmsnorm_quant_kernelItaLi256ELi16ELb1ELb1ELb1ELi1EEEvPT0_PT_PfS4_S4_S4_diiiiiiib,@function
_ZN5aiter24add_rmsnorm_quant_kernelItaLi256ELi16ELb1ELb1ELb1ELi1EEEvPT0_PT_PfS4_S4_S4_diiiiiiib: ; @_ZN5aiter24add_rmsnorm_quant_kernelItaLi256ELi16ELb1ELb1ELb1ELi1EEEvPT0_PT_PfS4_S4_S4_diiiiiiib
; %bb.0:
	s_load_dwordx8 s[8:15], s[4:5], 0x38
	s_mov_b32 s7, 0
	s_waitcnt lgkmcnt(0)
	s_ashr_i32 s0, s8, 31
	v_mov_b32_e32 v2, s8
	v_mov_b32_e32 v3, s0
	v_cmp_ge_i64_e32 vcc, s[6:7], v[2:3]
	s_cbranch_vccnz .LBB46_49
; %bb.1:
	s_load_dwordx8 s[16:23], s[4:5], 0x0
	s_ashr_i32 s0, s10, 31
	s_mul_hi_u32 s1, s10, s6
	s_mul_i32 s0, s0, s6
	s_add_i32 s1, s1, s0
	s_mul_i32 s0, s10, s6
	s_lshl_b64 s[0:1], s[0:1], 1
	s_waitcnt lgkmcnt(0)
	s_add_u32 s0, s22, s0
	s_addc_u32 s1, s23, s1
	s_add_i32 s2, s9, 1
	s_lshr_b32 s3, s2, 31
	v_lshlrev_b32_e32 v27, 4, v0
	s_add_i32 s2, s2, s3
	v_lshlrev_b32_e32 v1, 3, v0
	v_and_b32_e32 v2, 0x3c00, v27
	s_movk_i32 s10, 0x1f8
	s_lshl_b32 s2, s2, 1
	v_and_or_b32 v1, v1, s10, v2
	s_load_dwordx8 s[24:31], s[4:5], 0x20
	s_and_b32 s2, s2, -4
	s_and_b32 s1, s1, 0xffff
	s_mov_b32 s3, 0x20000
	v_lshlrev_b32_e32 v26, 1, v1
	s_movk_i32 s10, 0x400
	buffer_load_dwordx4 v[18:21], v26, s[0:3], s10 offen glc slc
	buffer_load_dwordx4 v[10:13], v26, s[0:3], 0 offen glc slc
	s_ashr_i32 s0, s11, 31
	s_mul_hi_u32 s1, s11, s6
	s_mul_i32 s0, s0, s6
	s_add_i32 s1, s1, s0
	s_mul_i32 s0, s11, s6
	s_waitcnt lgkmcnt(0)
	s_and_b32 s37, s27, 0xffff
	s_lshl_b64 s[0:1], s[0:1], 1
	s_add_u32 s0, s24, s0
	s_addc_u32 s1, s25, s1
	s_and_b32 s1, s1, 0xffff
	buffer_load_dwordx4 v[22:25], v26, s[0:3], s10 offen glc slc
	buffer_load_dwordx4 v[14:17], v26, s[0:3], 0 offen glc slc
	s_mov_b32 s39, s3
	s_mov_b32 s36, s26
	;; [unrolled: 1-line block ×3, first 2 shown]
	buffer_load_dwordx4 v[6:9], v26, s[36:39], 0 offen
	buffer_load_dwordx4 v[2:5], v26, s[36:39], s10 offen
	s_ashr_i32 s5, s12, 31
	s_mul_hi_u32 s1, s12, s6
	s_mul_i32 s5, s5, s6
	s_mul_i32 s0, s12, s6
	s_add_i32 s1, s1, s5
	s_lshl_b64 s[0:1], s[0:1], 1
	s_add_u32 s0, s18, s0
	s_mov_b32 s4, 0x7060302
	s_addc_u32 s1, s19, s1
	s_and_b32 s1, s1, 0xffff
	s_waitcnt vmcnt(5)
	v_cvt_f32_u32_sdwa v29, v18 dst_sel:DWORD dst_unused:UNUSED_PAD src0_sel:WORD_1
	v_cvt_f32_u32_sdwa v28, v18 dst_sel:DWORD dst_unused:UNUSED_PAD src0_sel:WORD_0
	v_cvt_f32_u32_sdwa v31, v19 dst_sel:DWORD dst_unused:UNUSED_PAD src0_sel:WORD_1
	v_cvt_f32_u32_sdwa v30, v19 dst_sel:DWORD dst_unused:UNUSED_PAD src0_sel:WORD_0
	v_cvt_f32_u32_sdwa v19, v20 dst_sel:DWORD dst_unused:UNUSED_PAD src0_sel:WORD_1
	v_cvt_f32_u32_sdwa v18, v20 dst_sel:DWORD dst_unused:UNUSED_PAD src0_sel:WORD_0
	v_cvt_f32_u32_sdwa v33, v21 dst_sel:DWORD dst_unused:UNUSED_PAD src0_sel:WORD_1
	v_cvt_f32_u32_sdwa v32, v21 dst_sel:DWORD dst_unused:UNUSED_PAD src0_sel:WORD_0
	s_waitcnt vmcnt(4)
	v_cvt_f32_u32_sdwa v21, v10 dst_sel:DWORD dst_unused:UNUSED_PAD src0_sel:WORD_1
	v_cvt_f32_u32_sdwa v20, v10 dst_sel:DWORD dst_unused:UNUSED_PAD src0_sel:WORD_0
	v_cvt_f32_u32_sdwa v35, v11 dst_sel:DWORD dst_unused:UNUSED_PAD src0_sel:WORD_1
	v_cvt_f32_u32_sdwa v34, v11 dst_sel:DWORD dst_unused:UNUSED_PAD src0_sel:WORD_0
	v_cvt_f32_u32_sdwa v37, v12 dst_sel:DWORD dst_unused:UNUSED_PAD src0_sel:WORD_1
	v_cvt_f32_u32_sdwa v36, v12 dst_sel:DWORD dst_unused:UNUSED_PAD src0_sel:WORD_0
	v_cvt_f32_u32_sdwa v39, v13 dst_sel:DWORD dst_unused:UNUSED_PAD src0_sel:WORD_1
	v_cvt_f32_u32_sdwa v38, v13 dst_sel:DWORD dst_unused:UNUSED_PAD src0_sel:WORD_0
	;; [unrolled: 9-line block ×4, first 2 shown]
	v_pk_add_f32 v[14:15], v[30:31], v[12:13]
	v_pk_add_f32 v[12:13], v[18:19], v[22:23]
	;; [unrolled: 1-line block ×8, first 2 shown]
	v_perm_b32 v31, v19, v18, s4
	v_perm_b32 v30, v21, v20, s4
	;; [unrolled: 1-line block ×6, first 2 shown]
	buffer_store_dwordx4 v[28:31], v26, s[0:3], 0 offen glc slc
	;;#ASMSTART
	s_nop 0
	;;#ASMEND
	v_pk_mul_f32 v[34:35], v[18:19], v[18:19]
	v_perm_b32 v31, v15, v14, s4
	v_perm_b32 v30, v17, v16, s4
	v_pk_mul_f32 v[28:29], v[24:25], v[24:25]
	buffer_store_dwordx4 v[30:33], v26, s[0:3], s10 offen glc slc
	v_pk_mul_f32 v[30:31], v[22:23], v[22:23]
	v_add_f32_e32 v26, v28, v29
	v_add_f32_e32 v26, v30, v26
	v_pk_mul_f32 v[32:33], v[20:21], v[20:21]
	v_add_f32_e32 v26, v31, v26
	v_add_f32_e32 v26, v32, v26
	;; [unrolled: 1-line block ×4, first 2 shown]
	v_pk_mul_f32 v[36:37], v[16:17], v[16:17]
	v_add_f32_e32 v26, v35, v26
	v_add_f32_e32 v26, v36, v26
	v_pk_mul_f32 v[38:39], v[14:15], v[14:15]
	v_add_f32_e32 v26, v37, v26
	v_add_f32_e32 v26, v38, v26
	;; [unrolled: 3-line block ×4, first 2 shown]
	v_add_f32_e32 v26, v43, v26
	v_and_b32_e32 v29, 63, v0
	v_cmp_eq_u32_e64 s[0:1], 63, v29
	v_mov_b32_dpp v28, v26 quad_perm:[1,0,3,2] row_mask:0xf bank_mask:0xf
	v_add_f32_e32 v26, v26, v28
	;;#ASMSTART
	s_nop 0
	;;#ASMEND
	s_nop 1
	v_mov_b32_dpp v28, v26 quad_perm:[2,3,0,1] row_mask:0xf bank_mask:0xf
	v_add_f32_e32 v26, v26, v28
	s_nop 1
	v_mov_b32_dpp v28, v26 row_half_mirror row_mask:0xf bank_mask:0xf
	v_add_f32_e32 v26, v26, v28
	s_nop 1
	v_mov_b32_dpp v28, v26 row_mirror row_mask:0xf bank_mask:0xf
	v_add_f32_e32 v26, v26, v28
	s_nop 1
	v_mov_b32_dpp v28, v26 row_bcast:15 row_mask:0xf bank_mask:0xf
	v_add_f32_e32 v26, v26, v28
	s_nop 1
	v_mov_b32_dpp v28, v26 row_bcast:31 row_mask:0xf bank_mask:0xf
	s_and_saveexec_b64 s[2:3], s[0:1]
	s_cbranch_execz .LBB46_3
; %bb.2:
	v_lshrrev_b32_e32 v29, 4, v0
	v_and_b32_e32 v29, 60, v29
	v_add_f32_e32 v26, v26, v28
	ds_write_b32 v29, v26 offset:16
.LBB46_3:
	s_or_b64 exec, exec, s[2:3]
	v_and_b32_e32 v26, 3, v0
	v_lshlrev_b32_e32 v26, 2, v26
	s_waitcnt lgkmcnt(0)
	s_barrier
	ds_read_b32 v28, v26 offset:16
	v_cvt_f32_i32_e32 v29, s9
	s_waitcnt vmcnt(3)
	v_cvt_f32_u32_sdwa v37, v9 dst_sel:DWORD dst_unused:UNUSED_PAD src0_sel:WORD_1
	v_cvt_f32_u32_sdwa v36, v9 dst_sel:DWORD dst_unused:UNUSED_PAD src0_sel:WORD_0
	s_cmp_lg_u32 s14, 0
	s_waitcnt lgkmcnt(0)
	v_mov_b32_dpp v30, v28 quad_perm:[1,0,3,2] row_mask:0xf bank_mask:0xf
	v_add_f32_e32 v28, v28, v30
	s_nop 1
	v_mov_b32_dpp v30, v28 quad_perm:[2,3,0,1] row_mask:0xf bank_mask:0xf
	v_add_f32_e32 v28, v28, v30
	v_div_scale_f32 v30, s[2:3], v29, v29, v28
	v_rcp_f32_e32 v31, v30
	v_div_scale_f32 v32, vcc, v28, v29, v28
	s_mov_b32 s2, 0x800000
	v_fma_f32 v33, -v30, v31, 1.0
	v_fmac_f32_e32 v31, v33, v31
	v_mul_f32_e32 v33, v32, v31
	v_fma_f32 v34, -v30, v33, v32
	v_fmac_f32_e32 v33, v34, v31
	v_fma_f32 v30, -v30, v33, v32
	v_div_fmas_f32 v30, v30, v31, v33
	v_div_fixup_f32 v28, v30, v29, v28
	v_cvt_f64_f32_e32 v[28:29], v28
	v_add_f64 v[28:29], v[28:29], s[28:29]
	v_cvt_f32_f64_e32 v28, v[28:29]
	v_mul_f32_e32 v29, 0x4b800000, v28
	v_cmp_gt_f32_e32 vcc, s2, v28
	v_cndmask_b32_e32 v28, v28, v29, vcc
	v_rsq_f32_e32 v28, v28
	v_mul_f32_e32 v29, 0x45800000, v28
	v_cndmask_b32_e32 v28, v28, v29, vcc
	v_mov_b32_e32 v29, v28
	;;#ASMSTART
	v_pk_mul_f32 v[24:25], v[24:25], v[28:29]
	;;#ASMEND
	;;#ASMSTART
	v_pk_mul_f32 v[22:23], v[22:23], v[28:29]
	;;#ASMEND
	;;#ASMSTART
	v_pk_mul_f32 v[20:21], v[20:21], v[28:29]
	;;#ASMEND
	;;#ASMSTART
	v_pk_mul_f32 v[18:19], v[18:19], v[28:29]
	;;#ASMEND
	;;#ASMSTART
	v_pk_mul_f32 v[30:31], v[16:17], v[28:29]
	;;#ASMEND
	;;#ASMSTART
	v_pk_mul_f32 v[32:33], v[14:15], v[28:29]
	;;#ASMEND
	;;#ASMSTART
	v_pk_mul_f32 v[34:35], v[12:13], v[28:29]
	;;#ASMEND
	;;#ASMSTART
	v_pk_mul_f32 v[28:29], v[10:11], v[28:29]
	;;#ASMEND
	v_cvt_f32_u32_sdwa v11, v6 dst_sel:DWORD dst_unused:UNUSED_PAD src0_sel:WORD_1
	v_cvt_f32_u32_sdwa v10, v6 dst_sel:DWORD dst_unused:UNUSED_PAD src0_sel:WORD_0
	v_cvt_f32_u32_sdwa v13, v7 dst_sel:DWORD dst_unused:UNUSED_PAD src0_sel:WORD_1
	v_cvt_f32_u32_sdwa v12, v7 dst_sel:DWORD dst_unused:UNUSED_PAD src0_sel:WORD_0
	;; [unrolled: 2-line block ×3, first 2 shown]
	;;#ASMSTART
	v_pk_mul_f32 v[16:17], v[24:25], v[10:11]
	;;#ASMEND
	;;#ASMSTART
	v_pk_mul_f32 v[14:15], v[22:23], v[12:13]
	;;#ASMEND
	;; [unrolled: 3-line block ×4, first 2 shown]
	s_waitcnt vmcnt(2)
	v_cvt_f32_u32_sdwa v7, v2 dst_sel:DWORD dst_unused:UNUSED_PAD src0_sel:WORD_1
	v_cvt_f32_u32_sdwa v6, v2 dst_sel:DWORD dst_unused:UNUSED_PAD src0_sel:WORD_0
	v_cvt_f32_u32_sdwa v19, v3 dst_sel:DWORD dst_unused:UNUSED_PAD src0_sel:WORD_1
	v_cvt_f32_u32_sdwa v18, v3 dst_sel:DWORD dst_unused:UNUSED_PAD src0_sel:WORD_0
	;; [unrolled: 2-line block ×3, first 2 shown]
	v_cvt_f32_u32_sdwa v20, v5 dst_sel:DWORD dst_unused:UNUSED_PAD src0_sel:WORD_0
	v_cvt_f32_u32_sdwa v21, v5 dst_sel:DWORD dst_unused:UNUSED_PAD src0_sel:WORD_1
	;;#ASMSTART
	v_pk_mul_f32 v[12:13], v[30:31], v[6:7]
	;;#ASMEND
	;;#ASMSTART
	v_pk_mul_f32 v[6:7], v[32:33], v[18:19]
	;;#ASMEND
	;;#ASMSTART
	v_pk_mul_f32 v[4:5], v[34:35], v[2:3]
	;;#ASMEND
	;;#ASMSTART
	v_pk_mul_f32 v[2:3], v[28:29], v[20:21]
	;;#ASMEND
	v_and_b32_e32 v18, 0x7fffffff, v16
	v_mov_b32_e32 v20, 0x2edbe6ff
	v_and_b32_e32 v19, 0x7fffffff, v17
	;;#ASMSTART
	v_max3_f32 v18, v20, v18, v19

	;;#ASMEND
	v_and_b32_e32 v20, 0x7fffffff, v15
	v_and_b32_e32 v19, 0x7fffffff, v14
	;;#ASMSTART
	v_max3_f32 v18, v18, v19, v20

	;;#ASMEND
	v_and_b32_e32 v20, 0x7fffffff, v11
	;; [unrolled: 6-line block ×7, first 2 shown]
	v_and_b32_e32 v19, 0x7fffffff, v2
	;;#ASMSTART
	v_max3_f32 v20, v18, v19, v20

	;;#ASMEND
	s_cbranch_scc0 .LBB46_10
; %bb.4:
	s_ashr_i32 s12, s14, 31
	s_lshr_b32 s2, s12, 28
	s_add_i32 s2, s14, s2
	s_ashr_i32 s10, s2, 4
	s_cmp_lt_i32 s10, 16
	s_cbranch_scc1 .LBB46_11
; %bb.5:
	s_cmp_lt_i32 s10, 32
	s_cbranch_scc1 .LBB46_12
; %bb.6:
	;; [unrolled: 3-line block ×3, first 2 shown]
	s_cmp_eq_u32 s10, 64
	v_mov_b32_e32 v18, v20
	s_cbranch_scc0 .LBB46_9
; %bb.8:
	s_nop 0
	v_mov_b32_dpp v18, v20 quad_perm:[1,0,3,2] row_mask:0xf bank_mask:0xf
	v_cmp_gt_f32_e32 vcc, v20, v18
	v_cndmask_b32_e32 v18, v18, v20, vcc
	v_bfrev_b32_e32 v21, 0.5
	s_nop 0
	v_mov_b32_dpp v19, v18 quad_perm:[2,3,0,1] row_mask:0xf bank_mask:0xf
	v_cmp_gt_f32_e32 vcc, v18, v19
	v_cndmask_b32_e32 v18, v19, v18, vcc
	s_nop 1
	v_mov_b32_dpp v19, v18 row_ror:4 row_mask:0xf bank_mask:0xf
	v_cmp_gt_f32_e32 vcc, v18, v19
	v_cndmask_b32_e32 v18, v19, v18, vcc
	s_nop 1
	v_mov_b32_dpp v19, v18 row_ror:8 row_mask:0xf bank_mask:0xf
	v_cmp_gt_f32_e32 vcc, v18, v19
	v_cndmask_b32_e32 v18, v19, v18, vcc
	s_nop 1
	v_mov_b32_dpp v19, v18 row_bcast:15 row_mask:0xf bank_mask:0xf
	v_cmp_gt_f32_e32 vcc, v18, v19
	v_cndmask_b32_e32 v18, v19, v18, vcc
	s_nop 1
	v_mov_b32_dpp v19, v18 row_bcast:31 row_mask:0xf bank_mask:0xf
	v_cmp_gt_f32_e32 vcc, v18, v19
	v_cndmask_b32_e32 v18, v19, v18, vcc
	v_mbcnt_lo_u32_b32 v19, -1, 0
	v_mbcnt_hi_u32_b32 v19, -1, v19
	v_lshl_or_b32 v19, v19, 2, v21
	ds_bpermute_b32 v18, v19, v18
.LBB46_9:
	s_mov_b64 s[2:3], 0
	s_branch .LBB46_14
.LBB46_10:
	s_mov_b64 s[2:3], 0
                                        ; implicit-def: $vgpr21
                                        ; implicit-def: $vgpr18_vgpr19
	s_cbranch_execnz .LBB46_43
	s_branch .LBB46_46
.LBB46_11:
                                        ; implicit-def: $vgpr18
	s_branch .LBB46_21
.LBB46_12:
                                        ; implicit-def: $vgpr18
	s_branch .LBB46_18
.LBB46_13:
	s_mov_b64 s[2:3], -1
                                        ; implicit-def: $vgpr18
.LBB46_14:
	s_andn2_b64 vcc, exec, s[2:3]
	s_cbranch_vccnz .LBB46_17
; %bb.15:
	s_cmp_eq_u32 s10, 32
	s_waitcnt lgkmcnt(0)
	v_mov_b32_e32 v18, v20
	s_cbranch_scc0 .LBB46_17
; %bb.16:
	s_nop 0
	v_mov_b32_dpp v18, v20 quad_perm:[1,0,3,2] row_mask:0xf bank_mask:0xf
	v_cmp_gt_f32_e32 vcc, v20, v18
	v_cndmask_b32_e32 v18, v18, v20, vcc
	v_mov_b32_e32 v21, 0x7c
	s_nop 0
	v_mov_b32_dpp v19, v18 quad_perm:[2,3,0,1] row_mask:0xf bank_mask:0xf
	v_cmp_gt_f32_e32 vcc, v18, v19
	v_cndmask_b32_e32 v18, v19, v18, vcc
	s_nop 1
	v_mov_b32_dpp v19, v18 row_half_mirror row_mask:0xf bank_mask:0xf
	v_cmp_gt_f32_e32 vcc, v18, v19
	v_cndmask_b32_e32 v18, v19, v18, vcc
	s_nop 1
	v_mov_b32_dpp v19, v18 row_mirror row_mask:0xf bank_mask:0xf
	v_cmp_gt_f32_e32 vcc, v18, v19
	v_cndmask_b32_e32 v18, v19, v18, vcc
	s_nop 1
	v_mov_b32_dpp v19, v18 row_bcast:15 row_mask:0xa bank_mask:0xf
	v_cmp_gt_f32_e32 vcc, v18, v19
	v_cndmask_b32_e32 v18, v19, v18, vcc
	v_mbcnt_lo_u32_b32 v19, -1, 0
	v_mbcnt_hi_u32_b32 v19, -1, v19
	v_lshl_or_b32 v19, v19, 2, v21
	ds_bpermute_b32 v18, v19, v18
.LBB46_17:
	s_cbranch_execnz .LBB46_20
.LBB46_18:
	s_cmp_eq_u32 s10, 16
	s_waitcnt lgkmcnt(0)
	v_mov_b32_e32 v18, v20
	s_cbranch_scc0 .LBB46_20
; %bb.19:
	s_nop 0
	v_mov_b32_dpp v18, v20 quad_perm:[1,0,3,2] row_mask:0xf bank_mask:0xf
	v_cmp_gt_f32_e32 vcc, v20, v18
	v_cndmask_b32_e32 v18, v18, v20, vcc
	s_nop 1
	v_mov_b32_dpp v19, v18 quad_perm:[2,3,0,1] row_mask:0xf bank_mask:0xf
	v_cmp_gt_f32_e32 vcc, v18, v19
	v_cndmask_b32_e32 v18, v19, v18, vcc
	s_nop 1
	v_mov_b32_dpp v19, v18 row_half_mirror row_mask:0xf bank_mask:0xf
	v_cmp_gt_f32_e32 vcc, v18, v19
	v_cndmask_b32_e32 v18, v19, v18, vcc
	s_nop 1
	v_mov_b32_dpp v19, v18 row_mirror row_mask:0xf bank_mask:0xf
	v_cmp_gt_f32_e32 vcc, v18, v19
	v_cndmask_b32_e32 v18, v19, v18, vcc
.LBB46_20:
	s_cbranch_execnz .LBB46_33
.LBB46_21:
	s_cmp_lt_i32 s10, 4
	s_cbranch_scc1 .LBB46_25
; %bb.22:
	s_cmp_lt_i32 s10, 8
	s_cbranch_scc1 .LBB46_26
; %bb.23:
	s_cmp_eq_u32 s10, 8
	s_waitcnt lgkmcnt(0)
	v_mov_b32_e32 v18, v20
	s_cbranch_scc0 .LBB46_27
; %bb.24:
	s_nop 0
	v_mov_b32_dpp v18, v20 quad_perm:[1,0,3,2] row_mask:0xf bank_mask:0xf
	v_cmp_gt_f32_e32 vcc, v20, v18
	v_cndmask_b32_e32 v18, v18, v20, vcc
	s_nop 1
	v_mov_b32_dpp v19, v18 quad_perm:[2,3,0,1] row_mask:0xf bank_mask:0xf
	v_cmp_gt_f32_e32 vcc, v18, v19
	v_cndmask_b32_e32 v18, v19, v18, vcc
	s_nop 1
	v_mov_b32_dpp v19, v18 row_half_mirror row_mask:0xf bank_mask:0xf
	v_cmp_gt_f32_e32 vcc, v18, v19
	v_cndmask_b32_e32 v18, v19, v18, vcc
	s_cbranch_execz .LBB46_28
	s_branch .LBB46_30
.LBB46_25:
                                        ; implicit-def: $vgpr18
	s_branch .LBB46_31
.LBB46_26:
                                        ; implicit-def: $vgpr18
	s_branch .LBB46_28
.LBB46_27:
	s_cbranch_execnz .LBB46_30
.LBB46_28:
	s_cmp_eq_u32 s10, 4
	s_waitcnt lgkmcnt(0)
	v_mov_b32_e32 v18, v20
	s_cbranch_scc0 .LBB46_30
; %bb.29:
	s_nop 0
	v_mov_b32_dpp v18, v20 quad_perm:[1,0,3,2] row_mask:0xf bank_mask:0xf
	v_cmp_gt_f32_e32 vcc, v20, v18
	v_cndmask_b32_e32 v18, v18, v20, vcc
	s_nop 1
	v_mov_b32_dpp v19, v18 quad_perm:[2,3,0,1] row_mask:0xf bank_mask:0xf
	v_cmp_gt_f32_e32 vcc, v18, v19
	v_cndmask_b32_e32 v18, v19, v18, vcc
.LBB46_30:
	s_cbranch_execnz .LBB46_33
.LBB46_31:
	s_cmp_lg_u32 s10, 2
	s_waitcnt lgkmcnt(0)
	v_mov_b32_e32 v18, v20
	s_cbranch_scc1 .LBB46_33
; %bb.32:
	s_nop 0
	v_mov_b32_dpp v18, v20 quad_perm:[1,0,3,2] row_mask:0xf bank_mask:0xf
	v_cmp_gt_f32_e32 vcc, v20, v18
	v_cndmask_b32_e32 v18, v18, v20, vcc
.LBB46_33:
	v_cvt_f32_u32_e32 v19, s10
	s_waitcnt lgkmcnt(0)
	v_mul_f32_e32 v21, 0x3c010204, v18
	s_sub_i32 s2, 0, s10
	v_cmp_gt_u32_e32 vcc, s9, v27
	v_rcp_iflag_f32_e32 v19, v19
	s_mov_b64 s[4:5], 0
	v_mul_f32_e32 v18, 0x4f7ffffe, v19
	v_cvt_u32_f32_e32 v18, v18
	v_mul_lo_u32 v19, s2, v18
	v_mul_hi_u32 v19, v18, v19
	v_add_u32_e32 v18, v18, v19
	v_mul_hi_u32 v18, v0, v18
	v_mul_lo_u32 v19, v18, s10
	v_sub_u32_e32 v19, v0, v19
	v_add_u32_e32 v22, 1, v18
	v_cmp_le_u32_e64 s[2:3], s10, v19
	v_cndmask_b32_e64 v18, v18, v22, s[2:3]
	v_subrev_u32_e32 v22, s10, v19
	v_cndmask_b32_e64 v19, v19, v22, s[2:3]
	v_add_u32_e32 v22, 1, v18
	v_cmp_le_u32_e64 s[2:3], s10, v19
	v_cndmask_b32_e64 v22, v18, v22, s[2:3]
	v_mul_lo_u32 v18, v22, s10
	v_sub_u32_e32 v18, v0, v18
	v_cmp_eq_u32_e64 s[2:3], 0, v18
	s_and_b64 s[10:11], s[2:3], vcc
	s_mov_b64 s[2:3], 0
                                        ; implicit-def: $vgpr18_vgpr19
	s_and_saveexec_b64 s[18:19], s[10:11]
	s_xor_b64 s[10:11], exec, s[18:19]
	s_cbranch_execz .LBB46_42
; %bb.34:
	s_bitcmp0_b32 s15, 0
	s_cbranch_scc0 .LBB46_39
; %bb.35:
	s_ashr_i32 s2, s9, 31
	s_mul_hi_u32 s3, s9, s6
	s_mul_i32 s2, s2, s6
	s_add_i32 s19, s3, s2
	s_mul_i32 s18, s9, s6
	s_mov_b32 s15, s12
	s_or_b64 s[2:3], s[18:19], s[14:15]
	s_mov_b32 s2, 0
	s_cmp_lg_u64 s[2:3], 0
	s_cbranch_scc0 .LBB46_50
; %bb.36:
	s_add_u32 s2, s14, s15
	s_mov_b32 s24, s15
	s_mov_b32 s25, s15
	s_addc_u32 s3, s15, s15
	s_xor_b64 s[26:27], s[2:3], s[24:25]
	v_cvt_f32_u32_e32 v18, s26
	v_cvt_f32_u32_e32 v19, s27
	s_sub_u32 s2, 0, s26
	s_subb_u32 s3, 0, s27
	v_madmk_f32 v18, v19, 0x4f800000, v18
	v_rcp_f32_e32 v18, v18
	v_mul_f32_e32 v18, 0x5f7ffffc, v18
	v_mul_f32_e32 v19, 0x2f800000, v18
	v_trunc_f32_e32 v19, v19
	v_madmk_f32 v18, v19, 0xcf800000, v18
	v_cvt_u32_f32_e32 v19, v19
	v_cvt_u32_f32_e32 v18, v18
	v_readfirstlane_b32 s12, v19
	v_readfirstlane_b32 s15, v18
	s_mul_i32 s28, s2, s12
	s_mul_hi_u32 s30, s2, s15
	s_mul_i32 s29, s3, s15
	s_add_i32 s28, s30, s28
	s_add_i32 s28, s28, s29
	s_mul_i32 s31, s2, s15
	s_mul_hi_u32 s29, s15, s28
	s_mul_i32 s30, s15, s28
	s_mul_hi_u32 s15, s15, s31
	s_add_u32 s15, s15, s30
	s_addc_u32 s29, 0, s29
	s_mul_hi_u32 s33, s12, s31
	s_mul_i32 s31, s12, s31
	s_add_u32 s15, s15, s31
	s_mul_hi_u32 s30, s12, s28
	s_addc_u32 s15, s29, s33
	s_addc_u32 s29, s30, 0
	s_mul_i32 s28, s12, s28
	s_add_u32 s15, s15, s28
	s_addc_u32 s28, 0, s29
	v_add_co_u32_e32 v18, vcc, s15, v18
	s_cmp_lg_u64 vcc, 0
	s_addc_u32 s12, s12, s28
	v_readfirstlane_b32 s28, v18
	s_mul_i32 s15, s2, s12
	s_mul_hi_u32 s29, s2, s28
	s_add_i32 s15, s29, s15
	s_mul_i32 s3, s3, s28
	s_add_i32 s15, s15, s3
	s_mul_i32 s2, s2, s28
	s_mul_hi_u32 s29, s12, s2
	s_mul_i32 s30, s12, s2
	s_mul_i32 s33, s28, s15
	s_mul_hi_u32 s2, s28, s2
	s_mul_hi_u32 s31, s28, s15
	s_add_u32 s2, s2, s33
	s_addc_u32 s28, 0, s31
	s_add_u32 s2, s2, s30
	s_mul_hi_u32 s3, s12, s15
	s_addc_u32 s2, s28, s29
	s_addc_u32 s3, s3, 0
	s_mul_i32 s15, s12, s15
	s_add_u32 s2, s2, s15
	s_addc_u32 s3, 0, s3
	v_add_co_u32_e32 v18, vcc, s2, v18
	s_cmp_lg_u64 vcc, 0
	s_addc_u32 s12, s12, s3
	s_ashr_i32 s28, s19, 31
	s_add_u32 s2, s18, s28
	s_mov_b32 s29, s28
	s_addc_u32 s3, s19, s28
	s_xor_b64 s[30:31], s[2:3], s[28:29]
	v_readfirstlane_b32 s15, v18
	s_mul_i32 s3, s30, s12
	s_mul_hi_u32 s19, s30, s15
	s_mul_hi_u32 s2, s30, s12
	s_add_u32 s3, s19, s3
	s_addc_u32 s2, 0, s2
	s_mul_hi_u32 s33, s31, s15
	s_mul_i32 s15, s31, s15
	s_add_u32 s3, s3, s15
	s_mul_hi_u32 s19, s31, s12
	s_addc_u32 s2, s2, s33
	s_addc_u32 s3, s19, 0
	s_mul_i32 s12, s31, s12
	s_add_u32 s12, s2, s12
	s_addc_u32 s15, 0, s3
	s_mul_i32 s2, s26, s15
	s_mul_hi_u32 s3, s26, s12
	s_add_i32 s2, s3, s2
	s_mul_i32 s3, s27, s12
	s_add_i32 s19, s2, s3
	s_mul_i32 s3, s26, s12
	v_mov_b32_e32 v18, s3
	s_sub_i32 s2, s31, s19
	v_sub_co_u32_e32 v18, vcc, s30, v18
	s_cmp_lg_u64 vcc, 0
	s_subb_u32 s30, s2, s27
	v_subrev_co_u32_e64 v19, s[2:3], s26, v18
	s_cmp_lg_u64 s[2:3], 0
	s_subb_u32 s30, s30, 0
	s_cmp_ge_u32 s30, s27
	s_cselect_b32 s33, -1, 0
	v_cmp_le_u32_e64 s[2:3], s26, v19
	s_cmp_eq_u32 s30, s27
	v_cndmask_b32_e64 v19, 0, -1, s[2:3]
	v_mov_b32_e32 v23, s33
	s_cselect_b64 s[2:3], -1, 0
	v_cndmask_b32_e64 v19, v23, v19, s[2:3]
	s_add_u32 s2, s12, 1
	s_addc_u32 s30, s15, 0
	s_add_u32 s3, s12, 2
	s_addc_u32 s33, s15, 0
	v_mov_b32_e32 v23, s2
	v_mov_b32_e32 v24, s3
	v_cmp_ne_u32_e64 s[2:3], 0, v19
	v_cndmask_b32_e64 v19, v23, v24, s[2:3]
	v_mov_b32_e32 v23, s30
	v_mov_b32_e32 v24, s33
	s_cmp_lg_u64 vcc, 0
	v_cndmask_b32_e64 v23, v23, v24, s[2:3]
	s_subb_u32 s2, s31, s19
	s_cmp_ge_u32 s2, s27
	s_cselect_b32 s3, -1, 0
	v_cmp_le_u32_e32 vcc, s26, v18
	s_cmp_eq_u32 s2, s27
	v_cndmask_b32_e64 v18, 0, -1, vcc
	v_mov_b32_e32 v24, s3
	s_cselect_b64 vcc, -1, 0
	v_cndmask_b32_e32 v18, v24, v18, vcc
	v_mov_b32_e32 v24, s15
	v_cmp_ne_u32_e32 vcc, 0, v18
	v_cndmask_b32_e32 v18, v24, v23, vcc
	v_mov_b32_e32 v23, s12
	v_cndmask_b32_e32 v19, v23, v19, vcc
	s_xor_b64 s[2:3], s[28:29], s[24:25]
	v_xor_b32_e32 v19, s2, v19
	v_xor_b32_e32 v23, s3, v18
	v_mov_b32_e32 v24, s3
	v_subrev_co_u32_e32 v18, vcc, s2, v19
	v_subb_co_u32_e32 v19, vcc, v23, v24, vcc
	s_cbranch_execnz .LBB46_38
.LBB46_37:
	v_cvt_f32_u32_e32 v18, s14
	s_sub_i32 s2, 0, s14
	s_mov_b32 s3, 0
	v_rcp_iflag_f32_e32 v18, v18
	v_mul_f32_e32 v18, 0x4f7ffffe, v18
	v_cvt_u32_f32_e32 v18, v18
	v_readfirstlane_b32 s12, v18
	s_mul_i32 s2, s2, s12
	s_mul_hi_u32 s2, s12, s2
	s_add_i32 s12, s12, s2
	s_mul_hi_u32 s2, s18, s12
	s_mul_i32 s15, s2, s14
	s_sub_i32 s15, s18, s15
	s_add_i32 s12, s2, 1
	s_sub_i32 s18, s15, s14
	s_cmp_ge_u32 s15, s14
	s_cselect_b32 s2, s12, s2
	s_cselect_b32 s15, s18, s15
	s_add_i32 s12, s2, 1
	s_cmp_ge_u32 s15, s14
	s_cselect_b32 s2, s12, s2
	v_pk_mov_b32 v[18:19], s[2:3], s[2:3] op_sel:[0,1]
.LBB46_38:
	v_add_co_u32_e32 v18, vcc, v18, v22
	v_addc_co_u32_e32 v19, vcc, 0, v19, vcc
	s_branch .LBB46_41
.LBB46_39:
                                        ; implicit-def: $vgpr18_vgpr19
	s_cbranch_execz .LBB46_41
; %bb.40:
	v_mul_lo_u32 v18, v22, s8
	v_ashrrev_i32_e32 v19, 31, v18
	v_mov_b32_e32 v22, s7
	v_add_co_u32_e32 v18, vcc, s6, v18
	v_addc_co_u32_e32 v19, vcc, v19, v22, vcc
.LBB46_41:
	s_mov_b64 s[2:3], exec
.LBB46_42:
	s_or_b64 exec, exec, s[10:11]
	s_and_b64 vcc, exec, s[4:5]
	s_cbranch_vccz .LBB46_46
.LBB46_43:
	v_mov_b32_dpp v18, v20 quad_perm:[1,0,3,2] row_mask:0xf bank_mask:0xf
	v_cmp_gt_f32_e32 vcc, v20, v18
	v_cndmask_b32_e32 v18, v18, v20, vcc
	s_nop 1
	v_mov_b32_dpp v19, v18 quad_perm:[2,3,0,1] row_mask:0xf bank_mask:0xf
	v_cmp_gt_f32_e32 vcc, v18, v19
	v_cndmask_b32_e32 v18, v19, v18, vcc
	s_nop 1
	v_mov_b32_dpp v19, v18 row_half_mirror row_mask:0xf bank_mask:0xf
	v_cmp_gt_f32_e32 vcc, v18, v19
	v_cndmask_b32_e32 v18, v19, v18, vcc
	s_nop 1
	v_mov_b32_dpp v19, v18 row_mirror row_mask:0xf bank_mask:0xf
	v_cmp_gt_f32_e32 vcc, v18, v19
	v_cndmask_b32_e32 v18, v19, v18, vcc
	s_nop 1
	v_mov_b32_dpp v19, v18 row_bcast:15 row_mask:0xf bank_mask:0xf
	v_cmp_gt_f32_e32 vcc, v18, v19
	v_cndmask_b32_e32 v18, v19, v18, vcc
	s_nop 1
	v_mov_b32_dpp v19, v18 row_bcast:31 row_mask:0xf bank_mask:0xf
	s_and_saveexec_b64 s[2:3], s[0:1]
	s_cbranch_execz .LBB46_45
; %bb.44:
	v_lshrrev_b32_e32 v20, 4, v0
	v_cmp_gt_f32_e32 vcc, v18, v19
	v_and_b32_e32 v20, 60, v20
	v_cndmask_b32_e32 v18, v19, v18, vcc
	ds_write_b32 v20, v18
.LBB46_45:
	s_or_b64 exec, exec, s[2:3]
	s_waitcnt lgkmcnt(0)
	s_barrier
	ds_read_b32 v18, v26
	v_cmp_eq_u32_e64 s[2:3], 0, v0
	s_waitcnt lgkmcnt(0)
	v_mov_b32_dpp v19, v18 quad_perm:[1,0,3,2] row_mask:0xf bank_mask:0xf
	v_cmp_gt_f32_e32 vcc, v18, v19
	v_cndmask_b32_e32 v18, v19, v18, vcc
	s_nop 1
	v_mov_b32_dpp v19, v18 quad_perm:[2,3,0,1] row_mask:0xf bank_mask:0xf
	v_cmp_gt_f32_e32 vcc, v18, v19
	v_cndmask_b32_e32 v18, v19, v18, vcc
	v_mul_f32_e32 v21, 0x3c010204, v18
	v_pk_mov_b32 v[18:19], s[6:7], s[6:7] op_sel:[0,1]
.LBB46_46:
	s_and_saveexec_b64 s[0:1], s[2:3]
	s_cbranch_execz .LBB46_48
; %bb.47:
	v_lshlrev_b64 v[18:19], 2, v[18:19]
	v_mov_b32_e32 v0, s21
	v_add_co_u32_e32 v18, vcc, s20, v18
	v_addc_co_u32_e32 v19, vcc, v0, v19, vcc
	global_store_dword v[18:19], v21, off
.LBB46_48:
	s_or_b64 exec, exec, s[0:1]
	s_add_i32 s0, s9, 3
	s_ashr_i32 s1, s0, 31
	s_lshr_b32 s1, s1, 30
	;;#ASMSTART
	v_rcp_f32 v18, v21
	;;#ASMEND
	v_mov_b32_e32 v19, v18
	;;#ASMSTART
	v_pk_mul_f32 v[16:17], v[16:17], v[18:19]
	;;#ASMEND
	;;#ASMSTART
	v_pk_mul_f32 v[14:15], v[14:15], v[18:19]
	;;#ASMEND
	s_add_i32 s0, s0, s1
	v_cvt_i32_f32_e32 v0, v16
	v_cvt_i32_f32_sdwa v16, v17 dst_sel:BYTE_1 dst_unused:UNUSED_PAD src0_sel:DWORD
	v_cvt_i32_f32_e32 v14, v14
	v_cvt_i32_f32_sdwa v15, v15 dst_sel:BYTE_1 dst_unused:UNUSED_PAD src0_sel:DWORD
	;;#ASMSTART
	v_pk_mul_f32 v[10:11], v[10:11], v[18:19]
	;;#ASMEND
	;;#ASMSTART
	v_pk_mul_f32 v[8:9], v[8:9], v[18:19]
	;;#ASMEND
	s_and_b32 s2, s0, -4
	s_ashr_i32 s0, s13, 31
	v_cvt_i32_f32_e32 v10, v10
	v_cvt_i32_f32_sdwa v11, v11 dst_sel:BYTE_1 dst_unused:UNUSED_PAD src0_sel:DWORD
	v_cvt_i32_f32_e32 v17, v8
	v_cvt_i32_f32_sdwa v9, v9 dst_sel:BYTE_1 dst_unused:UNUSED_PAD src0_sel:DWORD
	s_mul_hi_u32 s1, s13, s6
	s_mul_i32 s0, s0, s6
	s_add_i32 s1, s1, s0
	s_mul_i32 s0, s13, s6
	s_add_u32 s0, s16, s0
	v_or_b32_sdwa v0, v0, v16 dst_sel:DWORD dst_unused:UNUSED_PAD src0_sel:BYTE_0 src1_sel:DWORD
	v_or_b32_sdwa v8, v14, v15 dst_sel:WORD_1 dst_unused:UNUSED_PAD src0_sel:BYTE_0 src1_sel:DWORD
	s_addc_u32 s1, s17, s1
	v_or_b32_sdwa v8, v0, v8 dst_sel:DWORD dst_unused:UNUSED_PAD src0_sel:WORD_0 src1_sel:DWORD
	v_or_b32_sdwa v0, v10, v11 dst_sel:DWORD dst_unused:UNUSED_PAD src0_sel:BYTE_0 src1_sel:DWORD
	v_or_b32_sdwa v9, v17, v9 dst_sel:WORD_1 dst_unused:UNUSED_PAD src0_sel:BYTE_0 src1_sel:DWORD
	s_and_b32 s1, s1, 0xffff
	s_mov_b32 s3, 0x20000
	v_or_b32_sdwa v9, v0, v9 dst_sel:DWORD dst_unused:UNUSED_PAD src0_sel:WORD_0 src1_sel:DWORD
	buffer_store_dwordx2 v[8:9], v1, s[0:3], 0 offen
	;;#ASMSTART
	s_nop 0
	;;#ASMEND
	;;#ASMSTART
	v_pk_mul_f32 v[8:9], v[12:13], v[18:19]
	;;#ASMEND
	;;#ASMSTART
	v_pk_mul_f32 v[6:7], v[6:7], v[18:19]
	;;#ASMEND
	v_cvt_i32_f32_e32 v0, v8
	v_cvt_i32_f32_sdwa v8, v9 dst_sel:BYTE_1 dst_unused:UNUSED_PAD src0_sel:DWORD
	v_cvt_i32_f32_e32 v6, v6
	v_cvt_i32_f32_sdwa v7, v7 dst_sel:BYTE_1 dst_unused:UNUSED_PAD src0_sel:DWORD
	;;#ASMSTART
	v_pk_mul_f32 v[4:5], v[4:5], v[18:19]
	;;#ASMEND
	;;#ASMSTART
	v_pk_mul_f32 v[2:3], v[2:3], v[18:19]
	;;#ASMEND
	v_cvt_i32_f32_e32 v4, v4
	v_cvt_i32_f32_sdwa v5, v5 dst_sel:BYTE_1 dst_unused:UNUSED_PAD src0_sel:DWORD
	v_cvt_i32_f32_e32 v9, v2
	v_cvt_i32_f32_sdwa v3, v3 dst_sel:BYTE_1 dst_unused:UNUSED_PAD src0_sel:DWORD
	v_or_b32_sdwa v0, v0, v8 dst_sel:DWORD dst_unused:UNUSED_PAD src0_sel:BYTE_0 src1_sel:DWORD
	v_or_b32_sdwa v2, v6, v7 dst_sel:WORD_1 dst_unused:UNUSED_PAD src0_sel:BYTE_0 src1_sel:DWORD
	v_or_b32_sdwa v2, v0, v2 dst_sel:DWORD dst_unused:UNUSED_PAD src0_sel:WORD_0 src1_sel:DWORD
	v_or_b32_sdwa v0, v4, v5 dst_sel:DWORD dst_unused:UNUSED_PAD src0_sel:BYTE_0 src1_sel:DWORD
	v_or_b32_sdwa v3, v9, v3 dst_sel:WORD_1 dst_unused:UNUSED_PAD src0_sel:BYTE_0 src1_sel:DWORD
	v_or_b32_sdwa v3, v0, v3 dst_sel:DWORD dst_unused:UNUSED_PAD src0_sel:WORD_0 src1_sel:DWORD
	s_movk_i32 s4, 0x200
	buffer_store_dwordx2 v[2:3], v1, s[0:3], s4 offen
	;;#ASMSTART
	s_nop 0
	;;#ASMEND
.LBB46_49:
	s_endpgm
.LBB46_50:
                                        ; implicit-def: $vgpr18_vgpr19
	s_branch .LBB46_37
	.section	.rodata,"a",@progbits
	.p2align	6, 0x0
	.amdhsa_kernel _ZN5aiter24add_rmsnorm_quant_kernelItaLi256ELi16ELb1ELb1ELb1ELi1EEEvPT0_PT_PfS4_S4_S4_diiiiiiib
		.amdhsa_group_segment_fixed_size 32
		.amdhsa_private_segment_fixed_size 0
		.amdhsa_kernarg_size 88
		.amdhsa_user_sgpr_count 6
		.amdhsa_user_sgpr_private_segment_buffer 1
		.amdhsa_user_sgpr_dispatch_ptr 0
		.amdhsa_user_sgpr_queue_ptr 0
		.amdhsa_user_sgpr_kernarg_segment_ptr 1
		.amdhsa_user_sgpr_dispatch_id 0
		.amdhsa_user_sgpr_flat_scratch_init 0
		.amdhsa_user_sgpr_kernarg_preload_length 0
		.amdhsa_user_sgpr_kernarg_preload_offset 0
		.amdhsa_user_sgpr_private_segment_size 0
		.amdhsa_uses_dynamic_stack 0
		.amdhsa_system_sgpr_private_segment_wavefront_offset 0
		.amdhsa_system_sgpr_workgroup_id_x 1
		.amdhsa_system_sgpr_workgroup_id_y 0
		.amdhsa_system_sgpr_workgroup_id_z 0
		.amdhsa_system_sgpr_workgroup_info 0
		.amdhsa_system_vgpr_workitem_id 0
		.amdhsa_next_free_vgpr 48
		.amdhsa_next_free_sgpr 40
		.amdhsa_accum_offset 48
		.amdhsa_reserve_vcc 1
		.amdhsa_reserve_flat_scratch 0
		.amdhsa_float_round_mode_32 0
		.amdhsa_float_round_mode_16_64 0
		.amdhsa_float_denorm_mode_32 3
		.amdhsa_float_denorm_mode_16_64 3
		.amdhsa_dx10_clamp 1
		.amdhsa_ieee_mode 1
		.amdhsa_fp16_overflow 0
		.amdhsa_tg_split 0
		.amdhsa_exception_fp_ieee_invalid_op 0
		.amdhsa_exception_fp_denorm_src 0
		.amdhsa_exception_fp_ieee_div_zero 0
		.amdhsa_exception_fp_ieee_overflow 0
		.amdhsa_exception_fp_ieee_underflow 0
		.amdhsa_exception_fp_ieee_inexact 0
		.amdhsa_exception_int_div_zero 0
	.end_amdhsa_kernel
	.section	.text._ZN5aiter24add_rmsnorm_quant_kernelItaLi256ELi16ELb1ELb1ELb1ELi1EEEvPT0_PT_PfS4_S4_S4_diiiiiiib,"axG",@progbits,_ZN5aiter24add_rmsnorm_quant_kernelItaLi256ELi16ELb1ELb1ELb1ELi1EEEvPT0_PT_PfS4_S4_S4_diiiiiiib,comdat
.Lfunc_end46:
	.size	_ZN5aiter24add_rmsnorm_quant_kernelItaLi256ELi16ELb1ELb1ELb1ELi1EEEvPT0_PT_PfS4_S4_S4_diiiiiiib, .Lfunc_end46-_ZN5aiter24add_rmsnorm_quant_kernelItaLi256ELi16ELb1ELb1ELb1ELi1EEEvPT0_PT_PfS4_S4_S4_diiiiiiib
                                        ; -- End function
	.section	.AMDGPU.csdata,"",@progbits
; Kernel info:
; codeLenInByte = 4024
; NumSgprs: 44
; NumVgprs: 48
; NumAgprs: 0
; TotalNumVgprs: 48
; ScratchSize: 0
; MemoryBound: 0
; FloatMode: 240
; IeeeMode: 1
; LDSByteSize: 32 bytes/workgroup (compile time only)
; SGPRBlocks: 5
; VGPRBlocks: 5
; NumSGPRsForWavesPerEU: 44
; NumVGPRsForWavesPerEU: 48
; AccumOffset: 48
; Occupancy: 8
; WaveLimiterHint : 0
; COMPUTE_PGM_RSRC2:SCRATCH_EN: 0
; COMPUTE_PGM_RSRC2:USER_SGPR: 6
; COMPUTE_PGM_RSRC2:TRAP_HANDLER: 0
; COMPUTE_PGM_RSRC2:TGID_X_EN: 1
; COMPUTE_PGM_RSRC2:TGID_Y_EN: 0
; COMPUTE_PGM_RSRC2:TGID_Z_EN: 0
; COMPUTE_PGM_RSRC2:TIDIG_COMP_CNT: 0
; COMPUTE_PGM_RSRC3_GFX90A:ACCUM_OFFSET: 11
; COMPUTE_PGM_RSRC3_GFX90A:TG_SPLIT: 0
	.section	.text._ZN5aiter24add_rmsnorm_quant_kernelIDF16_aLi256ELi16ELb1ELb1ELb0ELi1EEEvPT0_PT_PfS4_S4_S4_diiiiiiib,"axG",@progbits,_ZN5aiter24add_rmsnorm_quant_kernelIDF16_aLi256ELi16ELb1ELb1ELb0ELi1EEEvPT0_PT_PfS4_S4_S4_diiiiiiib,comdat
	.protected	_ZN5aiter24add_rmsnorm_quant_kernelIDF16_aLi256ELi16ELb1ELb1ELb0ELi1EEEvPT0_PT_PfS4_S4_S4_diiiiiiib ; -- Begin function _ZN5aiter24add_rmsnorm_quant_kernelIDF16_aLi256ELi16ELb1ELb1ELb0ELi1EEEvPT0_PT_PfS4_S4_S4_diiiiiiib
	.globl	_ZN5aiter24add_rmsnorm_quant_kernelIDF16_aLi256ELi16ELb1ELb1ELb0ELi1EEEvPT0_PT_PfS4_S4_S4_diiiiiiib
	.p2align	8
	.type	_ZN5aiter24add_rmsnorm_quant_kernelIDF16_aLi256ELi16ELb1ELb1ELb0ELi1EEEvPT0_PT_PfS4_S4_S4_diiiiiiib,@function
_ZN5aiter24add_rmsnorm_quant_kernelIDF16_aLi256ELi16ELb1ELb1ELb0ELi1EEEvPT0_PT_PfS4_S4_S4_diiiiiiib: ; @_ZN5aiter24add_rmsnorm_quant_kernelIDF16_aLi256ELi16ELb1ELb1ELb0ELi1EEEvPT0_PT_PfS4_S4_S4_diiiiiiib
; %bb.0:
	s_load_dwordx8 s[8:15], s[4:5], 0x38
	s_mov_b32 s7, 0
	s_waitcnt lgkmcnt(0)
	s_ashr_i32 s0, s8, 31
	v_mov_b32_e32 v2, s8
	v_mov_b32_e32 v3, s0
	v_cmp_ge_i64_e32 vcc, s[6:7], v[2:3]
	s_cbranch_vccnz .LBB47_49
; %bb.1:
	s_load_dwordx8 s[16:23], s[4:5], 0x0
	s_ashr_i32 s0, s10, 31
	s_mul_hi_u32 s1, s10, s6
	s_mul_i32 s0, s0, s6
	s_add_i32 s1, s1, s0
	s_mul_i32 s0, s10, s6
	s_lshl_b64 s[0:1], s[0:1], 1
	s_waitcnt lgkmcnt(0)
	s_add_u32 s0, s22, s0
	s_addc_u32 s1, s23, s1
	s_add_i32 s2, s9, 1
	s_lshr_b32 s3, s2, 31
	s_add_i32 s2, s2, s3
	s_lshl_b32 s2, s2, 1
	s_load_dwordx8 s[24:31], s[4:5], 0x20
	s_and_b32 s2, s2, -4
	s_and_b32 s1, s1, 0xffff
	s_mov_b32 s3, 0x20000
	v_lshlrev_b32_e32 v1, 5, v0
	buffer_load_dwordx4 v[10:13], v1, s[0:3], 16 offen
	buffer_load_dwordx4 v[14:17], v1, s[0:3], 0 offen
	s_ashr_i32 s0, s11, 31
	s_mul_hi_u32 s1, s11, s6
	s_mul_i32 s0, s0, s6
	s_add_i32 s1, s1, s0
	s_mul_i32 s0, s11, s6
	s_waitcnt lgkmcnt(0)
	s_and_b32 s37, s27, 0xffff
	s_lshl_b64 s[0:1], s[0:1], 1
	s_add_u32 s0, s24, s0
	s_addc_u32 s1, s25, s1
	s_and_b32 s1, s1, 0xffff
	buffer_load_dwordx4 v[18:21], v1, s[0:3], 16 offen
	buffer_load_dwordx4 v[22:25], v1, s[0:3], 0 offen
	s_mov_b32 s39, s3
	s_mov_b32 s36, s26
	;; [unrolled: 1-line block ×3, first 2 shown]
	buffer_load_dwordx4 v[6:9], v1, s[36:39], 0 offen
	buffer_load_dwordx4 v[2:5], v1, s[36:39], 16 offen
	s_ashr_i32 s4, s12, 31
	s_mul_hi_u32 s1, s12, s6
	s_mul_i32 s4, s4, s6
	s_mul_i32 s0, s12, s6
	s_add_i32 s1, s1, s4
	s_lshl_b64 s[0:1], s[0:1], 1
	s_add_u32 s0, s18, s0
	s_addc_u32 s1, s19, s1
	s_and_b32 s1, s1, 0xffff
	s_waitcnt vmcnt(5)
	v_cvt_f32_f16_e32 v26, v10
	v_cvt_f32_f16_sdwa v27, v10 dst_sel:DWORD dst_unused:UNUSED_PAD src0_sel:WORD_1
	v_cvt_f32_f16_e32 v10, v11
	v_cvt_f32_f16_sdwa v11, v11 dst_sel:DWORD dst_unused:UNUSED_PAD src0_sel:WORD_1
	v_cvt_f32_f16_e32 v28, v12
	v_cvt_f32_f16_sdwa v29, v12 dst_sel:DWORD dst_unused:UNUSED_PAD src0_sel:WORD_1
	v_cvt_f32_f16_e32 v30, v13
	v_cvt_f32_f16_sdwa v31, v13 dst_sel:DWORD dst_unused:UNUSED_PAD src0_sel:WORD_1
	s_waitcnt vmcnt(4)
	v_cvt_f32_f16_e32 v32, v14
	v_cvt_f32_f16_sdwa v33, v14 dst_sel:DWORD dst_unused:UNUSED_PAD src0_sel:WORD_1
	v_cvt_f32_f16_e32 v34, v15
	v_cvt_f32_f16_sdwa v35, v15 dst_sel:DWORD dst_unused:UNUSED_PAD src0_sel:WORD_1
	v_cvt_f32_f16_e32 v36, v16
	v_cvt_f32_f16_sdwa v37, v16 dst_sel:DWORD dst_unused:UNUSED_PAD src0_sel:WORD_1
	v_cvt_f32_f16_e32 v38, v17
	v_cvt_f32_f16_sdwa v39, v17 dst_sel:DWORD dst_unused:UNUSED_PAD src0_sel:WORD_1
	;; [unrolled: 9-line block ×4, first 2 shown]
	v_pk_add_f32 v[16:17], v[26:27], v[12:13]
	v_pk_add_f32 v[14:15], v[10:11], v[14:15]
	;; [unrolled: 1-line block ×8, first 2 shown]
	v_cvt_f16_f32_e32 v26, v25
	v_cvt_f16_f32_e32 v30, v24
	;; [unrolled: 1-line block ×8, first 2 shown]
	v_pack_b32_f16 v27, v31, v27
	v_pack_b32_f16 v28, v32, v28
	;; [unrolled: 1-line block ×4, first 2 shown]
	v_cvt_f16_f32_e32 v34, v16
	v_cvt_f16_f32_e32 v35, v14
	;; [unrolled: 1-line block ×5, first 2 shown]
	buffer_store_dwordx4 v[26:29], v1, s[0:3], 0 offen
	v_cvt_f16_f32_e32 v30, v17
	v_cvt_f16_f32_e32 v26, v13
	;; [unrolled: 1-line block ×3, first 2 shown]
	v_pack_b32_f16 v29, v37, v38
	;;#ASMSTART
	s_nop 0
	;;#ASMEND
	v_pack_b32_f16 v28, v36, v26
	v_pack_b32_f16 v27, v35, v27
	;; [unrolled: 1-line block ×3, first 2 shown]
	buffer_store_dwordx4 v[26:29], v1, s[0:3], 16 offen
	v_pk_mul_f32 v[30:31], v[18:19], v[18:19]
	v_pk_mul_f32 v[26:27], v[24:25], v[24:25]
	;; [unrolled: 1-line block ×3, first 2 shown]
	v_add_f32_e32 v1, v26, v27
	v_add_f32_e32 v1, v28, v1
	;; [unrolled: 1-line block ×4, first 2 shown]
	v_pk_mul_f32 v[32:33], v[22:23], v[22:23]
	v_add_f32_e32 v1, v31, v1
	v_add_f32_e32 v1, v32, v1
	v_pk_mul_f32 v[34:35], v[16:17], v[16:17]
	v_add_f32_e32 v1, v33, v1
	v_add_f32_e32 v1, v34, v1
	;; [unrolled: 3-line block ×5, first 2 shown]
	v_add_f32_e32 v1, v41, v1
	v_and_b32_e32 v27, 63, v0
	v_cmp_eq_u32_e64 s[0:1], 63, v27
	v_mov_b32_dpp v26, v1 quad_perm:[1,0,3,2] row_mask:0xf bank_mask:0xf
	v_add_f32_e32 v1, v1, v26
	;;#ASMSTART
	s_nop 0
	;;#ASMEND
	s_nop 1
	v_mov_b32_dpp v26, v1 quad_perm:[2,3,0,1] row_mask:0xf bank_mask:0xf
	v_add_f32_e32 v1, v1, v26
	s_nop 1
	v_mov_b32_dpp v26, v1 row_half_mirror row_mask:0xf bank_mask:0xf
	v_add_f32_e32 v1, v1, v26
	s_nop 1
	v_mov_b32_dpp v26, v1 row_mirror row_mask:0xf bank_mask:0xf
	v_add_f32_e32 v1, v1, v26
	s_nop 1
	v_mov_b32_dpp v26, v1 row_bcast:15 row_mask:0xf bank_mask:0xf
	v_add_f32_e32 v1, v1, v26
	s_nop 1
	v_mov_b32_dpp v26, v1 row_bcast:31 row_mask:0xf bank_mask:0xf
	s_and_saveexec_b64 s[2:3], s[0:1]
	s_cbranch_execz .LBB47_3
; %bb.2:
	v_lshrrev_b32_e32 v27, 4, v0
	v_and_b32_e32 v27, 60, v27
	v_add_f32_e32 v1, v1, v26
	ds_write_b32 v27, v1 offset:16
.LBB47_3:
	s_or_b64 exec, exec, s[2:3]
	v_and_b32_e32 v1, 3, v0
	v_lshlrev_b32_e32 v26, 2, v1
	s_waitcnt lgkmcnt(0)
	s_barrier
	ds_read_b32 v1, v26 offset:16
	v_cvt_f32_i32_e32 v27, s9
	s_waitcnt vmcnt(3)
	v_cvt_f32_f16_sdwa v33, v7 dst_sel:DWORD dst_unused:UNUSED_PAD src0_sel:WORD_1
	v_cvt_f32_f16_sdwa v35, v9 dst_sel:DWORD dst_unused:UNUSED_PAD src0_sel:WORD_1
	v_cvt_f32_f16_e32 v34, v9
	s_waitcnt lgkmcnt(0)
	v_mov_b32_dpp v28, v1 quad_perm:[1,0,3,2] row_mask:0xf bank_mask:0xf
	v_add_f32_e32 v1, v1, v28
	s_cmp_lg_u32 s14, 0
	s_nop 0
	v_mov_b32_dpp v28, v1 quad_perm:[2,3,0,1] row_mask:0xf bank_mask:0xf
	v_add_f32_e32 v1, v1, v28
	v_div_scale_f32 v28, s[2:3], v27, v27, v1
	v_rcp_f32_e32 v29, v28
	v_div_scale_f32 v30, vcc, v1, v27, v1
	s_mov_b32 s2, 0x800000
	v_fma_f32 v31, -v28, v29, 1.0
	v_fmac_f32_e32 v29, v31, v29
	v_mul_f32_e32 v31, v30, v29
	v_fma_f32 v32, -v28, v31, v30
	v_fmac_f32_e32 v31, v32, v29
	v_fma_f32 v28, -v28, v31, v30
	v_div_fmas_f32 v28, v28, v29, v31
	v_div_fixup_f32 v1, v28, v27, v1
	v_cvt_f64_f32_e32 v[28:29], v1
	v_add_f64 v[28:29], v[28:29], s[28:29]
	v_cvt_f32_f64_e32 v1, v[28:29]
	v_mul_f32_e32 v27, 0x4b800000, v1
	v_cmp_gt_f32_e32 vcc, s2, v1
	v_cndmask_b32_e32 v1, v1, v27, vcc
	v_rsq_f32_e32 v27, v1
	v_cvt_f32_f16_e32 v32, v7
	v_cvt_f32_f16_sdwa v7, v8 dst_sel:DWORD dst_unused:UNUSED_PAD src0_sel:WORD_1
	v_lshlrev_b32_e32 v1, 4, v0
	v_mul_f32_e32 v28, 0x45800000, v27
	v_cndmask_b32_e32 v28, v27, v28, vcc
	v_mov_b32_e32 v29, v28
	;;#ASMSTART
	v_pk_mul_f32 v[24:25], v[24:25], v[28:29]
	;;#ASMEND
	;;#ASMSTART
	v_pk_mul_f32 v[20:21], v[20:21], v[28:29]
	;;#ASMEND
	;; [unrolled: 3-line block ×8, first 2 shown]
	v_cvt_f32_f16_sdwa v11, v6 dst_sel:DWORD dst_unused:UNUSED_PAD src0_sel:WORD_1
	v_cvt_f32_f16_e32 v10, v6
	v_cvt_f32_f16_e32 v6, v8
	;;#ASMSTART
	v_pk_mul_f32 v[12:13], v[24:25], v[10:11]
	;;#ASMEND
	;;#ASMSTART
	v_pk_mul_f32 v[10:11], v[20:21], v[32:33]
	;;#ASMEND
	;;#ASMSTART
	v_pk_mul_f32 v[8:9], v[18:19], v[6:7]
	;;#ASMEND
	s_waitcnt vmcnt(2)
	v_cvt_f32_f16_e32 v18, v2
	v_cvt_f32_f16_e32 v20, v3
	;;#ASMSTART
	v_pk_mul_f32 v[6:7], v[22:23], v[34:35]
	;;#ASMEND
	v_cvt_f32_f16_sdwa v19, v2 dst_sel:DWORD dst_unused:UNUSED_PAD src0_sel:WORD_1
	v_cvt_f32_f16_sdwa v21, v3 dst_sel:DWORD dst_unused:UNUSED_PAD src0_sel:WORD_1
	;; [unrolled: 1-line block ×3, first 2 shown]
	v_cvt_f32_f16_e32 v2, v4
	;;#ASMSTART
	v_pk_mul_f32 v[16:17], v[16:17], v[18:19]
	;;#ASMEND
	;;#ASMSTART
	v_pk_mul_f32 v[14:15], v[14:15], v[20:21]
	;;#ASMEND
	v_and_b32_e32 v18, 0x7fffffff, v12
	v_mov_b32_e32 v20, 0x2edbe6ff
	v_cvt_f32_f16_sdwa v23, v5 dst_sel:DWORD dst_unused:UNUSED_PAD src0_sel:WORD_1
	v_cvt_f32_f16_e32 v22, v5
	;;#ASMSTART
	v_pk_mul_f32 v[4:5], v[30:31], v[2:3]
	;;#ASMEND
	;;#ASMSTART
	v_pk_mul_f32 v[2:3], v[28:29], v[22:23]
	;;#ASMEND
	v_and_b32_e32 v19, 0x7fffffff, v13
	;;#ASMSTART
	v_max3_f32 v18, v20, v18, v19

	;;#ASMEND
	v_and_b32_e32 v20, 0x7fffffff, v11
	v_and_b32_e32 v19, 0x7fffffff, v10
	;;#ASMSTART
	v_max3_f32 v18, v18, v19, v20

	;;#ASMEND
	v_and_b32_e32 v20, 0x7fffffff, v9
	;; [unrolled: 6-line block ×7, first 2 shown]
	v_and_b32_e32 v19, 0x7fffffff, v2
	;;#ASMSTART
	v_max3_f32 v20, v18, v19, v20

	;;#ASMEND
	s_cbranch_scc0 .LBB47_10
; %bb.4:
	s_ashr_i32 s12, s14, 31
	s_lshr_b32 s2, s12, 28
	s_add_i32 s2, s14, s2
	s_ashr_i32 s10, s2, 4
	s_cmp_lt_i32 s10, 16
	s_cbranch_scc1 .LBB47_11
; %bb.5:
	s_cmp_lt_i32 s10, 32
	s_cbranch_scc1 .LBB47_12
; %bb.6:
	;; [unrolled: 3-line block ×3, first 2 shown]
	s_cmp_eq_u32 s10, 64
	v_mov_b32_e32 v18, v20
	s_cbranch_scc0 .LBB47_9
; %bb.8:
	s_nop 0
	v_mov_b32_dpp v18, v20 quad_perm:[1,0,3,2] row_mask:0xf bank_mask:0xf
	v_cmp_gt_f32_e32 vcc, v20, v18
	v_cndmask_b32_e32 v18, v18, v20, vcc
	v_bfrev_b32_e32 v21, 0.5
	s_nop 0
	v_mov_b32_dpp v19, v18 quad_perm:[2,3,0,1] row_mask:0xf bank_mask:0xf
	v_cmp_gt_f32_e32 vcc, v18, v19
	v_cndmask_b32_e32 v18, v19, v18, vcc
	s_nop 1
	v_mov_b32_dpp v19, v18 row_ror:4 row_mask:0xf bank_mask:0xf
	v_cmp_gt_f32_e32 vcc, v18, v19
	v_cndmask_b32_e32 v18, v19, v18, vcc
	s_nop 1
	v_mov_b32_dpp v19, v18 row_ror:8 row_mask:0xf bank_mask:0xf
	v_cmp_gt_f32_e32 vcc, v18, v19
	v_cndmask_b32_e32 v18, v19, v18, vcc
	s_nop 1
	v_mov_b32_dpp v19, v18 row_bcast:15 row_mask:0xf bank_mask:0xf
	v_cmp_gt_f32_e32 vcc, v18, v19
	v_cndmask_b32_e32 v18, v19, v18, vcc
	s_nop 1
	v_mov_b32_dpp v19, v18 row_bcast:31 row_mask:0xf bank_mask:0xf
	v_cmp_gt_f32_e32 vcc, v18, v19
	v_cndmask_b32_e32 v18, v19, v18, vcc
	v_mbcnt_lo_u32_b32 v19, -1, 0
	v_mbcnt_hi_u32_b32 v19, -1, v19
	v_lshl_or_b32 v19, v19, 2, v21
	ds_bpermute_b32 v18, v19, v18
.LBB47_9:
	s_mov_b64 s[2:3], 0
	s_branch .LBB47_14
.LBB47_10:
	s_mov_b64 s[2:3], 0
                                        ; implicit-def: $vgpr21
                                        ; implicit-def: $vgpr18_vgpr19
	s_cbranch_execnz .LBB47_43
	s_branch .LBB47_46
.LBB47_11:
                                        ; implicit-def: $vgpr18
	s_branch .LBB47_21
.LBB47_12:
                                        ; implicit-def: $vgpr18
	s_branch .LBB47_18
.LBB47_13:
	s_mov_b64 s[2:3], -1
                                        ; implicit-def: $vgpr18
.LBB47_14:
	s_andn2_b64 vcc, exec, s[2:3]
	s_cbranch_vccnz .LBB47_17
; %bb.15:
	s_cmp_eq_u32 s10, 32
	s_waitcnt lgkmcnt(0)
	v_mov_b32_e32 v18, v20
	s_cbranch_scc0 .LBB47_17
; %bb.16:
	s_nop 0
	v_mov_b32_dpp v18, v20 quad_perm:[1,0,3,2] row_mask:0xf bank_mask:0xf
	v_cmp_gt_f32_e32 vcc, v20, v18
	v_cndmask_b32_e32 v18, v18, v20, vcc
	v_mov_b32_e32 v21, 0x7c
	s_nop 0
	v_mov_b32_dpp v19, v18 quad_perm:[2,3,0,1] row_mask:0xf bank_mask:0xf
	v_cmp_gt_f32_e32 vcc, v18, v19
	v_cndmask_b32_e32 v18, v19, v18, vcc
	s_nop 1
	v_mov_b32_dpp v19, v18 row_half_mirror row_mask:0xf bank_mask:0xf
	v_cmp_gt_f32_e32 vcc, v18, v19
	v_cndmask_b32_e32 v18, v19, v18, vcc
	s_nop 1
	v_mov_b32_dpp v19, v18 row_mirror row_mask:0xf bank_mask:0xf
	v_cmp_gt_f32_e32 vcc, v18, v19
	v_cndmask_b32_e32 v18, v19, v18, vcc
	s_nop 1
	v_mov_b32_dpp v19, v18 row_bcast:15 row_mask:0xa bank_mask:0xf
	v_cmp_gt_f32_e32 vcc, v18, v19
	v_cndmask_b32_e32 v18, v19, v18, vcc
	v_mbcnt_lo_u32_b32 v19, -1, 0
	v_mbcnt_hi_u32_b32 v19, -1, v19
	v_lshl_or_b32 v19, v19, 2, v21
	ds_bpermute_b32 v18, v19, v18
.LBB47_17:
	s_cbranch_execnz .LBB47_20
.LBB47_18:
	s_cmp_eq_u32 s10, 16
	s_waitcnt lgkmcnt(0)
	v_mov_b32_e32 v18, v20
	s_cbranch_scc0 .LBB47_20
; %bb.19:
	s_nop 0
	v_mov_b32_dpp v18, v20 quad_perm:[1,0,3,2] row_mask:0xf bank_mask:0xf
	v_cmp_gt_f32_e32 vcc, v20, v18
	v_cndmask_b32_e32 v18, v18, v20, vcc
	s_nop 1
	v_mov_b32_dpp v19, v18 quad_perm:[2,3,0,1] row_mask:0xf bank_mask:0xf
	v_cmp_gt_f32_e32 vcc, v18, v19
	v_cndmask_b32_e32 v18, v19, v18, vcc
	s_nop 1
	v_mov_b32_dpp v19, v18 row_half_mirror row_mask:0xf bank_mask:0xf
	v_cmp_gt_f32_e32 vcc, v18, v19
	v_cndmask_b32_e32 v18, v19, v18, vcc
	s_nop 1
	v_mov_b32_dpp v19, v18 row_mirror row_mask:0xf bank_mask:0xf
	v_cmp_gt_f32_e32 vcc, v18, v19
	v_cndmask_b32_e32 v18, v19, v18, vcc
.LBB47_20:
	s_cbranch_execnz .LBB47_33
.LBB47_21:
	s_cmp_lt_i32 s10, 4
	s_cbranch_scc1 .LBB47_25
; %bb.22:
	s_cmp_lt_i32 s10, 8
	s_cbranch_scc1 .LBB47_26
; %bb.23:
	s_cmp_eq_u32 s10, 8
	s_waitcnt lgkmcnt(0)
	v_mov_b32_e32 v18, v20
	s_cbranch_scc0 .LBB47_27
; %bb.24:
	s_nop 0
	v_mov_b32_dpp v18, v20 quad_perm:[1,0,3,2] row_mask:0xf bank_mask:0xf
	v_cmp_gt_f32_e32 vcc, v20, v18
	v_cndmask_b32_e32 v18, v18, v20, vcc
	s_nop 1
	v_mov_b32_dpp v19, v18 quad_perm:[2,3,0,1] row_mask:0xf bank_mask:0xf
	v_cmp_gt_f32_e32 vcc, v18, v19
	v_cndmask_b32_e32 v18, v19, v18, vcc
	s_nop 1
	v_mov_b32_dpp v19, v18 row_half_mirror row_mask:0xf bank_mask:0xf
	v_cmp_gt_f32_e32 vcc, v18, v19
	v_cndmask_b32_e32 v18, v19, v18, vcc
	s_cbranch_execz .LBB47_28
	s_branch .LBB47_30
.LBB47_25:
                                        ; implicit-def: $vgpr18
	s_branch .LBB47_31
.LBB47_26:
                                        ; implicit-def: $vgpr18
	s_branch .LBB47_28
.LBB47_27:
	s_cbranch_execnz .LBB47_30
.LBB47_28:
	s_cmp_eq_u32 s10, 4
	s_waitcnt lgkmcnt(0)
	v_mov_b32_e32 v18, v20
	s_cbranch_scc0 .LBB47_30
; %bb.29:
	s_nop 0
	v_mov_b32_dpp v18, v20 quad_perm:[1,0,3,2] row_mask:0xf bank_mask:0xf
	v_cmp_gt_f32_e32 vcc, v20, v18
	v_cndmask_b32_e32 v18, v18, v20, vcc
	s_nop 1
	v_mov_b32_dpp v19, v18 quad_perm:[2,3,0,1] row_mask:0xf bank_mask:0xf
	v_cmp_gt_f32_e32 vcc, v18, v19
	v_cndmask_b32_e32 v18, v19, v18, vcc
.LBB47_30:
	s_cbranch_execnz .LBB47_33
.LBB47_31:
	s_cmp_lg_u32 s10, 2
	s_waitcnt lgkmcnt(0)
	v_mov_b32_e32 v18, v20
	s_cbranch_scc1 .LBB47_33
; %bb.32:
	s_nop 0
	v_mov_b32_dpp v18, v20 quad_perm:[1,0,3,2] row_mask:0xf bank_mask:0xf
	v_cmp_gt_f32_e32 vcc, v20, v18
	v_cndmask_b32_e32 v18, v18, v20, vcc
.LBB47_33:
	v_cvt_f32_u32_e32 v19, s10
	s_waitcnt lgkmcnt(0)
	v_mul_f32_e32 v21, 0x3c010204, v18
	s_sub_i32 s2, 0, s10
	v_cmp_gt_u32_e32 vcc, s9, v1
	v_rcp_iflag_f32_e32 v19, v19
	s_mov_b64 s[4:5], 0
	v_mul_f32_e32 v18, 0x4f7ffffe, v19
	v_cvt_u32_f32_e32 v18, v18
	v_mul_lo_u32 v19, s2, v18
	v_mul_hi_u32 v19, v18, v19
	v_add_u32_e32 v18, v18, v19
	v_mul_hi_u32 v18, v0, v18
	v_mul_lo_u32 v19, v18, s10
	v_sub_u32_e32 v19, v0, v19
	v_add_u32_e32 v22, 1, v18
	v_cmp_le_u32_e64 s[2:3], s10, v19
	v_cndmask_b32_e64 v18, v18, v22, s[2:3]
	v_subrev_u32_e32 v22, s10, v19
	v_cndmask_b32_e64 v19, v19, v22, s[2:3]
	v_add_u32_e32 v22, 1, v18
	v_cmp_le_u32_e64 s[2:3], s10, v19
	v_cndmask_b32_e64 v22, v18, v22, s[2:3]
	v_mul_lo_u32 v18, v22, s10
	v_sub_u32_e32 v18, v0, v18
	v_cmp_eq_u32_e64 s[2:3], 0, v18
	s_and_b64 s[10:11], s[2:3], vcc
	s_mov_b64 s[2:3], 0
                                        ; implicit-def: $vgpr18_vgpr19
	s_and_saveexec_b64 s[18:19], s[10:11]
	s_xor_b64 s[10:11], exec, s[18:19]
	s_cbranch_execz .LBB47_42
; %bb.34:
	s_bitcmp0_b32 s15, 0
	s_cbranch_scc0 .LBB47_39
; %bb.35:
	s_ashr_i32 s2, s9, 31
	s_mul_hi_u32 s3, s9, s6
	s_mul_i32 s2, s2, s6
	s_add_i32 s19, s3, s2
	s_mul_i32 s18, s9, s6
	s_mov_b32 s15, s12
	s_or_b64 s[2:3], s[18:19], s[14:15]
	s_mov_b32 s2, 0
	s_cmp_lg_u64 s[2:3], 0
	s_cbranch_scc0 .LBB47_50
; %bb.36:
	s_add_u32 s2, s14, s15
	s_mov_b32 s24, s15
	s_mov_b32 s25, s15
	s_addc_u32 s3, s15, s15
	s_xor_b64 s[26:27], s[2:3], s[24:25]
	v_cvt_f32_u32_e32 v18, s26
	v_cvt_f32_u32_e32 v19, s27
	s_sub_u32 s2, 0, s26
	s_subb_u32 s3, 0, s27
	v_madmk_f32 v18, v19, 0x4f800000, v18
	v_rcp_f32_e32 v18, v18
	v_mul_f32_e32 v18, 0x5f7ffffc, v18
	v_mul_f32_e32 v19, 0x2f800000, v18
	v_trunc_f32_e32 v19, v19
	v_madmk_f32 v18, v19, 0xcf800000, v18
	v_cvt_u32_f32_e32 v19, v19
	v_cvt_u32_f32_e32 v18, v18
	v_readfirstlane_b32 s12, v19
	v_readfirstlane_b32 s15, v18
	s_mul_i32 s28, s2, s12
	s_mul_hi_u32 s30, s2, s15
	s_mul_i32 s29, s3, s15
	s_add_i32 s28, s30, s28
	s_add_i32 s28, s28, s29
	s_mul_i32 s31, s2, s15
	s_mul_hi_u32 s29, s15, s28
	s_mul_i32 s30, s15, s28
	s_mul_hi_u32 s15, s15, s31
	s_add_u32 s15, s15, s30
	s_addc_u32 s29, 0, s29
	s_mul_hi_u32 s33, s12, s31
	s_mul_i32 s31, s12, s31
	s_add_u32 s15, s15, s31
	s_mul_hi_u32 s30, s12, s28
	s_addc_u32 s15, s29, s33
	s_addc_u32 s29, s30, 0
	s_mul_i32 s28, s12, s28
	s_add_u32 s15, s15, s28
	s_addc_u32 s28, 0, s29
	v_add_co_u32_e32 v18, vcc, s15, v18
	s_cmp_lg_u64 vcc, 0
	s_addc_u32 s12, s12, s28
	v_readfirstlane_b32 s28, v18
	s_mul_i32 s15, s2, s12
	s_mul_hi_u32 s29, s2, s28
	s_add_i32 s15, s29, s15
	s_mul_i32 s3, s3, s28
	s_add_i32 s15, s15, s3
	s_mul_i32 s2, s2, s28
	s_mul_hi_u32 s29, s12, s2
	s_mul_i32 s30, s12, s2
	s_mul_i32 s33, s28, s15
	s_mul_hi_u32 s2, s28, s2
	s_mul_hi_u32 s31, s28, s15
	s_add_u32 s2, s2, s33
	s_addc_u32 s28, 0, s31
	s_add_u32 s2, s2, s30
	s_mul_hi_u32 s3, s12, s15
	s_addc_u32 s2, s28, s29
	s_addc_u32 s3, s3, 0
	s_mul_i32 s15, s12, s15
	s_add_u32 s2, s2, s15
	s_addc_u32 s3, 0, s3
	v_add_co_u32_e32 v18, vcc, s2, v18
	s_cmp_lg_u64 vcc, 0
	s_addc_u32 s12, s12, s3
	s_ashr_i32 s28, s19, 31
	s_add_u32 s2, s18, s28
	s_mov_b32 s29, s28
	s_addc_u32 s3, s19, s28
	s_xor_b64 s[30:31], s[2:3], s[28:29]
	v_readfirstlane_b32 s15, v18
	s_mul_i32 s3, s30, s12
	s_mul_hi_u32 s19, s30, s15
	s_mul_hi_u32 s2, s30, s12
	s_add_u32 s3, s19, s3
	s_addc_u32 s2, 0, s2
	s_mul_hi_u32 s33, s31, s15
	s_mul_i32 s15, s31, s15
	s_add_u32 s3, s3, s15
	s_mul_hi_u32 s19, s31, s12
	s_addc_u32 s2, s2, s33
	s_addc_u32 s3, s19, 0
	s_mul_i32 s12, s31, s12
	s_add_u32 s12, s2, s12
	s_addc_u32 s15, 0, s3
	s_mul_i32 s2, s26, s15
	s_mul_hi_u32 s3, s26, s12
	s_add_i32 s2, s3, s2
	s_mul_i32 s3, s27, s12
	s_add_i32 s19, s2, s3
	s_mul_i32 s3, s26, s12
	v_mov_b32_e32 v18, s3
	s_sub_i32 s2, s31, s19
	v_sub_co_u32_e32 v18, vcc, s30, v18
	s_cmp_lg_u64 vcc, 0
	s_subb_u32 s30, s2, s27
	v_subrev_co_u32_e64 v19, s[2:3], s26, v18
	s_cmp_lg_u64 s[2:3], 0
	s_subb_u32 s30, s30, 0
	s_cmp_ge_u32 s30, s27
	s_cselect_b32 s33, -1, 0
	v_cmp_le_u32_e64 s[2:3], s26, v19
	s_cmp_eq_u32 s30, s27
	v_cndmask_b32_e64 v19, 0, -1, s[2:3]
	v_mov_b32_e32 v23, s33
	s_cselect_b64 s[2:3], -1, 0
	v_cndmask_b32_e64 v19, v23, v19, s[2:3]
	s_add_u32 s2, s12, 1
	s_addc_u32 s30, s15, 0
	s_add_u32 s3, s12, 2
	s_addc_u32 s33, s15, 0
	v_mov_b32_e32 v23, s2
	v_mov_b32_e32 v24, s3
	v_cmp_ne_u32_e64 s[2:3], 0, v19
	v_cndmask_b32_e64 v19, v23, v24, s[2:3]
	v_mov_b32_e32 v23, s30
	v_mov_b32_e32 v24, s33
	s_cmp_lg_u64 vcc, 0
	v_cndmask_b32_e64 v23, v23, v24, s[2:3]
	s_subb_u32 s2, s31, s19
	s_cmp_ge_u32 s2, s27
	s_cselect_b32 s3, -1, 0
	v_cmp_le_u32_e32 vcc, s26, v18
	s_cmp_eq_u32 s2, s27
	v_cndmask_b32_e64 v18, 0, -1, vcc
	v_mov_b32_e32 v24, s3
	s_cselect_b64 vcc, -1, 0
	v_cndmask_b32_e32 v18, v24, v18, vcc
	v_mov_b32_e32 v24, s15
	v_cmp_ne_u32_e32 vcc, 0, v18
	v_cndmask_b32_e32 v18, v24, v23, vcc
	v_mov_b32_e32 v23, s12
	v_cndmask_b32_e32 v19, v23, v19, vcc
	s_xor_b64 s[2:3], s[28:29], s[24:25]
	v_xor_b32_e32 v19, s2, v19
	v_xor_b32_e32 v23, s3, v18
	v_mov_b32_e32 v24, s3
	v_subrev_co_u32_e32 v18, vcc, s2, v19
	v_subb_co_u32_e32 v19, vcc, v23, v24, vcc
	s_cbranch_execnz .LBB47_38
.LBB47_37:
	v_cvt_f32_u32_e32 v18, s14
	s_sub_i32 s2, 0, s14
	s_mov_b32 s3, 0
	v_rcp_iflag_f32_e32 v18, v18
	v_mul_f32_e32 v18, 0x4f7ffffe, v18
	v_cvt_u32_f32_e32 v18, v18
	v_readfirstlane_b32 s12, v18
	s_mul_i32 s2, s2, s12
	s_mul_hi_u32 s2, s12, s2
	s_add_i32 s12, s12, s2
	s_mul_hi_u32 s2, s18, s12
	s_mul_i32 s15, s2, s14
	s_sub_i32 s15, s18, s15
	s_add_i32 s12, s2, 1
	s_sub_i32 s18, s15, s14
	s_cmp_ge_u32 s15, s14
	s_cselect_b32 s2, s12, s2
	s_cselect_b32 s15, s18, s15
	s_add_i32 s12, s2, 1
	s_cmp_ge_u32 s15, s14
	s_cselect_b32 s2, s12, s2
	v_pk_mov_b32 v[18:19], s[2:3], s[2:3] op_sel:[0,1]
.LBB47_38:
	v_add_co_u32_e32 v18, vcc, v18, v22
	v_addc_co_u32_e32 v19, vcc, 0, v19, vcc
	s_branch .LBB47_41
.LBB47_39:
                                        ; implicit-def: $vgpr18_vgpr19
	s_cbranch_execz .LBB47_41
; %bb.40:
	v_mul_lo_u32 v18, v22, s8
	v_ashrrev_i32_e32 v19, 31, v18
	v_mov_b32_e32 v22, s7
	v_add_co_u32_e32 v18, vcc, s6, v18
	v_addc_co_u32_e32 v19, vcc, v19, v22, vcc
.LBB47_41:
	s_mov_b64 s[2:3], exec
.LBB47_42:
	s_or_b64 exec, exec, s[10:11]
	s_and_b64 vcc, exec, s[4:5]
	s_cbranch_vccz .LBB47_46
.LBB47_43:
	v_mov_b32_dpp v18, v20 quad_perm:[1,0,3,2] row_mask:0xf bank_mask:0xf
	v_cmp_gt_f32_e32 vcc, v20, v18
	v_cndmask_b32_e32 v18, v18, v20, vcc
	s_nop 1
	v_mov_b32_dpp v19, v18 quad_perm:[2,3,0,1] row_mask:0xf bank_mask:0xf
	v_cmp_gt_f32_e32 vcc, v18, v19
	v_cndmask_b32_e32 v18, v19, v18, vcc
	s_nop 1
	v_mov_b32_dpp v19, v18 row_half_mirror row_mask:0xf bank_mask:0xf
	v_cmp_gt_f32_e32 vcc, v18, v19
	v_cndmask_b32_e32 v18, v19, v18, vcc
	s_nop 1
	v_mov_b32_dpp v19, v18 row_mirror row_mask:0xf bank_mask:0xf
	v_cmp_gt_f32_e32 vcc, v18, v19
	v_cndmask_b32_e32 v18, v19, v18, vcc
	s_nop 1
	v_mov_b32_dpp v19, v18 row_bcast:15 row_mask:0xf bank_mask:0xf
	v_cmp_gt_f32_e32 vcc, v18, v19
	v_cndmask_b32_e32 v18, v19, v18, vcc
	s_nop 1
	v_mov_b32_dpp v19, v18 row_bcast:31 row_mask:0xf bank_mask:0xf
	s_and_saveexec_b64 s[2:3], s[0:1]
	s_cbranch_execz .LBB47_45
; %bb.44:
	v_lshrrev_b32_e32 v20, 4, v0
	v_cmp_gt_f32_e32 vcc, v18, v19
	v_and_b32_e32 v20, 60, v20
	v_cndmask_b32_e32 v18, v19, v18, vcc
	ds_write_b32 v20, v18
.LBB47_45:
	s_or_b64 exec, exec, s[2:3]
	s_waitcnt lgkmcnt(0)
	s_barrier
	ds_read_b32 v18, v26
	v_cmp_eq_u32_e64 s[2:3], 0, v0
	s_waitcnt lgkmcnt(0)
	v_mov_b32_dpp v19, v18 quad_perm:[1,0,3,2] row_mask:0xf bank_mask:0xf
	v_cmp_gt_f32_e32 vcc, v18, v19
	v_cndmask_b32_e32 v18, v19, v18, vcc
	s_nop 1
	v_mov_b32_dpp v19, v18 quad_perm:[2,3,0,1] row_mask:0xf bank_mask:0xf
	v_cmp_gt_f32_e32 vcc, v18, v19
	v_cndmask_b32_e32 v18, v19, v18, vcc
	v_mul_f32_e32 v21, 0x3c010204, v18
	v_pk_mov_b32 v[18:19], s[6:7], s[6:7] op_sel:[0,1]
.LBB47_46:
	s_and_saveexec_b64 s[0:1], s[2:3]
	s_cbranch_execz .LBB47_48
; %bb.47:
	v_lshlrev_b64 v[18:19], 2, v[18:19]
	v_mov_b32_e32 v0, s21
	v_add_co_u32_e32 v18, vcc, s20, v18
	v_addc_co_u32_e32 v19, vcc, v0, v19, vcc
	global_store_dword v[18:19], v21, off
.LBB47_48:
	s_or_b64 exec, exec, s[0:1]
	s_add_i32 s0, s9, 3
	;;#ASMSTART
	v_rcp_f32 v18, v21
	;;#ASMEND
	v_mov_b32_e32 v19, v18
	;;#ASMSTART
	v_pk_mul_f32 v[12:13], v[12:13], v[18:19]
	;;#ASMEND
	;;#ASMSTART
	v_pk_mul_f32 v[10:11], v[10:11], v[18:19]
	;;#ASMEND
	;; [unrolled: 3-line block ×4, first 2 shown]
	s_ashr_i32 s1, s0, 31
	v_cvt_i32_f32_e32 v0, v12
	v_cvt_i32_f32_sdwa v12, v13 dst_sel:BYTE_1 dst_unused:UNUSED_PAD src0_sel:DWORD
	v_cvt_i32_f32_e32 v10, v10
	v_cvt_i32_f32_sdwa v11, v11 dst_sel:BYTE_1 dst_unused:UNUSED_PAD src0_sel:DWORD
	;; [unrolled: 2-line block ×3, first 2 shown]
	;;#ASMSTART
	v_pk_mul_f32 v[6:7], v[16:17], v[18:19]
	;;#ASMEND
	s_lshr_b32 s1, s1, 30
	v_cvt_i32_f32_e32 v8, v8
	v_cvt_i32_f32_sdwa v9, v9 dst_sel:BYTE_1 dst_unused:UNUSED_PAD src0_sel:DWORD
	v_cvt_i32_f32_e32 v16, v6
	v_cvt_i32_f32_sdwa v17, v7 dst_sel:BYTE_1 dst_unused:UNUSED_PAD src0_sel:DWORD
	;;#ASMSTART
	v_pk_mul_f32 v[6:7], v[14:15], v[18:19]
	;;#ASMEND
	s_add_i32 s0, s0, s1
	v_cvt_i32_f32_e32 v6, v6
	v_cvt_i32_f32_sdwa v7, v7 dst_sel:BYTE_1 dst_unused:UNUSED_PAD src0_sel:DWORD
	;;#ASMSTART
	v_pk_mul_f32 v[4:5], v[4:5], v[18:19]
	;;#ASMEND
	s_and_b32 s2, s0, -4
	s_ashr_i32 s0, s13, 31
	v_cvt_i32_f32_e32 v14, v4
	v_cvt_i32_f32_sdwa v5, v5 dst_sel:BYTE_1 dst_unused:UNUSED_PAD src0_sel:DWORD
	;;#ASMSTART
	v_pk_mul_f32 v[2:3], v[2:3], v[18:19]
	;;#ASMEND
	v_cvt_i32_f32_e32 v15, v2
	v_cvt_i32_f32_sdwa v18, v3 dst_sel:BYTE_1 dst_unused:UNUSED_PAD src0_sel:DWORD
	s_mul_hi_u32 s1, s13, s6
	s_mul_i32 s0, s0, s6
	v_or_b32_sdwa v0, v0, v12 dst_sel:DWORD dst_unused:UNUSED_PAD src0_sel:BYTE_0 src1_sel:DWORD
	v_or_b32_sdwa v2, v10, v11 dst_sel:WORD_1 dst_unused:UNUSED_PAD src0_sel:BYTE_0 src1_sel:DWORD
	s_add_i32 s1, s1, s0
	s_mul_i32 s0, s13, s6
	v_or_b32_sdwa v2, v0, v2 dst_sel:DWORD dst_unused:UNUSED_PAD src0_sel:WORD_0 src1_sel:DWORD
	v_or_b32_sdwa v0, v8, v9 dst_sel:DWORD dst_unused:UNUSED_PAD src0_sel:BYTE_0 src1_sel:DWORD
	v_or_b32_sdwa v3, v13, v20 dst_sel:WORD_1 dst_unused:UNUSED_PAD src0_sel:BYTE_0 src1_sel:DWORD
	s_add_u32 s0, s16, s0
	v_or_b32_sdwa v3, v0, v3 dst_sel:DWORD dst_unused:UNUSED_PAD src0_sel:WORD_0 src1_sel:DWORD
	v_or_b32_sdwa v0, v16, v17 dst_sel:DWORD dst_unused:UNUSED_PAD src0_sel:BYTE_0 src1_sel:DWORD
	v_or_b32_sdwa v4, v6, v7 dst_sel:WORD_1 dst_unused:UNUSED_PAD src0_sel:BYTE_0 src1_sel:DWORD
	s_addc_u32 s1, s17, s1
	v_or_b32_sdwa v4, v0, v4 dst_sel:DWORD dst_unused:UNUSED_PAD src0_sel:WORD_0 src1_sel:DWORD
	v_or_b32_sdwa v0, v14, v5 dst_sel:DWORD dst_unused:UNUSED_PAD src0_sel:BYTE_0 src1_sel:DWORD
	v_or_b32_sdwa v5, v15, v18 dst_sel:WORD_1 dst_unused:UNUSED_PAD src0_sel:BYTE_0 src1_sel:DWORD
	s_and_b32 s1, s1, 0xffff
	s_mov_b32 s3, 0x20000
	v_or_b32_sdwa v5, v0, v5 dst_sel:DWORD dst_unused:UNUSED_PAD src0_sel:WORD_0 src1_sel:DWORD
	buffer_store_dwordx4 v[2:5], v1, s[0:3], 0 offen
	;;#ASMSTART
	s_nop 0
	;;#ASMEND
.LBB47_49:
	s_endpgm
.LBB47_50:
                                        ; implicit-def: $vgpr18_vgpr19
	s_branch .LBB47_37
	.section	.rodata,"a",@progbits
	.p2align	6, 0x0
	.amdhsa_kernel _ZN5aiter24add_rmsnorm_quant_kernelIDF16_aLi256ELi16ELb1ELb1ELb0ELi1EEEvPT0_PT_PfS4_S4_S4_diiiiiiib
		.amdhsa_group_segment_fixed_size 32
		.amdhsa_private_segment_fixed_size 0
		.amdhsa_kernarg_size 88
		.amdhsa_user_sgpr_count 6
		.amdhsa_user_sgpr_private_segment_buffer 1
		.amdhsa_user_sgpr_dispatch_ptr 0
		.amdhsa_user_sgpr_queue_ptr 0
		.amdhsa_user_sgpr_kernarg_segment_ptr 1
		.amdhsa_user_sgpr_dispatch_id 0
		.amdhsa_user_sgpr_flat_scratch_init 0
		.amdhsa_user_sgpr_kernarg_preload_length 0
		.amdhsa_user_sgpr_kernarg_preload_offset 0
		.amdhsa_user_sgpr_private_segment_size 0
		.amdhsa_uses_dynamic_stack 0
		.amdhsa_system_sgpr_private_segment_wavefront_offset 0
		.amdhsa_system_sgpr_workgroup_id_x 1
		.amdhsa_system_sgpr_workgroup_id_y 0
		.amdhsa_system_sgpr_workgroup_id_z 0
		.amdhsa_system_sgpr_workgroup_info 0
		.amdhsa_system_vgpr_workitem_id 0
		.amdhsa_next_free_vgpr 46
		.amdhsa_next_free_sgpr 40
		.amdhsa_accum_offset 48
		.amdhsa_reserve_vcc 1
		.amdhsa_reserve_flat_scratch 0
		.amdhsa_float_round_mode_32 0
		.amdhsa_float_round_mode_16_64 0
		.amdhsa_float_denorm_mode_32 3
		.amdhsa_float_denorm_mode_16_64 3
		.amdhsa_dx10_clamp 1
		.amdhsa_ieee_mode 1
		.amdhsa_fp16_overflow 0
		.amdhsa_tg_split 0
		.amdhsa_exception_fp_ieee_invalid_op 0
		.amdhsa_exception_fp_denorm_src 0
		.amdhsa_exception_fp_ieee_div_zero 0
		.amdhsa_exception_fp_ieee_overflow 0
		.amdhsa_exception_fp_ieee_underflow 0
		.amdhsa_exception_fp_ieee_inexact 0
		.amdhsa_exception_int_div_zero 0
	.end_amdhsa_kernel
	.section	.text._ZN5aiter24add_rmsnorm_quant_kernelIDF16_aLi256ELi16ELb1ELb1ELb0ELi1EEEvPT0_PT_PfS4_S4_S4_diiiiiiib,"axG",@progbits,_ZN5aiter24add_rmsnorm_quant_kernelIDF16_aLi256ELi16ELb1ELb1ELb0ELi1EEEvPT0_PT_PfS4_S4_S4_diiiiiiib,comdat
.Lfunc_end47:
	.size	_ZN5aiter24add_rmsnorm_quant_kernelIDF16_aLi256ELi16ELb1ELb1ELb0ELi1EEEvPT0_PT_PfS4_S4_S4_diiiiiiib, .Lfunc_end47-_ZN5aiter24add_rmsnorm_quant_kernelIDF16_aLi256ELi16ELb1ELb1ELb0ELi1EEEvPT0_PT_PfS4_S4_S4_diiiiiiib
                                        ; -- End function
	.section	.AMDGPU.csdata,"",@progbits
; Kernel info:
; codeLenInByte = 3936
; NumSgprs: 44
; NumVgprs: 46
; NumAgprs: 0
; TotalNumVgprs: 46
; ScratchSize: 0
; MemoryBound: 0
; FloatMode: 240
; IeeeMode: 1
; LDSByteSize: 32 bytes/workgroup (compile time only)
; SGPRBlocks: 5
; VGPRBlocks: 5
; NumSGPRsForWavesPerEU: 44
; NumVGPRsForWavesPerEU: 46
; AccumOffset: 48
; Occupancy: 8
; WaveLimiterHint : 0
; COMPUTE_PGM_RSRC2:SCRATCH_EN: 0
; COMPUTE_PGM_RSRC2:USER_SGPR: 6
; COMPUTE_PGM_RSRC2:TRAP_HANDLER: 0
; COMPUTE_PGM_RSRC2:TGID_X_EN: 1
; COMPUTE_PGM_RSRC2:TGID_Y_EN: 0
; COMPUTE_PGM_RSRC2:TGID_Z_EN: 0
; COMPUTE_PGM_RSRC2:TIDIG_COMP_CNT: 0
; COMPUTE_PGM_RSRC3_GFX90A:ACCUM_OFFSET: 11
; COMPUTE_PGM_RSRC3_GFX90A:TG_SPLIT: 0
	.section	.text._ZN5aiter24add_rmsnorm_quant_kernelItaLi256ELi16ELb1ELb1ELb0ELi1EEEvPT0_PT_PfS4_S4_S4_diiiiiiib,"axG",@progbits,_ZN5aiter24add_rmsnorm_quant_kernelItaLi256ELi16ELb1ELb1ELb0ELi1EEEvPT0_PT_PfS4_S4_S4_diiiiiiib,comdat
	.protected	_ZN5aiter24add_rmsnorm_quant_kernelItaLi256ELi16ELb1ELb1ELb0ELi1EEEvPT0_PT_PfS4_S4_S4_diiiiiiib ; -- Begin function _ZN5aiter24add_rmsnorm_quant_kernelItaLi256ELi16ELb1ELb1ELb0ELi1EEEvPT0_PT_PfS4_S4_S4_diiiiiiib
	.globl	_ZN5aiter24add_rmsnorm_quant_kernelItaLi256ELi16ELb1ELb1ELb0ELi1EEEvPT0_PT_PfS4_S4_S4_diiiiiiib
	.p2align	8
	.type	_ZN5aiter24add_rmsnorm_quant_kernelItaLi256ELi16ELb1ELb1ELb0ELi1EEEvPT0_PT_PfS4_S4_S4_diiiiiiib,@function
_ZN5aiter24add_rmsnorm_quant_kernelItaLi256ELi16ELb1ELb1ELb0ELi1EEEvPT0_PT_PfS4_S4_S4_diiiiiiib: ; @_ZN5aiter24add_rmsnorm_quant_kernelItaLi256ELi16ELb1ELb1ELb0ELi1EEEvPT0_PT_PfS4_S4_S4_diiiiiiib
; %bb.0:
	s_load_dwordx8 s[8:15], s[4:5], 0x38
	s_mov_b32 s7, 0
	s_waitcnt lgkmcnt(0)
	s_ashr_i32 s0, s8, 31
	v_mov_b32_e32 v2, s8
	v_mov_b32_e32 v3, s0
	v_cmp_ge_i64_e32 vcc, s[6:7], v[2:3]
	s_cbranch_vccnz .LBB48_49
; %bb.1:
	s_load_dwordx8 s[16:23], s[4:5], 0x0
	s_ashr_i32 s0, s10, 31
	s_mul_hi_u32 s1, s10, s6
	s_mul_i32 s0, s0, s6
	s_add_i32 s1, s1, s0
	s_mul_i32 s0, s10, s6
	s_lshl_b64 s[0:1], s[0:1], 1
	s_waitcnt lgkmcnt(0)
	s_add_u32 s0, s22, s0
	s_addc_u32 s1, s23, s1
	s_add_i32 s2, s9, 1
	s_lshr_b32 s3, s2, 31
	s_add_i32 s2, s2, s3
	s_lshl_b32 s2, s2, 1
	s_load_dwordx8 s[24:31], s[4:5], 0x20
	s_and_b32 s2, s2, -4
	s_and_b32 s1, s1, 0xffff
	s_mov_b32 s3, 0x20000
	v_lshlrev_b32_e32 v1, 5, v0
	buffer_load_dwordx4 v[18:21], v1, s[0:3], 16 offen
	buffer_load_dwordx4 v[10:13], v1, s[0:3], 0 offen
	s_ashr_i32 s0, s11, 31
	s_mul_hi_u32 s1, s11, s6
	s_mul_i32 s0, s0, s6
	s_add_i32 s1, s1, s0
	s_mul_i32 s0, s11, s6
	s_waitcnt lgkmcnt(0)
	s_and_b32 s37, s27, 0xffff
	s_lshl_b64 s[0:1], s[0:1], 1
	s_add_u32 s0, s24, s0
	s_addc_u32 s1, s25, s1
	s_and_b32 s1, s1, 0xffff
	buffer_load_dwordx4 v[22:25], v1, s[0:3], 16 offen
	buffer_load_dwordx4 v[14:17], v1, s[0:3], 0 offen
	s_mov_b32 s39, s3
	s_mov_b32 s36, s26
	;; [unrolled: 1-line block ×3, first 2 shown]
	buffer_load_dwordx4 v[6:9], v1, s[36:39], 0 offen
	buffer_load_dwordx4 v[2:5], v1, s[36:39], 16 offen
	s_ashr_i32 s5, s12, 31
	s_mul_hi_u32 s1, s12, s6
	s_mul_i32 s5, s5, s6
	s_mul_i32 s0, s12, s6
	s_add_i32 s1, s1, s5
	s_lshl_b64 s[0:1], s[0:1], 1
	s_add_u32 s0, s18, s0
	s_mov_b32 s4, 0x7060302
	s_addc_u32 s1, s19, s1
	s_and_b32 s1, s1, 0xffff
	s_waitcnt vmcnt(5)
	v_cvt_f32_u32_sdwa v27, v18 dst_sel:DWORD dst_unused:UNUSED_PAD src0_sel:WORD_1
	v_cvt_f32_u32_sdwa v26, v18 dst_sel:DWORD dst_unused:UNUSED_PAD src0_sel:WORD_0
	v_cvt_f32_u32_sdwa v29, v19 dst_sel:DWORD dst_unused:UNUSED_PAD src0_sel:WORD_1
	v_cvt_f32_u32_sdwa v28, v19 dst_sel:DWORD dst_unused:UNUSED_PAD src0_sel:WORD_0
	v_cvt_f32_u32_sdwa v19, v20 dst_sel:DWORD dst_unused:UNUSED_PAD src0_sel:WORD_1
	v_cvt_f32_u32_sdwa v18, v20 dst_sel:DWORD dst_unused:UNUSED_PAD src0_sel:WORD_0
	v_cvt_f32_u32_sdwa v31, v21 dst_sel:DWORD dst_unused:UNUSED_PAD src0_sel:WORD_1
	v_cvt_f32_u32_sdwa v30, v21 dst_sel:DWORD dst_unused:UNUSED_PAD src0_sel:WORD_0
	s_waitcnt vmcnt(4)
	v_cvt_f32_u32_sdwa v21, v10 dst_sel:DWORD dst_unused:UNUSED_PAD src0_sel:WORD_1
	v_cvt_f32_u32_sdwa v20, v10 dst_sel:DWORD dst_unused:UNUSED_PAD src0_sel:WORD_0
	v_cvt_f32_u32_sdwa v33, v11 dst_sel:DWORD dst_unused:UNUSED_PAD src0_sel:WORD_1
	v_cvt_f32_u32_sdwa v32, v11 dst_sel:DWORD dst_unused:UNUSED_PAD src0_sel:WORD_0
	v_cvt_f32_u32_sdwa v35, v12 dst_sel:DWORD dst_unused:UNUSED_PAD src0_sel:WORD_1
	v_cvt_f32_u32_sdwa v34, v12 dst_sel:DWORD dst_unused:UNUSED_PAD src0_sel:WORD_0
	v_cvt_f32_u32_sdwa v37, v13 dst_sel:DWORD dst_unused:UNUSED_PAD src0_sel:WORD_1
	v_cvt_f32_u32_sdwa v36, v13 dst_sel:DWORD dst_unused:UNUSED_PAD src0_sel:WORD_0
	;; [unrolled: 9-line block ×4, first 2 shown]
	v_pk_add_f32 v[16:17], v[26:27], v[10:11]
	v_pk_add_f32 v[14:15], v[28:29], v[12:13]
	;; [unrolled: 1-line block ×8, first 2 shown]
	v_perm_b32 v29, v19, v18, s4
	v_perm_b32 v28, v21, v20, s4
	;; [unrolled: 1-line block ×8, first 2 shown]
	v_pk_mul_f32 v[34:35], v[24:25], v[24:25]
	v_pk_mul_f32 v[36:37], v[22:23], v[22:23]
	buffer_store_dwordx4 v[26:29], v1, s[0:3], 0 offen
	;;#ASMSTART
	s_nop 0
	;;#ASMEND
	buffer_store_dwordx4 v[30:33], v1, s[0:3], 16 offen
	v_add_f32_e32 v1, v34, v35
	v_add_f32_e32 v1, v36, v1
	v_pk_mul_f32 v[26:27], v[20:21], v[20:21]
	v_add_f32_e32 v1, v37, v1
	v_add_f32_e32 v1, v26, v1
	v_pk_mul_f32 v[28:29], v[18:19], v[18:19]
	v_add_f32_e32 v1, v27, v1
	v_add_f32_e32 v1, v28, v1
	v_pk_mul_f32 v[30:31], v[16:17], v[16:17]
	v_add_f32_e32 v1, v29, v1
	v_add_f32_e32 v1, v30, v1
	v_pk_mul_f32 v[32:33], v[14:15], v[14:15]
	v_add_f32_e32 v1, v31, v1
	v_add_f32_e32 v1, v32, v1
	v_pk_mul_f32 v[38:39], v[12:13], v[12:13]
	v_add_f32_e32 v1, v33, v1
	v_add_f32_e32 v1, v38, v1
	v_pk_mul_f32 v[40:41], v[10:11], v[10:11]
	v_add_f32_e32 v1, v39, v1
	v_add_f32_e32 v1, v40, v1
	;; [unrolled: 1-line block ×3, first 2 shown]
	v_and_b32_e32 v27, 63, v0
	v_cmp_eq_u32_e64 s[0:1], 63, v27
	v_mov_b32_dpp v26, v1 quad_perm:[1,0,3,2] row_mask:0xf bank_mask:0xf
	v_add_f32_e32 v1, v1, v26
	;;#ASMSTART
	s_nop 0
	;;#ASMEND
	s_nop 1
	v_mov_b32_dpp v26, v1 quad_perm:[2,3,0,1] row_mask:0xf bank_mask:0xf
	v_add_f32_e32 v1, v1, v26
	s_nop 1
	v_mov_b32_dpp v26, v1 row_half_mirror row_mask:0xf bank_mask:0xf
	v_add_f32_e32 v1, v1, v26
	s_nop 1
	v_mov_b32_dpp v26, v1 row_mirror row_mask:0xf bank_mask:0xf
	v_add_f32_e32 v1, v1, v26
	s_nop 1
	v_mov_b32_dpp v26, v1 row_bcast:15 row_mask:0xf bank_mask:0xf
	v_add_f32_e32 v1, v1, v26
	s_nop 1
	v_mov_b32_dpp v26, v1 row_bcast:31 row_mask:0xf bank_mask:0xf
	s_and_saveexec_b64 s[2:3], s[0:1]
	s_cbranch_execz .LBB48_3
; %bb.2:
	v_lshrrev_b32_e32 v27, 4, v0
	v_and_b32_e32 v27, 60, v27
	v_add_f32_e32 v1, v1, v26
	ds_write_b32 v27, v1 offset:16
.LBB48_3:
	s_or_b64 exec, exec, s[2:3]
	v_and_b32_e32 v1, 3, v0
	v_lshlrev_b32_e32 v26, 2, v1
	s_waitcnt lgkmcnt(0)
	s_barrier
	ds_read_b32 v1, v26 offset:16
	v_cvt_f32_i32_e32 v27, s9
	s_waitcnt vmcnt(3)
	v_cvt_f32_u32_sdwa v33, v7 dst_sel:DWORD dst_unused:UNUSED_PAD src0_sel:WORD_1
	v_cvt_f32_u32_sdwa v35, v9 dst_sel:DWORD dst_unused:UNUSED_PAD src0_sel:WORD_1
	v_cvt_f32_u32_sdwa v34, v9 dst_sel:DWORD dst_unused:UNUSED_PAD src0_sel:WORD_0
	s_waitcnt lgkmcnt(0)
	v_mov_b32_dpp v28, v1 quad_perm:[1,0,3,2] row_mask:0xf bank_mask:0xf
	v_add_f32_e32 v1, v1, v28
	s_cmp_lg_u32 s14, 0
	s_nop 0
	v_mov_b32_dpp v28, v1 quad_perm:[2,3,0,1] row_mask:0xf bank_mask:0xf
	v_add_f32_e32 v1, v1, v28
	v_div_scale_f32 v28, s[2:3], v27, v27, v1
	v_rcp_f32_e32 v29, v28
	v_div_scale_f32 v30, vcc, v1, v27, v1
	s_mov_b32 s2, 0x800000
	v_fma_f32 v31, -v28, v29, 1.0
	v_fmac_f32_e32 v29, v31, v29
	v_mul_f32_e32 v31, v30, v29
	v_fma_f32 v32, -v28, v31, v30
	v_fmac_f32_e32 v31, v32, v29
	v_fma_f32 v28, -v28, v31, v30
	v_div_fmas_f32 v28, v28, v29, v31
	v_div_fixup_f32 v1, v28, v27, v1
	v_cvt_f64_f32_e32 v[28:29], v1
	v_add_f64 v[28:29], v[28:29], s[28:29]
	v_cvt_f32_f64_e32 v1, v[28:29]
	v_mul_f32_e32 v27, 0x4b800000, v1
	v_cmp_gt_f32_e32 vcc, s2, v1
	v_cndmask_b32_e32 v1, v1, v27, vcc
	v_rsq_f32_e32 v27, v1
	v_cvt_f32_u32_sdwa v32, v7 dst_sel:DWORD dst_unused:UNUSED_PAD src0_sel:WORD_0
	v_cvt_f32_u32_sdwa v7, v8 dst_sel:DWORD dst_unused:UNUSED_PAD src0_sel:WORD_1
	v_lshlrev_b32_e32 v1, 4, v0
	v_mul_f32_e32 v28, 0x45800000, v27
	v_cndmask_b32_e32 v28, v27, v28, vcc
	v_mov_b32_e32 v29, v28
	;;#ASMSTART
	v_pk_mul_f32 v[24:25], v[24:25], v[28:29]
	;;#ASMEND
	;;#ASMSTART
	v_pk_mul_f32 v[22:23], v[22:23], v[28:29]
	;;#ASMEND
	;; [unrolled: 3-line block ×8, first 2 shown]
	v_cvt_f32_u32_sdwa v11, v6 dst_sel:DWORD dst_unused:UNUSED_PAD src0_sel:WORD_1
	v_cvt_f32_u32_sdwa v10, v6 dst_sel:DWORD dst_unused:UNUSED_PAD src0_sel:WORD_0
	v_cvt_f32_u32_sdwa v6, v8 dst_sel:DWORD dst_unused:UNUSED_PAD src0_sel:WORD_0
	;;#ASMSTART
	v_pk_mul_f32 v[12:13], v[24:25], v[10:11]
	;;#ASMEND
	;;#ASMSTART
	v_pk_mul_f32 v[10:11], v[22:23], v[32:33]
	;;#ASMEND
	;; [unrolled: 3-line block ×4, first 2 shown]
	s_waitcnt vmcnt(2)
	v_cvt_f32_u32_sdwa v18, v2 dst_sel:DWORD dst_unused:UNUSED_PAD src0_sel:WORD_0
	v_cvt_f32_u32_sdwa v20, v3 dst_sel:DWORD dst_unused:UNUSED_PAD src0_sel:WORD_0
	v_cvt_f32_u32_sdwa v19, v2 dst_sel:DWORD dst_unused:UNUSED_PAD src0_sel:WORD_1
	v_cvt_f32_u32_sdwa v21, v3 dst_sel:DWORD dst_unused:UNUSED_PAD src0_sel:WORD_1
	;; [unrolled: 1-line block ×3, first 2 shown]
	v_cvt_f32_u32_sdwa v2, v4 dst_sel:DWORD dst_unused:UNUSED_PAD src0_sel:WORD_0
	;;#ASMSTART
	v_pk_mul_f32 v[16:17], v[16:17], v[18:19]
	;;#ASMEND
	;;#ASMSTART
	v_pk_mul_f32 v[14:15], v[14:15], v[20:21]
	;;#ASMEND
	v_and_b32_e32 v18, 0x7fffffff, v12
	v_mov_b32_e32 v20, 0x2edbe6ff
	v_cvt_f32_u32_sdwa v23, v5 dst_sel:DWORD dst_unused:UNUSED_PAD src0_sel:WORD_1
	v_cvt_f32_u32_sdwa v22, v5 dst_sel:DWORD dst_unused:UNUSED_PAD src0_sel:WORD_0
	;;#ASMSTART
	v_pk_mul_f32 v[4:5], v[30:31], v[2:3]
	;;#ASMEND
	;;#ASMSTART
	v_pk_mul_f32 v[2:3], v[28:29], v[22:23]
	;;#ASMEND
	v_and_b32_e32 v19, 0x7fffffff, v13
	;;#ASMSTART
	v_max3_f32 v18, v20, v18, v19

	;;#ASMEND
	v_and_b32_e32 v20, 0x7fffffff, v11
	v_and_b32_e32 v19, 0x7fffffff, v10
	;;#ASMSTART
	v_max3_f32 v18, v18, v19, v20

	;;#ASMEND
	v_and_b32_e32 v20, 0x7fffffff, v9
	;; [unrolled: 6-line block ×7, first 2 shown]
	v_and_b32_e32 v19, 0x7fffffff, v2
	;;#ASMSTART
	v_max3_f32 v20, v18, v19, v20

	;;#ASMEND
	s_cbranch_scc0 .LBB48_10
; %bb.4:
	s_ashr_i32 s12, s14, 31
	s_lshr_b32 s2, s12, 28
	s_add_i32 s2, s14, s2
	s_ashr_i32 s10, s2, 4
	s_cmp_lt_i32 s10, 16
	s_cbranch_scc1 .LBB48_11
; %bb.5:
	s_cmp_lt_i32 s10, 32
	s_cbranch_scc1 .LBB48_12
; %bb.6:
	;; [unrolled: 3-line block ×3, first 2 shown]
	s_cmp_eq_u32 s10, 64
	v_mov_b32_e32 v18, v20
	s_cbranch_scc0 .LBB48_9
; %bb.8:
	s_nop 0
	v_mov_b32_dpp v18, v20 quad_perm:[1,0,3,2] row_mask:0xf bank_mask:0xf
	v_cmp_gt_f32_e32 vcc, v20, v18
	v_cndmask_b32_e32 v18, v18, v20, vcc
	v_bfrev_b32_e32 v21, 0.5
	s_nop 0
	v_mov_b32_dpp v19, v18 quad_perm:[2,3,0,1] row_mask:0xf bank_mask:0xf
	v_cmp_gt_f32_e32 vcc, v18, v19
	v_cndmask_b32_e32 v18, v19, v18, vcc
	s_nop 1
	v_mov_b32_dpp v19, v18 row_ror:4 row_mask:0xf bank_mask:0xf
	v_cmp_gt_f32_e32 vcc, v18, v19
	v_cndmask_b32_e32 v18, v19, v18, vcc
	s_nop 1
	v_mov_b32_dpp v19, v18 row_ror:8 row_mask:0xf bank_mask:0xf
	v_cmp_gt_f32_e32 vcc, v18, v19
	v_cndmask_b32_e32 v18, v19, v18, vcc
	s_nop 1
	v_mov_b32_dpp v19, v18 row_bcast:15 row_mask:0xf bank_mask:0xf
	v_cmp_gt_f32_e32 vcc, v18, v19
	v_cndmask_b32_e32 v18, v19, v18, vcc
	s_nop 1
	v_mov_b32_dpp v19, v18 row_bcast:31 row_mask:0xf bank_mask:0xf
	v_cmp_gt_f32_e32 vcc, v18, v19
	v_cndmask_b32_e32 v18, v19, v18, vcc
	v_mbcnt_lo_u32_b32 v19, -1, 0
	v_mbcnt_hi_u32_b32 v19, -1, v19
	v_lshl_or_b32 v19, v19, 2, v21
	ds_bpermute_b32 v18, v19, v18
.LBB48_9:
	s_mov_b64 s[2:3], 0
	s_branch .LBB48_14
.LBB48_10:
	s_mov_b64 s[2:3], 0
                                        ; implicit-def: $vgpr21
                                        ; implicit-def: $vgpr18_vgpr19
	s_cbranch_execnz .LBB48_43
	s_branch .LBB48_46
.LBB48_11:
                                        ; implicit-def: $vgpr18
	s_branch .LBB48_21
.LBB48_12:
                                        ; implicit-def: $vgpr18
	s_branch .LBB48_18
.LBB48_13:
	s_mov_b64 s[2:3], -1
                                        ; implicit-def: $vgpr18
.LBB48_14:
	s_andn2_b64 vcc, exec, s[2:3]
	s_cbranch_vccnz .LBB48_17
; %bb.15:
	s_cmp_eq_u32 s10, 32
	s_waitcnt lgkmcnt(0)
	v_mov_b32_e32 v18, v20
	s_cbranch_scc0 .LBB48_17
; %bb.16:
	s_nop 0
	v_mov_b32_dpp v18, v20 quad_perm:[1,0,3,2] row_mask:0xf bank_mask:0xf
	v_cmp_gt_f32_e32 vcc, v20, v18
	v_cndmask_b32_e32 v18, v18, v20, vcc
	v_mov_b32_e32 v21, 0x7c
	s_nop 0
	v_mov_b32_dpp v19, v18 quad_perm:[2,3,0,1] row_mask:0xf bank_mask:0xf
	v_cmp_gt_f32_e32 vcc, v18, v19
	v_cndmask_b32_e32 v18, v19, v18, vcc
	s_nop 1
	v_mov_b32_dpp v19, v18 row_half_mirror row_mask:0xf bank_mask:0xf
	v_cmp_gt_f32_e32 vcc, v18, v19
	v_cndmask_b32_e32 v18, v19, v18, vcc
	s_nop 1
	v_mov_b32_dpp v19, v18 row_mirror row_mask:0xf bank_mask:0xf
	v_cmp_gt_f32_e32 vcc, v18, v19
	v_cndmask_b32_e32 v18, v19, v18, vcc
	s_nop 1
	v_mov_b32_dpp v19, v18 row_bcast:15 row_mask:0xa bank_mask:0xf
	v_cmp_gt_f32_e32 vcc, v18, v19
	v_cndmask_b32_e32 v18, v19, v18, vcc
	v_mbcnt_lo_u32_b32 v19, -1, 0
	v_mbcnt_hi_u32_b32 v19, -1, v19
	v_lshl_or_b32 v19, v19, 2, v21
	ds_bpermute_b32 v18, v19, v18
.LBB48_17:
	s_cbranch_execnz .LBB48_20
.LBB48_18:
	s_cmp_eq_u32 s10, 16
	s_waitcnt lgkmcnt(0)
	v_mov_b32_e32 v18, v20
	s_cbranch_scc0 .LBB48_20
; %bb.19:
	s_nop 0
	v_mov_b32_dpp v18, v20 quad_perm:[1,0,3,2] row_mask:0xf bank_mask:0xf
	v_cmp_gt_f32_e32 vcc, v20, v18
	v_cndmask_b32_e32 v18, v18, v20, vcc
	s_nop 1
	v_mov_b32_dpp v19, v18 quad_perm:[2,3,0,1] row_mask:0xf bank_mask:0xf
	v_cmp_gt_f32_e32 vcc, v18, v19
	v_cndmask_b32_e32 v18, v19, v18, vcc
	s_nop 1
	v_mov_b32_dpp v19, v18 row_half_mirror row_mask:0xf bank_mask:0xf
	v_cmp_gt_f32_e32 vcc, v18, v19
	v_cndmask_b32_e32 v18, v19, v18, vcc
	s_nop 1
	v_mov_b32_dpp v19, v18 row_mirror row_mask:0xf bank_mask:0xf
	v_cmp_gt_f32_e32 vcc, v18, v19
	v_cndmask_b32_e32 v18, v19, v18, vcc
.LBB48_20:
	s_cbranch_execnz .LBB48_33
.LBB48_21:
	s_cmp_lt_i32 s10, 4
	s_cbranch_scc1 .LBB48_25
; %bb.22:
	s_cmp_lt_i32 s10, 8
	s_cbranch_scc1 .LBB48_26
; %bb.23:
	s_cmp_eq_u32 s10, 8
	s_waitcnt lgkmcnt(0)
	v_mov_b32_e32 v18, v20
	s_cbranch_scc0 .LBB48_27
; %bb.24:
	s_nop 0
	v_mov_b32_dpp v18, v20 quad_perm:[1,0,3,2] row_mask:0xf bank_mask:0xf
	v_cmp_gt_f32_e32 vcc, v20, v18
	v_cndmask_b32_e32 v18, v18, v20, vcc
	s_nop 1
	v_mov_b32_dpp v19, v18 quad_perm:[2,3,0,1] row_mask:0xf bank_mask:0xf
	v_cmp_gt_f32_e32 vcc, v18, v19
	v_cndmask_b32_e32 v18, v19, v18, vcc
	s_nop 1
	v_mov_b32_dpp v19, v18 row_half_mirror row_mask:0xf bank_mask:0xf
	v_cmp_gt_f32_e32 vcc, v18, v19
	v_cndmask_b32_e32 v18, v19, v18, vcc
	s_cbranch_execz .LBB48_28
	s_branch .LBB48_30
.LBB48_25:
                                        ; implicit-def: $vgpr18
	s_branch .LBB48_31
.LBB48_26:
                                        ; implicit-def: $vgpr18
	s_branch .LBB48_28
.LBB48_27:
	s_cbranch_execnz .LBB48_30
.LBB48_28:
	s_cmp_eq_u32 s10, 4
	s_waitcnt lgkmcnt(0)
	v_mov_b32_e32 v18, v20
	s_cbranch_scc0 .LBB48_30
; %bb.29:
	s_nop 0
	v_mov_b32_dpp v18, v20 quad_perm:[1,0,3,2] row_mask:0xf bank_mask:0xf
	v_cmp_gt_f32_e32 vcc, v20, v18
	v_cndmask_b32_e32 v18, v18, v20, vcc
	s_nop 1
	v_mov_b32_dpp v19, v18 quad_perm:[2,3,0,1] row_mask:0xf bank_mask:0xf
	v_cmp_gt_f32_e32 vcc, v18, v19
	v_cndmask_b32_e32 v18, v19, v18, vcc
.LBB48_30:
	s_cbranch_execnz .LBB48_33
.LBB48_31:
	s_cmp_lg_u32 s10, 2
	s_waitcnt lgkmcnt(0)
	v_mov_b32_e32 v18, v20
	s_cbranch_scc1 .LBB48_33
; %bb.32:
	s_nop 0
	v_mov_b32_dpp v18, v20 quad_perm:[1,0,3,2] row_mask:0xf bank_mask:0xf
	v_cmp_gt_f32_e32 vcc, v20, v18
	v_cndmask_b32_e32 v18, v18, v20, vcc
.LBB48_33:
	v_cvt_f32_u32_e32 v19, s10
	s_waitcnt lgkmcnt(0)
	v_mul_f32_e32 v21, 0x3c010204, v18
	s_sub_i32 s2, 0, s10
	v_cmp_gt_u32_e32 vcc, s9, v1
	v_rcp_iflag_f32_e32 v19, v19
	s_mov_b64 s[4:5], 0
	v_mul_f32_e32 v18, 0x4f7ffffe, v19
	v_cvt_u32_f32_e32 v18, v18
	v_mul_lo_u32 v19, s2, v18
	v_mul_hi_u32 v19, v18, v19
	v_add_u32_e32 v18, v18, v19
	v_mul_hi_u32 v18, v0, v18
	v_mul_lo_u32 v19, v18, s10
	v_sub_u32_e32 v19, v0, v19
	v_add_u32_e32 v22, 1, v18
	v_cmp_le_u32_e64 s[2:3], s10, v19
	v_cndmask_b32_e64 v18, v18, v22, s[2:3]
	v_subrev_u32_e32 v22, s10, v19
	v_cndmask_b32_e64 v19, v19, v22, s[2:3]
	v_add_u32_e32 v22, 1, v18
	v_cmp_le_u32_e64 s[2:3], s10, v19
	v_cndmask_b32_e64 v22, v18, v22, s[2:3]
	v_mul_lo_u32 v18, v22, s10
	v_sub_u32_e32 v18, v0, v18
	v_cmp_eq_u32_e64 s[2:3], 0, v18
	s_and_b64 s[10:11], s[2:3], vcc
	s_mov_b64 s[2:3], 0
                                        ; implicit-def: $vgpr18_vgpr19
	s_and_saveexec_b64 s[18:19], s[10:11]
	s_xor_b64 s[10:11], exec, s[18:19]
	s_cbranch_execz .LBB48_42
; %bb.34:
	s_bitcmp0_b32 s15, 0
	s_cbranch_scc0 .LBB48_39
; %bb.35:
	s_ashr_i32 s2, s9, 31
	s_mul_hi_u32 s3, s9, s6
	s_mul_i32 s2, s2, s6
	s_add_i32 s19, s3, s2
	s_mul_i32 s18, s9, s6
	s_mov_b32 s15, s12
	s_or_b64 s[2:3], s[18:19], s[14:15]
	s_mov_b32 s2, 0
	s_cmp_lg_u64 s[2:3], 0
	s_cbranch_scc0 .LBB48_50
; %bb.36:
	s_add_u32 s2, s14, s15
	s_mov_b32 s24, s15
	s_mov_b32 s25, s15
	s_addc_u32 s3, s15, s15
	s_xor_b64 s[26:27], s[2:3], s[24:25]
	v_cvt_f32_u32_e32 v18, s26
	v_cvt_f32_u32_e32 v19, s27
	s_sub_u32 s2, 0, s26
	s_subb_u32 s3, 0, s27
	v_madmk_f32 v18, v19, 0x4f800000, v18
	v_rcp_f32_e32 v18, v18
	v_mul_f32_e32 v18, 0x5f7ffffc, v18
	v_mul_f32_e32 v19, 0x2f800000, v18
	v_trunc_f32_e32 v19, v19
	v_madmk_f32 v18, v19, 0xcf800000, v18
	v_cvt_u32_f32_e32 v19, v19
	v_cvt_u32_f32_e32 v18, v18
	v_readfirstlane_b32 s12, v19
	v_readfirstlane_b32 s15, v18
	s_mul_i32 s28, s2, s12
	s_mul_hi_u32 s30, s2, s15
	s_mul_i32 s29, s3, s15
	s_add_i32 s28, s30, s28
	s_add_i32 s28, s28, s29
	s_mul_i32 s31, s2, s15
	s_mul_hi_u32 s29, s15, s28
	s_mul_i32 s30, s15, s28
	s_mul_hi_u32 s15, s15, s31
	s_add_u32 s15, s15, s30
	s_addc_u32 s29, 0, s29
	s_mul_hi_u32 s33, s12, s31
	s_mul_i32 s31, s12, s31
	s_add_u32 s15, s15, s31
	s_mul_hi_u32 s30, s12, s28
	s_addc_u32 s15, s29, s33
	s_addc_u32 s29, s30, 0
	s_mul_i32 s28, s12, s28
	s_add_u32 s15, s15, s28
	s_addc_u32 s28, 0, s29
	v_add_co_u32_e32 v18, vcc, s15, v18
	s_cmp_lg_u64 vcc, 0
	s_addc_u32 s12, s12, s28
	v_readfirstlane_b32 s28, v18
	s_mul_i32 s15, s2, s12
	s_mul_hi_u32 s29, s2, s28
	s_add_i32 s15, s29, s15
	s_mul_i32 s3, s3, s28
	s_add_i32 s15, s15, s3
	s_mul_i32 s2, s2, s28
	s_mul_hi_u32 s29, s12, s2
	s_mul_i32 s30, s12, s2
	s_mul_i32 s33, s28, s15
	s_mul_hi_u32 s2, s28, s2
	s_mul_hi_u32 s31, s28, s15
	s_add_u32 s2, s2, s33
	s_addc_u32 s28, 0, s31
	s_add_u32 s2, s2, s30
	s_mul_hi_u32 s3, s12, s15
	s_addc_u32 s2, s28, s29
	s_addc_u32 s3, s3, 0
	s_mul_i32 s15, s12, s15
	s_add_u32 s2, s2, s15
	s_addc_u32 s3, 0, s3
	v_add_co_u32_e32 v18, vcc, s2, v18
	s_cmp_lg_u64 vcc, 0
	s_addc_u32 s12, s12, s3
	s_ashr_i32 s28, s19, 31
	s_add_u32 s2, s18, s28
	s_mov_b32 s29, s28
	s_addc_u32 s3, s19, s28
	s_xor_b64 s[30:31], s[2:3], s[28:29]
	v_readfirstlane_b32 s15, v18
	s_mul_i32 s3, s30, s12
	s_mul_hi_u32 s19, s30, s15
	s_mul_hi_u32 s2, s30, s12
	s_add_u32 s3, s19, s3
	s_addc_u32 s2, 0, s2
	s_mul_hi_u32 s33, s31, s15
	s_mul_i32 s15, s31, s15
	s_add_u32 s3, s3, s15
	s_mul_hi_u32 s19, s31, s12
	s_addc_u32 s2, s2, s33
	s_addc_u32 s3, s19, 0
	s_mul_i32 s12, s31, s12
	s_add_u32 s12, s2, s12
	s_addc_u32 s15, 0, s3
	s_mul_i32 s2, s26, s15
	s_mul_hi_u32 s3, s26, s12
	s_add_i32 s2, s3, s2
	s_mul_i32 s3, s27, s12
	s_add_i32 s19, s2, s3
	s_mul_i32 s3, s26, s12
	v_mov_b32_e32 v18, s3
	s_sub_i32 s2, s31, s19
	v_sub_co_u32_e32 v18, vcc, s30, v18
	s_cmp_lg_u64 vcc, 0
	s_subb_u32 s30, s2, s27
	v_subrev_co_u32_e64 v19, s[2:3], s26, v18
	s_cmp_lg_u64 s[2:3], 0
	s_subb_u32 s30, s30, 0
	s_cmp_ge_u32 s30, s27
	s_cselect_b32 s33, -1, 0
	v_cmp_le_u32_e64 s[2:3], s26, v19
	s_cmp_eq_u32 s30, s27
	v_cndmask_b32_e64 v19, 0, -1, s[2:3]
	v_mov_b32_e32 v23, s33
	s_cselect_b64 s[2:3], -1, 0
	v_cndmask_b32_e64 v19, v23, v19, s[2:3]
	s_add_u32 s2, s12, 1
	s_addc_u32 s30, s15, 0
	s_add_u32 s3, s12, 2
	s_addc_u32 s33, s15, 0
	v_mov_b32_e32 v23, s2
	v_mov_b32_e32 v24, s3
	v_cmp_ne_u32_e64 s[2:3], 0, v19
	v_cndmask_b32_e64 v19, v23, v24, s[2:3]
	v_mov_b32_e32 v23, s30
	v_mov_b32_e32 v24, s33
	s_cmp_lg_u64 vcc, 0
	v_cndmask_b32_e64 v23, v23, v24, s[2:3]
	s_subb_u32 s2, s31, s19
	s_cmp_ge_u32 s2, s27
	s_cselect_b32 s3, -1, 0
	v_cmp_le_u32_e32 vcc, s26, v18
	s_cmp_eq_u32 s2, s27
	v_cndmask_b32_e64 v18, 0, -1, vcc
	v_mov_b32_e32 v24, s3
	s_cselect_b64 vcc, -1, 0
	v_cndmask_b32_e32 v18, v24, v18, vcc
	v_mov_b32_e32 v24, s15
	v_cmp_ne_u32_e32 vcc, 0, v18
	v_cndmask_b32_e32 v18, v24, v23, vcc
	v_mov_b32_e32 v23, s12
	v_cndmask_b32_e32 v19, v23, v19, vcc
	s_xor_b64 s[2:3], s[28:29], s[24:25]
	v_xor_b32_e32 v19, s2, v19
	v_xor_b32_e32 v23, s3, v18
	v_mov_b32_e32 v24, s3
	v_subrev_co_u32_e32 v18, vcc, s2, v19
	v_subb_co_u32_e32 v19, vcc, v23, v24, vcc
	s_cbranch_execnz .LBB48_38
.LBB48_37:
	v_cvt_f32_u32_e32 v18, s14
	s_sub_i32 s2, 0, s14
	s_mov_b32 s3, 0
	v_rcp_iflag_f32_e32 v18, v18
	v_mul_f32_e32 v18, 0x4f7ffffe, v18
	v_cvt_u32_f32_e32 v18, v18
	v_readfirstlane_b32 s12, v18
	s_mul_i32 s2, s2, s12
	s_mul_hi_u32 s2, s12, s2
	s_add_i32 s12, s12, s2
	s_mul_hi_u32 s2, s18, s12
	s_mul_i32 s15, s2, s14
	s_sub_i32 s15, s18, s15
	s_add_i32 s12, s2, 1
	s_sub_i32 s18, s15, s14
	s_cmp_ge_u32 s15, s14
	s_cselect_b32 s2, s12, s2
	s_cselect_b32 s15, s18, s15
	s_add_i32 s12, s2, 1
	s_cmp_ge_u32 s15, s14
	s_cselect_b32 s2, s12, s2
	v_pk_mov_b32 v[18:19], s[2:3], s[2:3] op_sel:[0,1]
.LBB48_38:
	v_add_co_u32_e32 v18, vcc, v18, v22
	v_addc_co_u32_e32 v19, vcc, 0, v19, vcc
	s_branch .LBB48_41
.LBB48_39:
                                        ; implicit-def: $vgpr18_vgpr19
	s_cbranch_execz .LBB48_41
; %bb.40:
	v_mul_lo_u32 v18, v22, s8
	v_ashrrev_i32_e32 v19, 31, v18
	v_mov_b32_e32 v22, s7
	v_add_co_u32_e32 v18, vcc, s6, v18
	v_addc_co_u32_e32 v19, vcc, v19, v22, vcc
.LBB48_41:
	s_mov_b64 s[2:3], exec
.LBB48_42:
	s_or_b64 exec, exec, s[10:11]
	s_and_b64 vcc, exec, s[4:5]
	s_cbranch_vccz .LBB48_46
.LBB48_43:
	v_mov_b32_dpp v18, v20 quad_perm:[1,0,3,2] row_mask:0xf bank_mask:0xf
	v_cmp_gt_f32_e32 vcc, v20, v18
	v_cndmask_b32_e32 v18, v18, v20, vcc
	s_nop 1
	v_mov_b32_dpp v19, v18 quad_perm:[2,3,0,1] row_mask:0xf bank_mask:0xf
	v_cmp_gt_f32_e32 vcc, v18, v19
	v_cndmask_b32_e32 v18, v19, v18, vcc
	s_nop 1
	v_mov_b32_dpp v19, v18 row_half_mirror row_mask:0xf bank_mask:0xf
	v_cmp_gt_f32_e32 vcc, v18, v19
	v_cndmask_b32_e32 v18, v19, v18, vcc
	s_nop 1
	v_mov_b32_dpp v19, v18 row_mirror row_mask:0xf bank_mask:0xf
	v_cmp_gt_f32_e32 vcc, v18, v19
	v_cndmask_b32_e32 v18, v19, v18, vcc
	s_nop 1
	v_mov_b32_dpp v19, v18 row_bcast:15 row_mask:0xf bank_mask:0xf
	v_cmp_gt_f32_e32 vcc, v18, v19
	v_cndmask_b32_e32 v18, v19, v18, vcc
	s_nop 1
	v_mov_b32_dpp v19, v18 row_bcast:31 row_mask:0xf bank_mask:0xf
	s_and_saveexec_b64 s[2:3], s[0:1]
	s_cbranch_execz .LBB48_45
; %bb.44:
	v_lshrrev_b32_e32 v20, 4, v0
	v_cmp_gt_f32_e32 vcc, v18, v19
	v_and_b32_e32 v20, 60, v20
	v_cndmask_b32_e32 v18, v19, v18, vcc
	ds_write_b32 v20, v18
.LBB48_45:
	s_or_b64 exec, exec, s[2:3]
	s_waitcnt lgkmcnt(0)
	s_barrier
	ds_read_b32 v18, v26
	v_cmp_eq_u32_e64 s[2:3], 0, v0
	s_waitcnt lgkmcnt(0)
	v_mov_b32_dpp v19, v18 quad_perm:[1,0,3,2] row_mask:0xf bank_mask:0xf
	v_cmp_gt_f32_e32 vcc, v18, v19
	v_cndmask_b32_e32 v18, v19, v18, vcc
	s_nop 1
	v_mov_b32_dpp v19, v18 quad_perm:[2,3,0,1] row_mask:0xf bank_mask:0xf
	v_cmp_gt_f32_e32 vcc, v18, v19
	v_cndmask_b32_e32 v18, v19, v18, vcc
	v_mul_f32_e32 v21, 0x3c010204, v18
	v_pk_mov_b32 v[18:19], s[6:7], s[6:7] op_sel:[0,1]
.LBB48_46:
	s_and_saveexec_b64 s[0:1], s[2:3]
	s_cbranch_execz .LBB48_48
; %bb.47:
	v_lshlrev_b64 v[18:19], 2, v[18:19]
	v_mov_b32_e32 v0, s21
	v_add_co_u32_e32 v18, vcc, s20, v18
	v_addc_co_u32_e32 v19, vcc, v0, v19, vcc
	global_store_dword v[18:19], v21, off
.LBB48_48:
	s_or_b64 exec, exec, s[0:1]
	s_add_i32 s0, s9, 3
	;;#ASMSTART
	v_rcp_f32 v18, v21
	;;#ASMEND
	v_mov_b32_e32 v19, v18
	;;#ASMSTART
	v_pk_mul_f32 v[12:13], v[12:13], v[18:19]
	;;#ASMEND
	;;#ASMSTART
	v_pk_mul_f32 v[10:11], v[10:11], v[18:19]
	;;#ASMEND
	;; [unrolled: 3-line block ×4, first 2 shown]
	s_ashr_i32 s1, s0, 31
	v_cvt_i32_f32_e32 v0, v12
	v_cvt_i32_f32_sdwa v12, v13 dst_sel:BYTE_1 dst_unused:UNUSED_PAD src0_sel:DWORD
	v_cvt_i32_f32_e32 v10, v10
	v_cvt_i32_f32_sdwa v11, v11 dst_sel:BYTE_1 dst_unused:UNUSED_PAD src0_sel:DWORD
	;; [unrolled: 2-line block ×3, first 2 shown]
	;;#ASMSTART
	v_pk_mul_f32 v[6:7], v[16:17], v[18:19]
	;;#ASMEND
	s_lshr_b32 s1, s1, 30
	v_cvt_i32_f32_e32 v8, v8
	v_cvt_i32_f32_sdwa v9, v9 dst_sel:BYTE_1 dst_unused:UNUSED_PAD src0_sel:DWORD
	v_cvt_i32_f32_e32 v16, v6
	v_cvt_i32_f32_sdwa v17, v7 dst_sel:BYTE_1 dst_unused:UNUSED_PAD src0_sel:DWORD
	;;#ASMSTART
	v_pk_mul_f32 v[6:7], v[14:15], v[18:19]
	;;#ASMEND
	s_add_i32 s0, s0, s1
	v_cvt_i32_f32_e32 v6, v6
	v_cvt_i32_f32_sdwa v7, v7 dst_sel:BYTE_1 dst_unused:UNUSED_PAD src0_sel:DWORD
	;;#ASMSTART
	v_pk_mul_f32 v[4:5], v[4:5], v[18:19]
	;;#ASMEND
	s_and_b32 s2, s0, -4
	s_ashr_i32 s0, s13, 31
	v_cvt_i32_f32_e32 v14, v4
	v_cvt_i32_f32_sdwa v5, v5 dst_sel:BYTE_1 dst_unused:UNUSED_PAD src0_sel:DWORD
	;;#ASMSTART
	v_pk_mul_f32 v[2:3], v[2:3], v[18:19]
	;;#ASMEND
	v_cvt_i32_f32_e32 v15, v2
	v_cvt_i32_f32_sdwa v18, v3 dst_sel:BYTE_1 dst_unused:UNUSED_PAD src0_sel:DWORD
	s_mul_hi_u32 s1, s13, s6
	s_mul_i32 s0, s0, s6
	v_or_b32_sdwa v0, v0, v12 dst_sel:DWORD dst_unused:UNUSED_PAD src0_sel:BYTE_0 src1_sel:DWORD
	v_or_b32_sdwa v2, v10, v11 dst_sel:WORD_1 dst_unused:UNUSED_PAD src0_sel:BYTE_0 src1_sel:DWORD
	s_add_i32 s1, s1, s0
	s_mul_i32 s0, s13, s6
	v_or_b32_sdwa v2, v0, v2 dst_sel:DWORD dst_unused:UNUSED_PAD src0_sel:WORD_0 src1_sel:DWORD
	v_or_b32_sdwa v0, v8, v9 dst_sel:DWORD dst_unused:UNUSED_PAD src0_sel:BYTE_0 src1_sel:DWORD
	v_or_b32_sdwa v3, v13, v20 dst_sel:WORD_1 dst_unused:UNUSED_PAD src0_sel:BYTE_0 src1_sel:DWORD
	s_add_u32 s0, s16, s0
	v_or_b32_sdwa v3, v0, v3 dst_sel:DWORD dst_unused:UNUSED_PAD src0_sel:WORD_0 src1_sel:DWORD
	v_or_b32_sdwa v0, v16, v17 dst_sel:DWORD dst_unused:UNUSED_PAD src0_sel:BYTE_0 src1_sel:DWORD
	v_or_b32_sdwa v4, v6, v7 dst_sel:WORD_1 dst_unused:UNUSED_PAD src0_sel:BYTE_0 src1_sel:DWORD
	s_addc_u32 s1, s17, s1
	v_or_b32_sdwa v4, v0, v4 dst_sel:DWORD dst_unused:UNUSED_PAD src0_sel:WORD_0 src1_sel:DWORD
	v_or_b32_sdwa v0, v14, v5 dst_sel:DWORD dst_unused:UNUSED_PAD src0_sel:BYTE_0 src1_sel:DWORD
	v_or_b32_sdwa v5, v15, v18 dst_sel:WORD_1 dst_unused:UNUSED_PAD src0_sel:BYTE_0 src1_sel:DWORD
	s_and_b32 s1, s1, 0xffff
	s_mov_b32 s3, 0x20000
	v_or_b32_sdwa v5, v0, v5 dst_sel:DWORD dst_unused:UNUSED_PAD src0_sel:WORD_0 src1_sel:DWORD
	buffer_store_dwordx4 v[2:5], v1, s[0:3], 0 offen
	;;#ASMSTART
	s_nop 0
	;;#ASMEND
.LBB48_49:
	s_endpgm
.LBB48_50:
                                        ; implicit-def: $vgpr18_vgpr19
	s_branch .LBB48_37
	.section	.rodata,"a",@progbits
	.p2align	6, 0x0
	.amdhsa_kernel _ZN5aiter24add_rmsnorm_quant_kernelItaLi256ELi16ELb1ELb1ELb0ELi1EEEvPT0_PT_PfS4_S4_S4_diiiiiiib
		.amdhsa_group_segment_fixed_size 32
		.amdhsa_private_segment_fixed_size 0
		.amdhsa_kernarg_size 88
		.amdhsa_user_sgpr_count 6
		.amdhsa_user_sgpr_private_segment_buffer 1
		.amdhsa_user_sgpr_dispatch_ptr 0
		.amdhsa_user_sgpr_queue_ptr 0
		.amdhsa_user_sgpr_kernarg_segment_ptr 1
		.amdhsa_user_sgpr_dispatch_id 0
		.amdhsa_user_sgpr_flat_scratch_init 0
		.amdhsa_user_sgpr_kernarg_preload_length 0
		.amdhsa_user_sgpr_kernarg_preload_offset 0
		.amdhsa_user_sgpr_private_segment_size 0
		.amdhsa_uses_dynamic_stack 0
		.amdhsa_system_sgpr_private_segment_wavefront_offset 0
		.amdhsa_system_sgpr_workgroup_id_x 1
		.amdhsa_system_sgpr_workgroup_id_y 0
		.amdhsa_system_sgpr_workgroup_id_z 0
		.amdhsa_system_sgpr_workgroup_info 0
		.amdhsa_system_vgpr_workitem_id 0
		.amdhsa_next_free_vgpr 46
		.amdhsa_next_free_sgpr 40
		.amdhsa_accum_offset 48
		.amdhsa_reserve_vcc 1
		.amdhsa_reserve_flat_scratch 0
		.amdhsa_float_round_mode_32 0
		.amdhsa_float_round_mode_16_64 0
		.amdhsa_float_denorm_mode_32 3
		.amdhsa_float_denorm_mode_16_64 3
		.amdhsa_dx10_clamp 1
		.amdhsa_ieee_mode 1
		.amdhsa_fp16_overflow 0
		.amdhsa_tg_split 0
		.amdhsa_exception_fp_ieee_invalid_op 0
		.amdhsa_exception_fp_denorm_src 0
		.amdhsa_exception_fp_ieee_div_zero 0
		.amdhsa_exception_fp_ieee_overflow 0
		.amdhsa_exception_fp_ieee_underflow 0
		.amdhsa_exception_fp_ieee_inexact 0
		.amdhsa_exception_int_div_zero 0
	.end_amdhsa_kernel
	.section	.text._ZN5aiter24add_rmsnorm_quant_kernelItaLi256ELi16ELb1ELb1ELb0ELi1EEEvPT0_PT_PfS4_S4_S4_diiiiiiib,"axG",@progbits,_ZN5aiter24add_rmsnorm_quant_kernelItaLi256ELi16ELb1ELb1ELb0ELi1EEEvPT0_PT_PfS4_S4_S4_diiiiiiib,comdat
.Lfunc_end48:
	.size	_ZN5aiter24add_rmsnorm_quant_kernelItaLi256ELi16ELb1ELb1ELb0ELi1EEEvPT0_PT_PfS4_S4_S4_diiiiiiib, .Lfunc_end48-_ZN5aiter24add_rmsnorm_quant_kernelItaLi256ELi16ELb1ELb1ELb0ELi1EEEvPT0_PT_PfS4_S4_S4_diiiiiiib
                                        ; -- End function
	.section	.AMDGPU.csdata,"",@progbits
; Kernel info:
; codeLenInByte = 3976
; NumSgprs: 44
; NumVgprs: 46
; NumAgprs: 0
; TotalNumVgprs: 46
; ScratchSize: 0
; MemoryBound: 0
; FloatMode: 240
; IeeeMode: 1
; LDSByteSize: 32 bytes/workgroup (compile time only)
; SGPRBlocks: 5
; VGPRBlocks: 5
; NumSGPRsForWavesPerEU: 44
; NumVGPRsForWavesPerEU: 46
; AccumOffset: 48
; Occupancy: 8
; WaveLimiterHint : 0
; COMPUTE_PGM_RSRC2:SCRATCH_EN: 0
; COMPUTE_PGM_RSRC2:USER_SGPR: 6
; COMPUTE_PGM_RSRC2:TRAP_HANDLER: 0
; COMPUTE_PGM_RSRC2:TGID_X_EN: 1
; COMPUTE_PGM_RSRC2:TGID_Y_EN: 0
; COMPUTE_PGM_RSRC2:TGID_Z_EN: 0
; COMPUTE_PGM_RSRC2:TIDIG_COMP_CNT: 0
; COMPUTE_PGM_RSRC3_GFX90A:ACCUM_OFFSET: 11
; COMPUTE_PGM_RSRC3_GFX90A:TG_SPLIT: 0
	.section	.text._ZN5aiter24add_rmsnorm_quant_kernelIDF16_aLi256ELi24ELb1ELb1ELb1ELi1EEEvPT0_PT_PfS4_S4_S4_diiiiiiib,"axG",@progbits,_ZN5aiter24add_rmsnorm_quant_kernelIDF16_aLi256ELi24ELb1ELb1ELb1ELi1EEEvPT0_PT_PfS4_S4_S4_diiiiiiib,comdat
	.protected	_ZN5aiter24add_rmsnorm_quant_kernelIDF16_aLi256ELi24ELb1ELb1ELb1ELi1EEEvPT0_PT_PfS4_S4_S4_diiiiiiib ; -- Begin function _ZN5aiter24add_rmsnorm_quant_kernelIDF16_aLi256ELi24ELb1ELb1ELb1ELi1EEEvPT0_PT_PfS4_S4_S4_diiiiiiib
	.globl	_ZN5aiter24add_rmsnorm_quant_kernelIDF16_aLi256ELi24ELb1ELb1ELb1ELi1EEEvPT0_PT_PfS4_S4_S4_diiiiiiib
	.p2align	8
	.type	_ZN5aiter24add_rmsnorm_quant_kernelIDF16_aLi256ELi24ELb1ELb1ELb1ELi1EEEvPT0_PT_PfS4_S4_S4_diiiiiiib,@function
_ZN5aiter24add_rmsnorm_quant_kernelIDF16_aLi256ELi24ELb1ELb1ELb1ELi1EEEvPT0_PT_PfS4_S4_S4_diiiiiiib: ; @_ZN5aiter24add_rmsnorm_quant_kernelIDF16_aLi256ELi24ELb1ELb1ELb1ELi1EEEvPT0_PT_PfS4_S4_S4_diiiiiiib
; %bb.0:
	s_load_dwordx8 s[8:15], s[4:5], 0x38
	s_mov_b32 s7, 0
	s_waitcnt lgkmcnt(0)
	s_ashr_i32 s0, s8, 31
	v_mov_b32_e32 v2, s8
	v_mov_b32_e32 v3, s0
	v_cmp_ge_i64_e32 vcc, s[6:7], v[2:3]
	s_cbranch_vccnz .LBB49_49
; %bb.1:
	s_load_dwordx8 s[16:23], s[4:5], 0x0
	s_load_dwordx8 s[24:31], s[4:5], 0x20
	s_ashr_i32 s0, s10, 31
	s_mul_hi_u32 s1, s10, s6
	s_mul_i32 s0, s0, s6
	s_add_i32 s1, s1, s0
	s_mul_i32 s0, s10, s6
	s_lshl_b64 s[0:1], s[0:1], 1
	s_waitcnt lgkmcnt(0)
	s_add_u32 s0, s22, s0
	s_addc_u32 s1, s23, s1
	s_add_i32 s2, s9, 1
	s_lshr_b32 s3, s2, 31
	v_and_b32_e32 v2, 0x3c0, v0
	s_add_i32 s2, s2, s3
	v_lshlrev_b32_e32 v1, 3, v0
	v_mul_u32_u24_e32 v2, 24, v2
	s_movk_i32 s4, 0x1f8
	s_lshl_b32 s2, s2, 1
	v_and_or_b32 v1, v1, s4, v2
	s_and_b32 s2, s2, -4
	s_and_b32 s1, s1, 0xffff
	s_mov_b32 s3, 0x20000
	v_lshlrev_b32_e32 v38, 1, v1
	s_movk_i32 s5, 0x400
	s_movk_i32 s4, 0x800
	buffer_load_dwordx4 v[30:33], v38, s[0:3], s5 offen glc slc
	buffer_load_dwordx4 v[14:17], v38, s[0:3], 0 offen glc slc
	;; [unrolled: 1-line block ×3, first 2 shown]
	s_ashr_i32 s0, s11, 31
	s_mul_hi_u32 s1, s11, s6
	s_mul_i32 s0, s0, s6
	s_add_i32 s1, s1, s0
	s_mul_i32 s0, s11, s6
	s_and_b32 s37, s27, 0xffff
	s_lshl_b64 s[0:1], s[0:1], 1
	s_add_u32 s0, s24, s0
	s_addc_u32 s1, s25, s1
	s_and_b32 s1, s1, 0xffff
	buffer_load_dwordx4 v[34:37], v38, s[0:3], s5 offen glc slc
	buffer_load_dwordx4 v[26:29], v38, s[0:3], s4 offen glc slc
	buffer_load_dwordx4 v[18:21], v38, s[0:3], 0 offen glc slc
	s_mov_b32 s39, s3
	s_mov_b32 s36, s26
	;; [unrolled: 1-line block ×3, first 2 shown]
	buffer_load_dwordx4 v[10:13], v38, s[36:39], 0 offen
	buffer_load_dwordx4 v[6:9], v38, s[36:39], s5 offen
	;; [unrolled: 1-line block ×3, first 2 shown]
	s_ashr_i32 s10, s12, 31
	s_mul_hi_u32 s1, s12, s6
	s_mul_i32 s10, s10, s6
	s_mul_i32 s0, s12, s6
	s_add_i32 s1, s1, s10
	s_lshl_b64 s[0:1], s[0:1], 1
	s_add_u32 s0, s18, s0
	s_addc_u32 s1, s19, s1
	s_and_b32 s1, s1, 0xffff
	s_waitcnt vmcnt(8)
	v_cvt_f32_f16_e32 v40, v30
	v_cvt_f32_f16_sdwa v41, v30 dst_sel:DWORD dst_unused:UNUSED_PAD src0_sel:WORD_1
	s_waitcnt vmcnt(6)
	v_cvt_f32_f16_e32 v48, v24
	v_cvt_f32_f16_sdwa v49, v24 dst_sel:DWORD dst_unused:UNUSED_PAD src0_sel:WORD_1
	v_cvt_f32_f16_e32 v50, v25
	v_cvt_f32_f16_sdwa v51, v25 dst_sel:DWORD dst_unused:UNUSED_PAD src0_sel:WORD_1
	;; [unrolled: 2-line block ×4, first 2 shown]
	v_cvt_f32_f16_e32 v44, v33
	s_waitcnt vmcnt(5)
	v_cvt_f32_f16_e32 v24, v34
	v_cvt_f32_f16_sdwa v25, v34 dst_sel:DWORD dst_unused:UNUSED_PAD src0_sel:WORD_1
	v_cvt_f32_f16_sdwa v45, v33 dst_sel:DWORD dst_unused:UNUSED_PAD src0_sel:WORD_1
	v_cvt_f32_f16_e32 v32, v35
	v_cvt_f32_f16_sdwa v33, v35 dst_sel:DWORD dst_unused:UNUSED_PAD src0_sel:WORD_1
	v_cvt_f32_f16_e32 v52, v36
	;; [unrolled: 2-line block ×3, first 2 shown]
	v_cvt_f32_f16_sdwa v55, v37 dst_sel:DWORD dst_unused:UNUSED_PAD src0_sel:WORD_1
	s_waitcnt vmcnt(3)
	v_cvt_f32_f16_e32 v64, v18
	v_cvt_f32_f16_sdwa v65, v18 dst_sel:DWORD dst_unused:UNUSED_PAD src0_sel:WORD_1
	v_pk_add_f32 v[36:37], v[40:41], v[24:25]
	v_cvt_f32_f16_e32 v40, v15
	v_cvt_f32_f16_sdwa v41, v15 dst_sel:DWORD dst_unused:UNUSED_PAD src0_sel:WORD_1
	v_cvt_f32_f16_e32 v18, v19
	v_cvt_f32_f16_sdwa v19, v19 dst_sel:DWORD dst_unused:UNUSED_PAD src0_sel:WORD_1
	;; [unrolled: 2-line block ×3, first 2 shown]
	v_pk_add_f32 v[34:35], v[30:31], v[32:33]
	v_pk_add_f32 v[32:33], v[42:43], v[52:53]
	;; [unrolled: 1-line block ×4, first 2 shown]
	v_cvt_f32_f16_e32 v40, v16
	v_cvt_f32_f16_sdwa v41, v16 dst_sel:DWORD dst_unused:UNUSED_PAD src0_sel:WORD_1
	v_cvt_f32_f16_e32 v42, v20
	v_cvt_f32_f16_sdwa v43, v20 dst_sel:DWORD dst_unused:UNUSED_PAD src0_sel:WORD_1
	;; [unrolled: 2-line block ×6, first 2 shown]
	v_pk_add_f32 v[14:15], v[62:63], v[64:65]
	v_pk_add_f32 v[16:17], v[40:41], v[42:43]
	;; [unrolled: 1-line block ×3, first 2 shown]
	v_cvt_f32_f16_e32 v58, v28
	v_cvt_f32_f16_sdwa v59, v28 dst_sel:DWORD dst_unused:UNUSED_PAD src0_sel:WORD_1
	v_cvt_f32_f16_e32 v60, v29
	v_cvt_f32_f16_sdwa v61, v29 dst_sel:DWORD dst_unused:UNUSED_PAD src0_sel:WORD_1
	v_pk_add_f32 v[28:29], v[46:47], v[56:57]
	v_cvt_f16_f32_e32 v39, v15
	v_cvt_f16_f32_e32 v46, v19
	;; [unrolled: 1-line block ×8, first 2 shown]
	v_pack_b32_f16 v43, v42, v41
	v_pack_b32_f16 v42, v44, v40
	;; [unrolled: 1-line block ×4, first 2 shown]
	v_cvt_f32_f16_e32 v22, v23
	v_cvt_f32_f16_sdwa v23, v23 dst_sel:DWORD dst_unused:UNUSED_PAD src0_sel:WORD_1
	v_cvt_f32_f16_e32 v26, v27
	v_cvt_f32_f16_sdwa v27, v27 dst_sel:DWORD dst_unused:UNUSED_PAD src0_sel:WORD_1
	buffer_store_dwordx4 v[40:43], v38, s[0:3], 0 offen glc slc
	v_cvt_f16_f32_e32 v39, v36
	v_cvt_f16_f32_e32 v40, v34
	;; [unrolled: 1-line block ×8, first 2 shown]
	v_pk_add_f32 v[26:27], v[22:23], v[26:27]
	v_pk_add_f32 v[24:25], v[48:49], v[58:59]
	;; [unrolled: 1-line block ×3, first 2 shown]
	v_pack_b32_f16 v43, v42, v43
	v_pack_b32_f16 v42, v41, v44
	;; [unrolled: 1-line block ×4, first 2 shown]
	;;#ASMSTART
	s_nop 0
	;;#ASMEND
	buffer_store_dwordx4 v[40:43], v38, s[0:3], s5 offen glc slc
	v_cvt_f16_f32_e32 v39, v28
	v_cvt_f16_f32_e32 v40, v26
	;; [unrolled: 1-line block ×8, first 2 shown]
	v_pack_b32_f16 v43, v42, v43
	v_pack_b32_f16 v42, v41, v44
	;; [unrolled: 1-line block ×4, first 2 shown]
	;;#ASMSTART
	s_nop 0
	;;#ASMEND
	buffer_store_dwordx4 v[40:43], v38, s[0:3], s4 offen glc slc
	v_pk_mul_f32 v[38:39], v[14:15], v[14:15]
	v_pk_mul_f32 v[40:41], v[18:19], v[18:19]
	v_add_f32_e32 v38, v38, v39
	v_add_f32_e32 v38, v40, v38
	v_pk_mul_f32 v[42:43], v[16:17], v[16:17]
	v_add_f32_e32 v40, v41, v38
	v_add_f32_e32 v40, v42, v40
	;; [unrolled: 3-line block ×11, first 2 shown]
	v_add_f32_e32 v38, v39, v38
	v_and_b32_e32 v40, 63, v0
	v_cmp_eq_u32_e64 s[0:1], 63, v40
	v_mov_b32_dpp v39, v38 quad_perm:[1,0,3,2] row_mask:0xf bank_mask:0xf
	v_add_f32_e32 v38, v38, v39
	;;#ASMSTART
	s_nop 0
	;;#ASMEND
	s_nop 1
	v_mov_b32_dpp v39, v38 quad_perm:[2,3,0,1] row_mask:0xf bank_mask:0xf
	v_add_f32_e32 v38, v38, v39
	s_nop 1
	v_mov_b32_dpp v39, v38 row_half_mirror row_mask:0xf bank_mask:0xf
	v_add_f32_e32 v38, v38, v39
	s_nop 1
	v_mov_b32_dpp v39, v38 row_mirror row_mask:0xf bank_mask:0xf
	v_add_f32_e32 v38, v38, v39
	s_nop 1
	v_mov_b32_dpp v39, v38 row_bcast:15 row_mask:0xf bank_mask:0xf
	v_add_f32_e32 v38, v38, v39
	s_nop 1
	v_mov_b32_dpp v39, v38 row_bcast:31 row_mask:0xf bank_mask:0xf
	s_and_saveexec_b64 s[2:3], s[0:1]
	s_cbranch_execz .LBB49_3
; %bb.2:
	v_lshrrev_b32_e32 v40, 4, v0
	v_and_b32_e32 v40, 60, v40
	v_add_f32_e32 v38, v38, v39
	ds_write_b32 v40, v38 offset:16
.LBB49_3:
	s_or_b64 exec, exec, s[2:3]
	v_and_b32_e32 v38, 3, v0
	v_lshlrev_b32_e32 v38, 2, v38
	s_waitcnt lgkmcnt(0)
	s_barrier
	ds_read_b32 v39, v38 offset:16
	v_cvt_f32_i32_e32 v40, s9
	s_waitcnt vmcnt(5)
	v_cvt_f32_f16_sdwa v47, v13 dst_sel:DWORD dst_unused:UNUSED_PAD src0_sel:WORD_1
	v_cvt_f32_f16_e32 v46, v13
	s_waitcnt vmcnt(4)
	v_cvt_f32_f16_sdwa v13, v7 dst_sel:DWORD dst_unused:UNUSED_PAD src0_sel:WORD_1
	s_waitcnt lgkmcnt(0)
	v_mov_b32_dpp v41, v39 quad_perm:[1,0,3,2] row_mask:0xf bank_mask:0xf
	v_add_f32_e32 v39, v39, v41
	s_cmp_lg_u32 s14, 0
	s_nop 0
	v_mov_b32_dpp v41, v39 quad_perm:[2,3,0,1] row_mask:0xf bank_mask:0xf
	v_add_f32_e32 v39, v39, v41
	v_div_scale_f32 v41, s[2:3], v40, v40, v39
	v_rcp_f32_e32 v42, v41
	v_div_scale_f32 v43, vcc, v39, v40, v39
	s_mov_b32 s2, 0x800000
	v_fma_f32 v44, -v41, v42, 1.0
	v_fmac_f32_e32 v42, v44, v42
	v_mul_f32_e32 v44, v43, v42
	v_fma_f32 v45, -v41, v44, v43
	v_fmac_f32_e32 v44, v45, v42
	v_fma_f32 v41, -v41, v44, v43
	v_div_fmas_f32 v41, v41, v42, v44
	v_div_fixup_f32 v39, v41, v40, v39
	v_cvt_f64_f32_e32 v[40:41], v39
	v_add_f64 v[40:41], v[40:41], s[28:29]
	v_cvt_f32_f64_e32 v39, v[40:41]
	v_mul_f32_e32 v40, 0x4b800000, v39
	v_cmp_gt_f32_e32 vcc, s2, v39
	v_cndmask_b32_e32 v39, v39, v40, vcc
	v_rsq_f32_e32 v39, v39
	v_cvt_f32_f16_sdwa v45, v11 dst_sel:DWORD dst_unused:UNUSED_PAD src0_sel:WORD_1
	v_cvt_f32_f16_e32 v44, v11
	v_cvt_f32_f16_sdwa v11, v12 dst_sel:DWORD dst_unused:UNUSED_PAD src0_sel:WORD_1
	v_mul_f32_e32 v40, 0x45800000, v39
	v_cndmask_b32_e32 v40, v39, v40, vcc
	v_mov_b32_e32 v41, v40
	;;#ASMSTART
	v_pk_mul_f32 v[14:15], v[14:15], v[40:41]
	;;#ASMEND
	;;#ASMSTART
	v_pk_mul_f32 v[18:19], v[18:19], v[40:41]
	;;#ASMEND
	;; [unrolled: 3-line block ×12, first 2 shown]
	v_cvt_f32_f16_sdwa v23, v10 dst_sel:DWORD dst_unused:UNUSED_PAD src0_sel:WORD_1
	v_cvt_f32_f16_e32 v22, v10
	v_cvt_f32_f16_e32 v10, v12
	;;#ASMSTART
	v_pk_mul_f32 v[24:25], v[14:15], v[22:23]
	;;#ASMEND
	;;#ASMSTART
	v_pk_mul_f32 v[22:23], v[18:19], v[44:45]
	;;#ASMEND
	;; [unrolled: 3-line block ×3, first 2 shown]
	v_cvt_f32_f16_sdwa v11, v6 dst_sel:DWORD dst_unused:UNUSED_PAD src0_sel:WORD_1
	v_cvt_f32_f16_e32 v10, v6
	v_cvt_f32_f16_e32 v12, v7
	v_cvt_f32_f16_sdwa v7, v8 dst_sel:DWORD dst_unused:UNUSED_PAD src0_sel:WORD_1
	v_cvt_f32_f16_e32 v6, v8
	;;#ASMSTART
	v_pk_mul_f32 v[16:17], v[20:21], v[46:47]
	;;#ASMEND
	;;#ASMSTART
	v_pk_mul_f32 v[20:21], v[36:37], v[10:11]
	;;#ASMEND
	;; [unrolled: 3-line block ×4, first 2 shown]
	s_waitcnt vmcnt(3)
	v_cvt_f32_f16_sdwa v7, v2 dst_sel:DWORD dst_unused:UNUSED_PAD src0_sel:WORD_1
	v_cvt_f32_f16_e32 v6, v2
	v_cvt_f32_f16_sdwa v45, v9 dst_sel:DWORD dst_unused:UNUSED_PAD src0_sel:WORD_1
	v_cvt_f32_f16_e32 v44, v9
	;;#ASMSTART
	v_pk_mul_f32 v[8:9], v[30:31], v[44:45]
	;;#ASMEND
	v_cvt_f32_f16_sdwa v31, v3 dst_sel:DWORD dst_unused:UNUSED_PAD src0_sel:WORD_1
	v_cvt_f32_f16_e32 v30, v3
	v_cvt_f32_f16_sdwa v3, v4 dst_sel:DWORD dst_unused:UNUSED_PAD src0_sel:WORD_1
	v_cvt_f32_f16_e32 v2, v4
	;;#ASMSTART
	v_pk_mul_f32 v[10:11], v[28:29], v[6:7]
	;;#ASMEND
	;;#ASMSTART
	v_pk_mul_f32 v[6:7], v[26:27], v[30:31]
	;;#ASMEND
	v_and_b32_e32 v26, 0x7fffffff, v24
	v_mov_b32_e32 v28, 0x2edbe6ff
	v_cvt_f32_f16_sdwa v33, v5 dst_sel:DWORD dst_unused:UNUSED_PAD src0_sel:WORD_1
	v_cvt_f32_f16_e32 v32, v5
	;;#ASMSTART
	v_pk_mul_f32 v[4:5], v[42:43], v[2:3]
	;;#ASMEND
	;;#ASMSTART
	v_pk_mul_f32 v[2:3], v[40:41], v[32:33]
	;;#ASMEND
	v_and_b32_e32 v27, 0x7fffffff, v25
	;;#ASMSTART
	v_max3_f32 v26, v28, v26, v27

	;;#ASMEND
	v_and_b32_e32 v28, 0x7fffffff, v23
	v_and_b32_e32 v27, 0x7fffffff, v22
	;;#ASMSTART
	v_max3_f32 v26, v26, v27, v28

	;;#ASMEND
	v_and_b32_e32 v28, 0x7fffffff, v19
	;; [unrolled: 6-line block ×11, first 2 shown]
	v_and_b32_e32 v27, 0x7fffffff, v2
	;;#ASMSTART
	v_max3_f32 v28, v26, v27, v28

	;;#ASMEND
	s_cbranch_scc0 .LBB49_10
; %bb.4:
	s_mul_hi_i32 s2, s14, 0x2aaaaaab
	s_lshr_b32 s3, s2, 31
	s_ashr_i32 s4, s2, 2
	s_add_i32 s4, s4, s3
	s_cmp_lt_i32 s4, 16
	s_cbranch_scc1 .LBB49_11
; %bb.5:
	s_cmp_lt_i32 s4, 32
	s_cbranch_scc1 .LBB49_12
; %bb.6:
	;; [unrolled: 3-line block ×3, first 2 shown]
	s_cmp_eq_u32 s4, 64
	v_mov_b32_e32 v26, v28
	s_cbranch_scc0 .LBB49_9
; %bb.8:
	s_nop 0
	v_mov_b32_dpp v26, v28 quad_perm:[1,0,3,2] row_mask:0xf bank_mask:0xf
	v_cmp_gt_f32_e32 vcc, v28, v26
	v_cndmask_b32_e32 v26, v26, v28, vcc
	v_bfrev_b32_e32 v29, 0.5
	s_nop 0
	v_mov_b32_dpp v27, v26 quad_perm:[2,3,0,1] row_mask:0xf bank_mask:0xf
	v_cmp_gt_f32_e32 vcc, v26, v27
	v_cndmask_b32_e32 v26, v27, v26, vcc
	s_nop 1
	v_mov_b32_dpp v27, v26 row_ror:4 row_mask:0xf bank_mask:0xf
	v_cmp_gt_f32_e32 vcc, v26, v27
	v_cndmask_b32_e32 v26, v27, v26, vcc
	s_nop 1
	v_mov_b32_dpp v27, v26 row_ror:8 row_mask:0xf bank_mask:0xf
	v_cmp_gt_f32_e32 vcc, v26, v27
	v_cndmask_b32_e32 v26, v27, v26, vcc
	s_nop 1
	v_mov_b32_dpp v27, v26 row_bcast:15 row_mask:0xf bank_mask:0xf
	v_cmp_gt_f32_e32 vcc, v26, v27
	v_cndmask_b32_e32 v26, v27, v26, vcc
	s_nop 1
	v_mov_b32_dpp v27, v26 row_bcast:31 row_mask:0xf bank_mask:0xf
	v_cmp_gt_f32_e32 vcc, v26, v27
	v_cndmask_b32_e32 v26, v27, v26, vcc
	v_mbcnt_lo_u32_b32 v27, -1, 0
	v_mbcnt_hi_u32_b32 v27, -1, v27
	v_lshl_or_b32 v27, v27, 2, v29
	ds_bpermute_b32 v26, v27, v26
.LBB49_9:
	s_mov_b64 s[2:3], 0
	s_branch .LBB49_14
.LBB49_10:
	s_mov_b64 s[2:3], 0
                                        ; implicit-def: $vgpr29
                                        ; implicit-def: $vgpr26_vgpr27
	s_cbranch_execnz .LBB49_43
	s_branch .LBB49_46
.LBB49_11:
                                        ; implicit-def: $vgpr26
	s_branch .LBB49_21
.LBB49_12:
                                        ; implicit-def: $vgpr26
	s_branch .LBB49_18
.LBB49_13:
	s_mov_b64 s[2:3], -1
                                        ; implicit-def: $vgpr26
.LBB49_14:
	s_andn2_b64 vcc, exec, s[2:3]
	s_cbranch_vccnz .LBB49_17
; %bb.15:
	s_cmp_eq_u32 s4, 32
	s_waitcnt lgkmcnt(0)
	v_mov_b32_e32 v26, v28
	s_cbranch_scc0 .LBB49_17
; %bb.16:
	s_nop 0
	v_mov_b32_dpp v26, v28 quad_perm:[1,0,3,2] row_mask:0xf bank_mask:0xf
	v_cmp_gt_f32_e32 vcc, v28, v26
	v_cndmask_b32_e32 v26, v26, v28, vcc
	v_mov_b32_e32 v29, 0x7c
	s_nop 0
	v_mov_b32_dpp v27, v26 quad_perm:[2,3,0,1] row_mask:0xf bank_mask:0xf
	v_cmp_gt_f32_e32 vcc, v26, v27
	v_cndmask_b32_e32 v26, v27, v26, vcc
	s_nop 1
	v_mov_b32_dpp v27, v26 row_half_mirror row_mask:0xf bank_mask:0xf
	v_cmp_gt_f32_e32 vcc, v26, v27
	v_cndmask_b32_e32 v26, v27, v26, vcc
	s_nop 1
	v_mov_b32_dpp v27, v26 row_mirror row_mask:0xf bank_mask:0xf
	v_cmp_gt_f32_e32 vcc, v26, v27
	v_cndmask_b32_e32 v26, v27, v26, vcc
	s_nop 1
	v_mov_b32_dpp v27, v26 row_bcast:15 row_mask:0xa bank_mask:0xf
	v_cmp_gt_f32_e32 vcc, v26, v27
	v_cndmask_b32_e32 v26, v27, v26, vcc
	v_mbcnt_lo_u32_b32 v27, -1, 0
	v_mbcnt_hi_u32_b32 v27, -1, v27
	v_lshl_or_b32 v27, v27, 2, v29
	ds_bpermute_b32 v26, v27, v26
.LBB49_17:
	s_cbranch_execnz .LBB49_20
.LBB49_18:
	s_cmp_eq_u32 s4, 16
	s_waitcnt lgkmcnt(0)
	v_mov_b32_e32 v26, v28
	s_cbranch_scc0 .LBB49_20
; %bb.19:
	s_nop 0
	v_mov_b32_dpp v26, v28 quad_perm:[1,0,3,2] row_mask:0xf bank_mask:0xf
	v_cmp_gt_f32_e32 vcc, v28, v26
	v_cndmask_b32_e32 v26, v26, v28, vcc
	s_nop 1
	v_mov_b32_dpp v27, v26 quad_perm:[2,3,0,1] row_mask:0xf bank_mask:0xf
	v_cmp_gt_f32_e32 vcc, v26, v27
	v_cndmask_b32_e32 v26, v27, v26, vcc
	s_nop 1
	v_mov_b32_dpp v27, v26 row_half_mirror row_mask:0xf bank_mask:0xf
	v_cmp_gt_f32_e32 vcc, v26, v27
	v_cndmask_b32_e32 v26, v27, v26, vcc
	s_nop 1
	v_mov_b32_dpp v27, v26 row_mirror row_mask:0xf bank_mask:0xf
	v_cmp_gt_f32_e32 vcc, v26, v27
	v_cndmask_b32_e32 v26, v27, v26, vcc
.LBB49_20:
	s_cbranch_execnz .LBB49_33
.LBB49_21:
	s_cmp_lt_i32 s4, 4
	s_cbranch_scc1 .LBB49_25
; %bb.22:
	s_cmp_lt_i32 s4, 8
	s_cbranch_scc1 .LBB49_26
; %bb.23:
	s_cmp_eq_u32 s4, 8
	s_waitcnt lgkmcnt(0)
	v_mov_b32_e32 v26, v28
	s_cbranch_scc0 .LBB49_27
; %bb.24:
	s_nop 0
	v_mov_b32_dpp v26, v28 quad_perm:[1,0,3,2] row_mask:0xf bank_mask:0xf
	v_cmp_gt_f32_e32 vcc, v28, v26
	v_cndmask_b32_e32 v26, v26, v28, vcc
	s_nop 1
	v_mov_b32_dpp v27, v26 quad_perm:[2,3,0,1] row_mask:0xf bank_mask:0xf
	v_cmp_gt_f32_e32 vcc, v26, v27
	v_cndmask_b32_e32 v26, v27, v26, vcc
	s_nop 1
	v_mov_b32_dpp v27, v26 row_half_mirror row_mask:0xf bank_mask:0xf
	v_cmp_gt_f32_e32 vcc, v26, v27
	v_cndmask_b32_e32 v26, v27, v26, vcc
	s_cbranch_execz .LBB49_28
	s_branch .LBB49_30
.LBB49_25:
                                        ; implicit-def: $vgpr26
	s_branch .LBB49_31
.LBB49_26:
                                        ; implicit-def: $vgpr26
	s_branch .LBB49_28
.LBB49_27:
	s_cbranch_execnz .LBB49_30
.LBB49_28:
	s_cmp_eq_u32 s4, 4
	s_waitcnt lgkmcnt(0)
	v_mov_b32_e32 v26, v28
	s_cbranch_scc0 .LBB49_30
; %bb.29:
	s_nop 0
	v_mov_b32_dpp v26, v28 quad_perm:[1,0,3,2] row_mask:0xf bank_mask:0xf
	v_cmp_gt_f32_e32 vcc, v28, v26
	v_cndmask_b32_e32 v26, v26, v28, vcc
	s_nop 1
	v_mov_b32_dpp v27, v26 quad_perm:[2,3,0,1] row_mask:0xf bank_mask:0xf
	v_cmp_gt_f32_e32 vcc, v26, v27
	v_cndmask_b32_e32 v26, v27, v26, vcc
.LBB49_30:
	s_cbranch_execnz .LBB49_33
.LBB49_31:
	s_cmp_lg_u32 s4, 2
	s_waitcnt lgkmcnt(0)
	v_mov_b32_e32 v26, v28
	s_cbranch_scc1 .LBB49_33
; %bb.32:
	s_nop 0
	v_mov_b32_dpp v26, v28 quad_perm:[1,0,3,2] row_mask:0xf bank_mask:0xf
	v_cmp_gt_f32_e32 vcc, v28, v26
	v_cndmask_b32_e32 v26, v26, v28, vcc
.LBB49_33:
	v_cvt_f32_u32_e32 v27, s4
	s_waitcnt lgkmcnt(0)
	v_mul_f32_e32 v29, 0x3c010204, v26
	s_sub_i32 s2, 0, s4
	v_rcp_iflag_f32_e32 v27, v27
	v_mul_f32_e32 v26, 0x4f7ffffe, v27
	v_cvt_u32_f32_e32 v26, v26
	v_mul_u32_u24_e32 v27, 24, v0
	v_cmp_gt_u32_e32 vcc, s9, v27
	v_mul_lo_u32 v27, s2, v26
	v_mul_hi_u32 v27, v26, v27
	v_add_u32_e32 v26, v26, v27
	v_mul_hi_u32 v26, v0, v26
	v_mul_lo_u32 v27, v26, s4
	v_sub_u32_e32 v27, v0, v27
	v_add_u32_e32 v30, 1, v26
	v_cmp_le_u32_e64 s[2:3], s4, v27
	v_cndmask_b32_e64 v26, v26, v30, s[2:3]
	v_subrev_u32_e32 v30, s4, v27
	v_cndmask_b32_e64 v27, v27, v30, s[2:3]
	v_add_u32_e32 v30, 1, v26
	v_cmp_le_u32_e64 s[2:3], s4, v27
	v_cndmask_b32_e64 v30, v26, v30, s[2:3]
	v_mul_lo_u32 v26, v30, s4
	v_sub_u32_e32 v26, v0, v26
	v_cmp_eq_u32_e64 s[2:3], 0, v26
	s_and_b64 s[10:11], s[2:3], vcc
	s_mov_b64 s[4:5], 0
	s_mov_b64 s[2:3], 0
                                        ; implicit-def: $vgpr26_vgpr27
	s_and_saveexec_b64 s[18:19], s[10:11]
	s_xor_b64 s[10:11], exec, s[18:19]
	s_cbranch_execz .LBB49_42
; %bb.34:
	s_bitcmp0_b32 s15, 0
	s_cbranch_scc0 .LBB49_39
; %bb.35:
	s_ashr_i32 s2, s9, 31
	s_mul_hi_u32 s3, s9, s6
	s_mul_i32 s2, s2, s6
	s_add_i32 s19, s3, s2
	s_mul_i32 s18, s9, s6
	s_ashr_i32 s15, s14, 31
	s_or_b64 s[2:3], s[18:19], s[14:15]
	s_mov_b32 s2, 0
	s_cmp_lg_u64 s[2:3], 0
	s_cbranch_scc0 .LBB49_50
; %bb.36:
	s_add_u32 s2, s14, s15
	s_mov_b32 s24, s15
	s_mov_b32 s25, s15
	s_addc_u32 s3, s15, s15
	s_xor_b64 s[26:27], s[2:3], s[24:25]
	v_cvt_f32_u32_e32 v26, s26
	v_cvt_f32_u32_e32 v27, s27
	s_sub_u32 s2, 0, s26
	s_subb_u32 s3, 0, s27
	v_madmk_f32 v26, v27, 0x4f800000, v26
	v_rcp_f32_e32 v26, v26
	v_mul_f32_e32 v26, 0x5f7ffffc, v26
	v_mul_f32_e32 v27, 0x2f800000, v26
	v_trunc_f32_e32 v27, v27
	v_madmk_f32 v26, v27, 0xcf800000, v26
	v_cvt_u32_f32_e32 v27, v27
	v_cvt_u32_f32_e32 v26, v26
	v_readfirstlane_b32 s12, v27
	v_readfirstlane_b32 s15, v26
	s_mul_i32 s28, s2, s12
	s_mul_hi_u32 s30, s2, s15
	s_mul_i32 s29, s3, s15
	s_add_i32 s28, s30, s28
	s_add_i32 s28, s28, s29
	s_mul_i32 s31, s2, s15
	s_mul_hi_u32 s29, s15, s28
	s_mul_i32 s30, s15, s28
	s_mul_hi_u32 s15, s15, s31
	s_add_u32 s15, s15, s30
	s_addc_u32 s29, 0, s29
	s_mul_hi_u32 s33, s12, s31
	s_mul_i32 s31, s12, s31
	s_add_u32 s15, s15, s31
	s_mul_hi_u32 s30, s12, s28
	s_addc_u32 s15, s29, s33
	s_addc_u32 s29, s30, 0
	s_mul_i32 s28, s12, s28
	s_add_u32 s15, s15, s28
	s_addc_u32 s28, 0, s29
	v_add_co_u32_e32 v26, vcc, s15, v26
	s_cmp_lg_u64 vcc, 0
	s_addc_u32 s12, s12, s28
	v_readfirstlane_b32 s28, v26
	s_mul_i32 s15, s2, s12
	s_mul_hi_u32 s29, s2, s28
	s_add_i32 s15, s29, s15
	s_mul_i32 s3, s3, s28
	s_add_i32 s15, s15, s3
	s_mul_i32 s2, s2, s28
	s_mul_hi_u32 s29, s12, s2
	s_mul_i32 s30, s12, s2
	s_mul_i32 s33, s28, s15
	s_mul_hi_u32 s2, s28, s2
	s_mul_hi_u32 s31, s28, s15
	s_add_u32 s2, s2, s33
	s_addc_u32 s28, 0, s31
	s_add_u32 s2, s2, s30
	s_mul_hi_u32 s3, s12, s15
	s_addc_u32 s2, s28, s29
	s_addc_u32 s3, s3, 0
	s_mul_i32 s15, s12, s15
	s_add_u32 s2, s2, s15
	s_addc_u32 s3, 0, s3
	v_add_co_u32_e32 v26, vcc, s2, v26
	s_cmp_lg_u64 vcc, 0
	s_addc_u32 s12, s12, s3
	s_ashr_i32 s28, s19, 31
	s_add_u32 s2, s18, s28
	s_mov_b32 s29, s28
	s_addc_u32 s3, s19, s28
	s_xor_b64 s[30:31], s[2:3], s[28:29]
	v_readfirstlane_b32 s15, v26
	s_mul_i32 s3, s30, s12
	s_mul_hi_u32 s19, s30, s15
	s_mul_hi_u32 s2, s30, s12
	s_add_u32 s3, s19, s3
	s_addc_u32 s2, 0, s2
	s_mul_hi_u32 s33, s31, s15
	s_mul_i32 s15, s31, s15
	s_add_u32 s3, s3, s15
	s_mul_hi_u32 s19, s31, s12
	s_addc_u32 s2, s2, s33
	s_addc_u32 s3, s19, 0
	s_mul_i32 s12, s31, s12
	s_add_u32 s12, s2, s12
	s_addc_u32 s15, 0, s3
	s_mul_i32 s2, s26, s15
	s_mul_hi_u32 s3, s26, s12
	s_add_i32 s2, s3, s2
	s_mul_i32 s3, s27, s12
	s_add_i32 s19, s2, s3
	s_mul_i32 s3, s26, s12
	v_mov_b32_e32 v26, s3
	s_sub_i32 s2, s31, s19
	v_sub_co_u32_e32 v26, vcc, s30, v26
	s_cmp_lg_u64 vcc, 0
	s_subb_u32 s30, s2, s27
	v_subrev_co_u32_e64 v27, s[2:3], s26, v26
	s_cmp_lg_u64 s[2:3], 0
	s_subb_u32 s30, s30, 0
	s_cmp_ge_u32 s30, s27
	s_cselect_b32 s33, -1, 0
	v_cmp_le_u32_e64 s[2:3], s26, v27
	s_cmp_eq_u32 s30, s27
	v_cndmask_b32_e64 v27, 0, -1, s[2:3]
	v_mov_b32_e32 v31, s33
	s_cselect_b64 s[2:3], -1, 0
	v_cndmask_b32_e64 v27, v31, v27, s[2:3]
	s_add_u32 s2, s12, 1
	s_addc_u32 s30, s15, 0
	s_add_u32 s3, s12, 2
	s_addc_u32 s33, s15, 0
	v_mov_b32_e32 v31, s2
	v_mov_b32_e32 v32, s3
	v_cmp_ne_u32_e64 s[2:3], 0, v27
	v_cndmask_b32_e64 v27, v31, v32, s[2:3]
	v_mov_b32_e32 v31, s30
	v_mov_b32_e32 v32, s33
	s_cmp_lg_u64 vcc, 0
	v_cndmask_b32_e64 v31, v31, v32, s[2:3]
	s_subb_u32 s2, s31, s19
	s_cmp_ge_u32 s2, s27
	s_cselect_b32 s3, -1, 0
	v_cmp_le_u32_e32 vcc, s26, v26
	s_cmp_eq_u32 s2, s27
	v_cndmask_b32_e64 v26, 0, -1, vcc
	v_mov_b32_e32 v32, s3
	s_cselect_b64 vcc, -1, 0
	v_cndmask_b32_e32 v26, v32, v26, vcc
	v_mov_b32_e32 v32, s15
	v_cmp_ne_u32_e32 vcc, 0, v26
	v_cndmask_b32_e32 v26, v32, v31, vcc
	v_mov_b32_e32 v31, s12
	v_cndmask_b32_e32 v27, v31, v27, vcc
	s_xor_b64 s[2:3], s[28:29], s[24:25]
	v_xor_b32_e32 v27, s2, v27
	v_xor_b32_e32 v31, s3, v26
	v_mov_b32_e32 v32, s3
	v_subrev_co_u32_e32 v26, vcc, s2, v27
	v_subb_co_u32_e32 v27, vcc, v31, v32, vcc
	s_cbranch_execnz .LBB49_38
.LBB49_37:
	v_cvt_f32_u32_e32 v26, s14
	s_sub_i32 s2, 0, s14
	s_mov_b32 s3, 0
	v_rcp_iflag_f32_e32 v26, v26
	v_mul_f32_e32 v26, 0x4f7ffffe, v26
	v_cvt_u32_f32_e32 v26, v26
	v_readfirstlane_b32 s12, v26
	s_mul_i32 s2, s2, s12
	s_mul_hi_u32 s2, s12, s2
	s_add_i32 s12, s12, s2
	s_mul_hi_u32 s2, s18, s12
	s_mul_i32 s15, s2, s14
	s_sub_i32 s15, s18, s15
	s_add_i32 s12, s2, 1
	s_sub_i32 s18, s15, s14
	s_cmp_ge_u32 s15, s14
	s_cselect_b32 s2, s12, s2
	s_cselect_b32 s15, s18, s15
	s_add_i32 s12, s2, 1
	s_cmp_ge_u32 s15, s14
	s_cselect_b32 s2, s12, s2
	v_pk_mov_b32 v[26:27], s[2:3], s[2:3] op_sel:[0,1]
.LBB49_38:
	v_add_co_u32_e32 v26, vcc, v26, v30
	v_addc_co_u32_e32 v27, vcc, 0, v27, vcc
	s_branch .LBB49_41
.LBB49_39:
                                        ; implicit-def: $vgpr26_vgpr27
	s_cbranch_execz .LBB49_41
; %bb.40:
	v_mul_lo_u32 v26, v30, s8
	v_ashrrev_i32_e32 v27, 31, v26
	v_mov_b32_e32 v30, s7
	v_add_co_u32_e32 v26, vcc, s6, v26
	v_addc_co_u32_e32 v27, vcc, v27, v30, vcc
.LBB49_41:
	s_mov_b64 s[2:3], exec
.LBB49_42:
	s_or_b64 exec, exec, s[10:11]
	s_and_b64 vcc, exec, s[4:5]
	s_cbranch_vccz .LBB49_46
.LBB49_43:
	v_mov_b32_dpp v26, v28 quad_perm:[1,0,3,2] row_mask:0xf bank_mask:0xf
	v_cmp_gt_f32_e32 vcc, v28, v26
	v_cndmask_b32_e32 v26, v26, v28, vcc
	s_nop 1
	v_mov_b32_dpp v27, v26 quad_perm:[2,3,0,1] row_mask:0xf bank_mask:0xf
	v_cmp_gt_f32_e32 vcc, v26, v27
	v_cndmask_b32_e32 v26, v27, v26, vcc
	s_nop 1
	v_mov_b32_dpp v27, v26 row_half_mirror row_mask:0xf bank_mask:0xf
	v_cmp_gt_f32_e32 vcc, v26, v27
	v_cndmask_b32_e32 v26, v27, v26, vcc
	s_nop 1
	v_mov_b32_dpp v27, v26 row_mirror row_mask:0xf bank_mask:0xf
	v_cmp_gt_f32_e32 vcc, v26, v27
	v_cndmask_b32_e32 v26, v27, v26, vcc
	s_nop 1
	v_mov_b32_dpp v27, v26 row_bcast:15 row_mask:0xf bank_mask:0xf
	v_cmp_gt_f32_e32 vcc, v26, v27
	v_cndmask_b32_e32 v26, v27, v26, vcc
	s_nop 1
	v_mov_b32_dpp v27, v26 row_bcast:31 row_mask:0xf bank_mask:0xf
	s_and_saveexec_b64 s[2:3], s[0:1]
	s_cbranch_execz .LBB49_45
; %bb.44:
	v_lshrrev_b32_e32 v28, 4, v0
	v_cmp_gt_f32_e32 vcc, v26, v27
	v_and_b32_e32 v28, 60, v28
	v_cndmask_b32_e32 v26, v27, v26, vcc
	ds_write_b32 v28, v26
.LBB49_45:
	s_or_b64 exec, exec, s[2:3]
	s_waitcnt lgkmcnt(0)
	s_barrier
	ds_read_b32 v26, v38
	v_cmp_eq_u32_e64 s[2:3], 0, v0
	s_waitcnt lgkmcnt(0)
	v_mov_b32_dpp v27, v26 quad_perm:[1,0,3,2] row_mask:0xf bank_mask:0xf
	v_cmp_gt_f32_e32 vcc, v26, v27
	v_cndmask_b32_e32 v26, v27, v26, vcc
	s_nop 1
	v_mov_b32_dpp v27, v26 quad_perm:[2,3,0,1] row_mask:0xf bank_mask:0xf
	v_cmp_gt_f32_e32 vcc, v26, v27
	v_cndmask_b32_e32 v26, v27, v26, vcc
	v_mul_f32_e32 v29, 0x3c010204, v26
	v_pk_mov_b32 v[26:27], s[6:7], s[6:7] op_sel:[0,1]
.LBB49_46:
	s_and_saveexec_b64 s[0:1], s[2:3]
	s_cbranch_execz .LBB49_48
; %bb.47:
	v_lshlrev_b64 v[26:27], 2, v[26:27]
	v_mov_b32_e32 v0, s21
	v_add_co_u32_e32 v26, vcc, s20, v26
	v_addc_co_u32_e32 v27, vcc, v0, v27, vcc
	global_store_dword v[26:27], v29, off
.LBB49_48:
	s_or_b64 exec, exec, s[0:1]
	s_add_i32 s0, s9, 3
	s_ashr_i32 s1, s0, 31
	s_lshr_b32 s1, s1, 30
	;;#ASMSTART
	v_rcp_f32 v26, v29
	;;#ASMEND
	v_mov_b32_e32 v27, v26
	;;#ASMSTART
	v_pk_mul_f32 v[24:25], v[24:25], v[26:27]
	;;#ASMEND
	;;#ASMSTART
	v_pk_mul_f32 v[22:23], v[22:23], v[26:27]
	;;#ASMEND
	s_add_i32 s0, s0, s1
	v_cvt_i32_f32_e32 v0, v24
	v_cvt_i32_f32_sdwa v24, v25 dst_sel:BYTE_1 dst_unused:UNUSED_PAD src0_sel:DWORD
	v_cvt_i32_f32_e32 v22, v22
	v_cvt_i32_f32_sdwa v23, v23 dst_sel:BYTE_1 dst_unused:UNUSED_PAD src0_sel:DWORD
	;;#ASMSTART
	v_pk_mul_f32 v[18:19], v[18:19], v[26:27]
	;;#ASMEND
	;;#ASMSTART
	v_pk_mul_f32 v[16:17], v[16:17], v[26:27]
	;;#ASMEND
	s_and_b32 s2, s0, -4
	s_ashr_i32 s0, s13, 31
	v_cvt_i32_f32_e32 v18, v18
	v_cvt_i32_f32_sdwa v19, v19 dst_sel:BYTE_1 dst_unused:UNUSED_PAD src0_sel:DWORD
	v_cvt_i32_f32_e32 v25, v16
	v_cvt_i32_f32_sdwa v17, v17 dst_sel:BYTE_1 dst_unused:UNUSED_PAD src0_sel:DWORD
	s_mul_hi_u32 s1, s13, s6
	s_mul_i32 s0, s0, s6
	s_add_i32 s1, s1, s0
	s_mul_i32 s0, s13, s6
	s_add_u32 s0, s16, s0
	v_or_b32_sdwa v0, v0, v24 dst_sel:DWORD dst_unused:UNUSED_PAD src0_sel:BYTE_0 src1_sel:DWORD
	v_or_b32_sdwa v16, v22, v23 dst_sel:WORD_1 dst_unused:UNUSED_PAD src0_sel:BYTE_0 src1_sel:DWORD
	s_addc_u32 s1, s17, s1
	v_or_b32_sdwa v16, v0, v16 dst_sel:DWORD dst_unused:UNUSED_PAD src0_sel:WORD_0 src1_sel:DWORD
	v_or_b32_sdwa v0, v18, v19 dst_sel:DWORD dst_unused:UNUSED_PAD src0_sel:BYTE_0 src1_sel:DWORD
	v_or_b32_sdwa v17, v25, v17 dst_sel:WORD_1 dst_unused:UNUSED_PAD src0_sel:BYTE_0 src1_sel:DWORD
	s_and_b32 s1, s1, 0xffff
	s_mov_b32 s3, 0x20000
	v_or_b32_sdwa v17, v0, v17 dst_sel:DWORD dst_unused:UNUSED_PAD src0_sel:WORD_0 src1_sel:DWORD
	buffer_store_dwordx2 v[16:17], v1, s[0:3], 0 offen
	;;#ASMSTART
	s_nop 0
	;;#ASMEND
	;;#ASMSTART
	v_pk_mul_f32 v[16:17], v[20:21], v[26:27]
	;;#ASMEND
	;;#ASMSTART
	v_pk_mul_f32 v[14:15], v[14:15], v[26:27]
	;;#ASMEND
	v_cvt_i32_f32_e32 v0, v16
	v_cvt_i32_f32_sdwa v16, v17 dst_sel:BYTE_1 dst_unused:UNUSED_PAD src0_sel:DWORD
	v_cvt_i32_f32_e32 v14, v14
	v_cvt_i32_f32_sdwa v15, v15 dst_sel:BYTE_1 dst_unused:UNUSED_PAD src0_sel:DWORD
	;;#ASMSTART
	v_pk_mul_f32 v[12:13], v[12:13], v[26:27]
	;;#ASMEND
	;;#ASMSTART
	v_pk_mul_f32 v[8:9], v[8:9], v[26:27]
	;;#ASMEND
	v_cvt_i32_f32_e32 v12, v12
	v_cvt_i32_f32_sdwa v13, v13 dst_sel:BYTE_1 dst_unused:UNUSED_PAD src0_sel:DWORD
	v_cvt_i32_f32_e32 v17, v8
	v_cvt_i32_f32_sdwa v9, v9 dst_sel:BYTE_1 dst_unused:UNUSED_PAD src0_sel:DWORD
	v_or_b32_sdwa v0, v0, v16 dst_sel:DWORD dst_unused:UNUSED_PAD src0_sel:BYTE_0 src1_sel:DWORD
	v_or_b32_sdwa v8, v14, v15 dst_sel:WORD_1 dst_unused:UNUSED_PAD src0_sel:BYTE_0 src1_sel:DWORD
	v_or_b32_sdwa v8, v0, v8 dst_sel:DWORD dst_unused:UNUSED_PAD src0_sel:WORD_0 src1_sel:DWORD
	v_or_b32_sdwa v0, v12, v13 dst_sel:DWORD dst_unused:UNUSED_PAD src0_sel:BYTE_0 src1_sel:DWORD
	v_or_b32_sdwa v9, v17, v9 dst_sel:WORD_1 dst_unused:UNUSED_PAD src0_sel:BYTE_0 src1_sel:DWORD
	v_or_b32_sdwa v9, v0, v9 dst_sel:DWORD dst_unused:UNUSED_PAD src0_sel:WORD_0 src1_sel:DWORD
	s_movk_i32 s4, 0x200
	buffer_store_dwordx2 v[8:9], v1, s[0:3], s4 offen
	;;#ASMSTART
	s_nop 0
	;;#ASMEND
	;;#ASMSTART
	v_pk_mul_f32 v[8:9], v[10:11], v[26:27]
	;;#ASMEND
	;;#ASMSTART
	v_pk_mul_f32 v[6:7], v[6:7], v[26:27]
	;;#ASMEND
	v_cvt_i32_f32_e32 v0, v8
	v_cvt_i32_f32_sdwa v8, v9 dst_sel:BYTE_1 dst_unused:UNUSED_PAD src0_sel:DWORD
	v_cvt_i32_f32_e32 v6, v6
	v_cvt_i32_f32_sdwa v7, v7 dst_sel:BYTE_1 dst_unused:UNUSED_PAD src0_sel:DWORD
	;;#ASMSTART
	v_pk_mul_f32 v[4:5], v[4:5], v[26:27]
	;;#ASMEND
	;;#ASMSTART
	v_pk_mul_f32 v[2:3], v[2:3], v[26:27]
	;;#ASMEND
	v_cvt_i32_f32_e32 v4, v4
	v_cvt_i32_f32_sdwa v5, v5 dst_sel:BYTE_1 dst_unused:UNUSED_PAD src0_sel:DWORD
	v_cvt_i32_f32_e32 v9, v2
	v_cvt_i32_f32_sdwa v3, v3 dst_sel:BYTE_1 dst_unused:UNUSED_PAD src0_sel:DWORD
	v_or_b32_sdwa v0, v0, v8 dst_sel:DWORD dst_unused:UNUSED_PAD src0_sel:BYTE_0 src1_sel:DWORD
	v_or_b32_sdwa v2, v6, v7 dst_sel:WORD_1 dst_unused:UNUSED_PAD src0_sel:BYTE_0 src1_sel:DWORD
	v_or_b32_sdwa v2, v0, v2 dst_sel:DWORD dst_unused:UNUSED_PAD src0_sel:WORD_0 src1_sel:DWORD
	v_or_b32_sdwa v0, v4, v5 dst_sel:DWORD dst_unused:UNUSED_PAD src0_sel:BYTE_0 src1_sel:DWORD
	v_or_b32_sdwa v3, v9, v3 dst_sel:WORD_1 dst_unused:UNUSED_PAD src0_sel:BYTE_0 src1_sel:DWORD
	v_or_b32_sdwa v3, v0, v3 dst_sel:DWORD dst_unused:UNUSED_PAD src0_sel:WORD_0 src1_sel:DWORD
	s_movk_i32 s4, 0x400
	buffer_store_dwordx2 v[2:3], v1, s[0:3], s4 offen
	;;#ASMSTART
	s_nop 0
	;;#ASMEND
.LBB49_49:
	s_endpgm
.LBB49_50:
                                        ; implicit-def: $vgpr26_vgpr27
	s_branch .LBB49_37
	.section	.rodata,"a",@progbits
	.p2align	6, 0x0
	.amdhsa_kernel _ZN5aiter24add_rmsnorm_quant_kernelIDF16_aLi256ELi24ELb1ELb1ELb1ELi1EEEvPT0_PT_PfS4_S4_S4_diiiiiiib
		.amdhsa_group_segment_fixed_size 32
		.amdhsa_private_segment_fixed_size 0
		.amdhsa_kernarg_size 88
		.amdhsa_user_sgpr_count 6
		.amdhsa_user_sgpr_private_segment_buffer 1
		.amdhsa_user_sgpr_dispatch_ptr 0
		.amdhsa_user_sgpr_queue_ptr 0
		.amdhsa_user_sgpr_kernarg_segment_ptr 1
		.amdhsa_user_sgpr_dispatch_id 0
		.amdhsa_user_sgpr_flat_scratch_init 0
		.amdhsa_user_sgpr_kernarg_preload_length 0
		.amdhsa_user_sgpr_kernarg_preload_offset 0
		.amdhsa_user_sgpr_private_segment_size 0
		.amdhsa_uses_dynamic_stack 0
		.amdhsa_system_sgpr_private_segment_wavefront_offset 0
		.amdhsa_system_sgpr_workgroup_id_x 1
		.amdhsa_system_sgpr_workgroup_id_y 0
		.amdhsa_system_sgpr_workgroup_id_z 0
		.amdhsa_system_sgpr_workgroup_info 0
		.amdhsa_system_vgpr_workitem_id 0
		.amdhsa_next_free_vgpr 66
		.amdhsa_next_free_sgpr 40
		.amdhsa_accum_offset 68
		.amdhsa_reserve_vcc 1
		.amdhsa_reserve_flat_scratch 0
		.amdhsa_float_round_mode_32 0
		.amdhsa_float_round_mode_16_64 0
		.amdhsa_float_denorm_mode_32 3
		.amdhsa_float_denorm_mode_16_64 3
		.amdhsa_dx10_clamp 1
		.amdhsa_ieee_mode 1
		.amdhsa_fp16_overflow 0
		.amdhsa_tg_split 0
		.amdhsa_exception_fp_ieee_invalid_op 0
		.amdhsa_exception_fp_denorm_src 0
		.amdhsa_exception_fp_ieee_div_zero 0
		.amdhsa_exception_fp_ieee_overflow 0
		.amdhsa_exception_fp_ieee_underflow 0
		.amdhsa_exception_fp_ieee_inexact 0
		.amdhsa_exception_int_div_zero 0
	.end_amdhsa_kernel
	.section	.text._ZN5aiter24add_rmsnorm_quant_kernelIDF16_aLi256ELi24ELb1ELb1ELb1ELi1EEEvPT0_PT_PfS4_S4_S4_diiiiiiib,"axG",@progbits,_ZN5aiter24add_rmsnorm_quant_kernelIDF16_aLi256ELi24ELb1ELb1ELb1ELi1EEEvPT0_PT_PfS4_S4_S4_diiiiiiib,comdat
.Lfunc_end49:
	.size	_ZN5aiter24add_rmsnorm_quant_kernelIDF16_aLi256ELi24ELb1ELb1ELb1ELi1EEEvPT0_PT_PfS4_S4_S4_diiiiiiib, .Lfunc_end49-_ZN5aiter24add_rmsnorm_quant_kernelIDF16_aLi256ELi24ELb1ELb1ELb1ELi1EEEvPT0_PT_PfS4_S4_S4_diiiiiiib
                                        ; -- End function
	.section	.AMDGPU.csdata,"",@progbits
; Kernel info:
; codeLenInByte = 4648
; NumSgprs: 44
; NumVgprs: 66
; NumAgprs: 0
; TotalNumVgprs: 66
; ScratchSize: 0
; MemoryBound: 0
; FloatMode: 240
; IeeeMode: 1
; LDSByteSize: 32 bytes/workgroup (compile time only)
; SGPRBlocks: 5
; VGPRBlocks: 8
; NumSGPRsForWavesPerEU: 44
; NumVGPRsForWavesPerEU: 66
; AccumOffset: 68
; Occupancy: 7
; WaveLimiterHint : 0
; COMPUTE_PGM_RSRC2:SCRATCH_EN: 0
; COMPUTE_PGM_RSRC2:USER_SGPR: 6
; COMPUTE_PGM_RSRC2:TRAP_HANDLER: 0
; COMPUTE_PGM_RSRC2:TGID_X_EN: 1
; COMPUTE_PGM_RSRC2:TGID_Y_EN: 0
; COMPUTE_PGM_RSRC2:TGID_Z_EN: 0
; COMPUTE_PGM_RSRC2:TIDIG_COMP_CNT: 0
; COMPUTE_PGM_RSRC3_GFX90A:ACCUM_OFFSET: 16
; COMPUTE_PGM_RSRC3_GFX90A:TG_SPLIT: 0
	.section	.text._ZN5aiter24add_rmsnorm_quant_kernelItaLi256ELi24ELb1ELb1ELb1ELi1EEEvPT0_PT_PfS4_S4_S4_diiiiiiib,"axG",@progbits,_ZN5aiter24add_rmsnorm_quant_kernelItaLi256ELi24ELb1ELb1ELb1ELi1EEEvPT0_PT_PfS4_S4_S4_diiiiiiib,comdat
	.protected	_ZN5aiter24add_rmsnorm_quant_kernelItaLi256ELi24ELb1ELb1ELb1ELi1EEEvPT0_PT_PfS4_S4_S4_diiiiiiib ; -- Begin function _ZN5aiter24add_rmsnorm_quant_kernelItaLi256ELi24ELb1ELb1ELb1ELi1EEEvPT0_PT_PfS4_S4_S4_diiiiiiib
	.globl	_ZN5aiter24add_rmsnorm_quant_kernelItaLi256ELi24ELb1ELb1ELb1ELi1EEEvPT0_PT_PfS4_S4_S4_diiiiiiib
	.p2align	8
	.type	_ZN5aiter24add_rmsnorm_quant_kernelItaLi256ELi24ELb1ELb1ELb1ELi1EEEvPT0_PT_PfS4_S4_S4_diiiiiiib,@function
_ZN5aiter24add_rmsnorm_quant_kernelItaLi256ELi24ELb1ELb1ELb1ELi1EEEvPT0_PT_PfS4_S4_S4_diiiiiiib: ; @_ZN5aiter24add_rmsnorm_quant_kernelItaLi256ELi24ELb1ELb1ELb1ELi1EEEvPT0_PT_PfS4_S4_S4_diiiiiiib
; %bb.0:
	s_load_dwordx8 s[8:15], s[4:5], 0x38
	s_mov_b32 s7, 0
	s_waitcnt lgkmcnt(0)
	s_ashr_i32 s0, s8, 31
	v_mov_b32_e32 v2, s8
	v_mov_b32_e32 v3, s0
	v_cmp_ge_i64_e32 vcc, s[6:7], v[2:3]
	s_cbranch_vccnz .LBB50_49
; %bb.1:
	s_load_dwordx8 s[16:23], s[4:5], 0x0
	s_load_dwordx8 s[24:31], s[4:5], 0x20
	s_ashr_i32 s0, s10, 31
	s_mul_hi_u32 s1, s10, s6
	s_mul_i32 s0, s0, s6
	s_add_i32 s1, s1, s0
	s_mul_i32 s0, s10, s6
	s_lshl_b64 s[0:1], s[0:1], 1
	s_waitcnt lgkmcnt(0)
	s_add_u32 s0, s22, s0
	s_addc_u32 s1, s23, s1
	s_add_i32 s2, s9, 1
	s_lshr_b32 s3, s2, 31
	v_and_b32_e32 v2, 0x3c0, v0
	s_add_i32 s2, s2, s3
	v_lshlrev_b32_e32 v1, 3, v0
	v_mul_u32_u24_e32 v2, 24, v2
	s_movk_i32 s4, 0x1f8
	s_lshl_b32 s2, s2, 1
	v_and_or_b32 v1, v1, s4, v2
	s_and_b32 s2, s2, -4
	s_and_b32 s1, s1, 0xffff
	s_mov_b32 s3, 0x20000
	v_lshlrev_b32_e32 v66, 1, v1
	s_movk_i32 s5, 0x400
	s_movk_i32 s4, 0x800
	buffer_load_dwordx4 v[30:33], v66, s[0:3], s5 offen glc slc
	buffer_load_dwordx4 v[14:17], v66, s[0:3], 0 offen glc slc
	;; [unrolled: 1-line block ×3, first 2 shown]
	s_ashr_i32 s0, s11, 31
	s_mul_hi_u32 s1, s11, s6
	s_mul_i32 s0, s0, s6
	s_add_i32 s1, s1, s0
	s_mul_i32 s0, s11, s6
	s_and_b32 s37, s27, 0xffff
	s_lshl_b64 s[0:1], s[0:1], 1
	s_add_u32 s0, s24, s0
	s_addc_u32 s1, s25, s1
	s_and_b32 s1, s1, 0xffff
	buffer_load_dwordx4 v[34:37], v66, s[0:3], s5 offen glc slc
	buffer_load_dwordx4 v[26:29], v66, s[0:3], s4 offen glc slc
	;; [unrolled: 1-line block ×3, first 2 shown]
	s_mov_b32 s39, s3
	s_mov_b32 s36, s26
	;; [unrolled: 1-line block ×3, first 2 shown]
	buffer_load_dwordx4 v[10:13], v66, s[36:39], 0 offen
	buffer_load_dwordx4 v[6:9], v66, s[36:39], s5 offen
	;; [unrolled: 1-line block ×3, first 2 shown]
	s_ashr_i32 s10, s12, 31
	s_mul_hi_u32 s1, s12, s6
	s_mul_i32 s10, s10, s6
	s_mul_i32 s0, s12, s6
	s_add_i32 s1, s1, s10
	s_lshl_b64 s[0:1], s[0:1], 1
	s_add_u32 s0, s18, s0
	s_addc_u32 s1, s19, s1
	s_mov_b32 s10, 0x7060302
	s_and_b32 s1, s1, 0xffff
	s_waitcnt vmcnt(8)
	v_cvt_f32_u32_sdwa v39, v30 dst_sel:DWORD dst_unused:UNUSED_PAD src0_sel:WORD_1
	v_cvt_f32_u32_sdwa v38, v30 dst_sel:DWORD dst_unused:UNUSED_PAD src0_sel:WORD_0
	v_cvt_f32_u32_sdwa v41, v31 dst_sel:DWORD dst_unused:UNUSED_PAD src0_sel:WORD_1
	v_cvt_f32_u32_sdwa v40, v31 dst_sel:DWORD dst_unused:UNUSED_PAD src0_sel:WORD_0
	v_cvt_f32_u32_sdwa v31, v32 dst_sel:DWORD dst_unused:UNUSED_PAD src0_sel:WORD_1
	v_cvt_f32_u32_sdwa v30, v32 dst_sel:DWORD dst_unused:UNUSED_PAD src0_sel:WORD_0
	v_cvt_f32_u32_sdwa v43, v33 dst_sel:DWORD dst_unused:UNUSED_PAD src0_sel:WORD_1
	v_cvt_f32_u32_sdwa v42, v33 dst_sel:DWORD dst_unused:UNUSED_PAD src0_sel:WORD_0
	s_waitcnt vmcnt(6)
	v_cvt_f32_u32_sdwa v45, v22 dst_sel:DWORD dst_unused:UNUSED_PAD src0_sel:WORD_1
	v_cvt_f32_u32_sdwa v44, v22 dst_sel:DWORD dst_unused:UNUSED_PAD src0_sel:WORD_0
	v_cvt_f32_u32_sdwa v47, v23 dst_sel:DWORD dst_unused:UNUSED_PAD src0_sel:WORD_1
	v_cvt_f32_u32_sdwa v46, v23 dst_sel:DWORD dst_unused:UNUSED_PAD src0_sel:WORD_0
	v_cvt_f32_u32_sdwa v23, v24 dst_sel:DWORD dst_unused:UNUSED_PAD src0_sel:WORD_1
	v_cvt_f32_u32_sdwa v22, v24 dst_sel:DWORD dst_unused:UNUSED_PAD src0_sel:WORD_0
	v_cvt_f32_u32_sdwa v49, v25 dst_sel:DWORD dst_unused:UNUSED_PAD src0_sel:WORD_1
	v_cvt_f32_u32_sdwa v48, v25 dst_sel:DWORD dst_unused:UNUSED_PAD src0_sel:WORD_0
	;; [unrolled: 9-line block ×4, first 2 shown]
	s_waitcnt vmcnt(3)
	v_cvt_f32_u32_sdwa v65, v18 dst_sel:DWORD dst_unused:UNUSED_PAD src0_sel:WORD_1
	v_pk_add_f32 v[36:37], v[38:39], v[24:25]
	v_pk_add_f32 v[34:35], v[40:41], v[32:33]
	;; [unrolled: 1-line block ×5, first 2 shown]
	v_cvt_f32_u32_sdwa v64, v18 dst_sel:DWORD dst_unused:UNUSED_PAD src0_sel:WORD_0
	v_cvt_f32_u32_sdwa v39, v15 dst_sel:DWORD dst_unused:UNUSED_PAD src0_sel:WORD_1
	v_cvt_f32_u32_sdwa v38, v15 dst_sel:DWORD dst_unused:UNUSED_PAD src0_sel:WORD_0
	v_cvt_f32_u32_sdwa v15, v19 dst_sel:DWORD dst_unused:UNUSED_PAD src0_sel:WORD_1
	v_cvt_f32_u32_sdwa v14, v19 dst_sel:DWORD dst_unused:UNUSED_PAD src0_sel:WORD_0
	v_cvt_f32_u32_sdwa v19, v16 dst_sel:DWORD dst_unused:UNUSED_PAD src0_sel:WORD_1
	v_cvt_f32_u32_sdwa v18, v16 dst_sel:DWORD dst_unused:UNUSED_PAD src0_sel:WORD_0
	v_cvt_f32_u32_sdwa v41, v20 dst_sel:DWORD dst_unused:UNUSED_PAD src0_sel:WORD_1
	v_cvt_f32_u32_sdwa v40, v20 dst_sel:DWORD dst_unused:UNUSED_PAD src0_sel:WORD_0
	v_cvt_f32_u32_sdwa v43, v17 dst_sel:DWORD dst_unused:UNUSED_PAD src0_sel:WORD_1
	v_cvt_f32_u32_sdwa v42, v17 dst_sel:DWORD dst_unused:UNUSED_PAD src0_sel:WORD_0
	v_cvt_f32_u32_sdwa v45, v21 dst_sel:DWORD dst_unused:UNUSED_PAD src0_sel:WORD_1
	v_cvt_f32_u32_sdwa v44, v21 dst_sel:DWORD dst_unused:UNUSED_PAD src0_sel:WORD_0
	v_cvt_f32_u32_sdwa v57, v27 dst_sel:DWORD dst_unused:UNUSED_PAD src0_sel:WORD_1
	v_cvt_f32_u32_sdwa v56, v27 dst_sel:DWORD dst_unused:UNUSED_PAD src0_sel:WORD_0
	v_pk_add_f32 v[20:21], v[62:63], v[64:65]
	v_pk_add_f32 v[16:17], v[38:39], v[14:15]
	;; [unrolled: 1-line block ×4, first 2 shown]
	v_perm_b32 v41, v19, v18, s10
	v_perm_b32 v40, v15, v14, s10
	;; [unrolled: 1-line block ×4, first 2 shown]
	v_pk_add_f32 v[26:27], v[46:47], v[56:57]
	v_pk_add_f32 v[24:25], v[22:23], v[58:59]
	;; [unrolled: 1-line block ×3, first 2 shown]
	buffer_store_dwordx4 v[38:41], v66, s[0:3], 0 offen glc slc
	;;#ASMSTART
	s_nop 0
	;;#ASMEND
	v_pk_mul_f32 v[42:43], v[14:15], v[14:15]
	v_perm_b32 v41, v31, v30, s10
	v_perm_b32 v40, v33, v32, s10
	;; [unrolled: 1-line block ×4, first 2 shown]
	buffer_store_dwordx4 v[38:41], v66, s[0:3], s5 offen glc slc
	v_perm_b32 v41, v23, v22, s10
	v_perm_b32 v40, v25, v24, s10
	;; [unrolled: 1-line block ×4, first 2 shown]
	;;#ASMSTART
	s_nop 0
	;;#ASMEND
	buffer_store_dwordx4 v[38:41], v66, s[0:3], s4 offen glc slc
	v_pk_mul_f32 v[38:39], v[20:21], v[20:21]
	v_pk_mul_f32 v[40:41], v[16:17], v[16:17]
	v_add_f32_e32 v38, v38, v39
	v_add_f32_e32 v38, v40, v38
	;; [unrolled: 1-line block ×4, first 2 shown]
	v_pk_mul_f32 v[44:45], v[18:19], v[18:19]
	v_add_f32_e32 v40, v43, v40
	v_add_f32_e32 v40, v44, v40
	v_pk_mul_f32 v[46:47], v[36:37], v[36:37]
	v_add_f32_e32 v40, v45, v40
	v_add_f32_e32 v40, v46, v40
	;; [unrolled: 3-line block ×9, first 2 shown]
	v_add_f32_e32 v38, v39, v38
	v_and_b32_e32 v40, 63, v0
	v_cmp_eq_u32_e64 s[0:1], 63, v40
	v_mov_b32_dpp v39, v38 quad_perm:[1,0,3,2] row_mask:0xf bank_mask:0xf
	v_add_f32_e32 v38, v38, v39
	;;#ASMSTART
	s_nop 0
	;;#ASMEND
	s_nop 1
	v_mov_b32_dpp v39, v38 quad_perm:[2,3,0,1] row_mask:0xf bank_mask:0xf
	v_add_f32_e32 v38, v38, v39
	s_nop 1
	v_mov_b32_dpp v39, v38 row_half_mirror row_mask:0xf bank_mask:0xf
	v_add_f32_e32 v38, v38, v39
	s_nop 1
	v_mov_b32_dpp v39, v38 row_mirror row_mask:0xf bank_mask:0xf
	v_add_f32_e32 v38, v38, v39
	s_nop 1
	v_mov_b32_dpp v39, v38 row_bcast:15 row_mask:0xf bank_mask:0xf
	v_add_f32_e32 v38, v38, v39
	s_nop 1
	v_mov_b32_dpp v39, v38 row_bcast:31 row_mask:0xf bank_mask:0xf
	s_and_saveexec_b64 s[2:3], s[0:1]
	s_cbranch_execz .LBB50_3
; %bb.2:
	v_lshrrev_b32_e32 v40, 4, v0
	v_and_b32_e32 v40, 60, v40
	v_add_f32_e32 v38, v38, v39
	ds_write_b32 v40, v38 offset:16
.LBB50_3:
	s_or_b64 exec, exec, s[2:3]
	v_and_b32_e32 v38, 3, v0
	v_lshlrev_b32_e32 v38, 2, v38
	s_waitcnt lgkmcnt(0)
	s_barrier
	ds_read_b32 v39, v38 offset:16
	v_cvt_f32_i32_e32 v40, s9
	s_waitcnt vmcnt(5)
	v_cvt_f32_u32_sdwa v47, v13 dst_sel:DWORD dst_unused:UNUSED_PAD src0_sel:WORD_1
	v_cvt_f32_u32_sdwa v46, v13 dst_sel:DWORD dst_unused:UNUSED_PAD src0_sel:WORD_0
	s_waitcnt vmcnt(4)
	v_cvt_f32_u32_sdwa v13, v7 dst_sel:DWORD dst_unused:UNUSED_PAD src0_sel:WORD_1
	s_waitcnt lgkmcnt(0)
	v_mov_b32_dpp v41, v39 quad_perm:[1,0,3,2] row_mask:0xf bank_mask:0xf
	v_add_f32_e32 v39, v39, v41
	s_cmp_lg_u32 s14, 0
	s_nop 0
	v_mov_b32_dpp v41, v39 quad_perm:[2,3,0,1] row_mask:0xf bank_mask:0xf
	v_add_f32_e32 v39, v39, v41
	v_div_scale_f32 v41, s[2:3], v40, v40, v39
	v_rcp_f32_e32 v42, v41
	v_div_scale_f32 v43, vcc, v39, v40, v39
	s_mov_b32 s2, 0x800000
	v_fma_f32 v44, -v41, v42, 1.0
	v_fmac_f32_e32 v42, v44, v42
	v_mul_f32_e32 v44, v43, v42
	v_fma_f32 v45, -v41, v44, v43
	v_fmac_f32_e32 v44, v45, v42
	v_fma_f32 v41, -v41, v44, v43
	v_div_fmas_f32 v41, v41, v42, v44
	v_div_fixup_f32 v39, v41, v40, v39
	v_cvt_f64_f32_e32 v[40:41], v39
	v_add_f64 v[40:41], v[40:41], s[28:29]
	v_cvt_f32_f64_e32 v39, v[40:41]
	v_mul_f32_e32 v40, 0x4b800000, v39
	v_cmp_gt_f32_e32 vcc, s2, v39
	v_cndmask_b32_e32 v39, v39, v40, vcc
	v_rsq_f32_e32 v39, v39
	v_mul_f32_e32 v40, 0x45800000, v39
	v_cndmask_b32_e32 v40, v39, v40, vcc
	v_mov_b32_e32 v41, v40
	;;#ASMSTART
	v_pk_mul_f32 v[20:21], v[20:21], v[40:41]
	;;#ASMEND
	;;#ASMSTART
	v_pk_mul_f32 v[16:17], v[16:17], v[40:41]
	;;#ASMEND
	;; [unrolled: 3-line block ×12, first 2 shown]
	v_cvt_f32_u32_sdwa v19, v10 dst_sel:DWORD dst_unused:UNUSED_PAD src0_sel:WORD_1
	v_cvt_f32_u32_sdwa v18, v10 dst_sel:DWORD dst_unused:UNUSED_PAD src0_sel:WORD_0
	v_cvt_f32_u32_sdwa v23, v11 dst_sel:DWORD dst_unused:UNUSED_PAD src0_sel:WORD_1
	v_cvt_f32_u32_sdwa v22, v11 dst_sel:DWORD dst_unused:UNUSED_PAD src0_sel:WORD_0
	v_cvt_f32_u32_sdwa v11, v12 dst_sel:DWORD dst_unused:UNUSED_PAD src0_sel:WORD_1
	v_cvt_f32_u32_sdwa v10, v12 dst_sel:DWORD dst_unused:UNUSED_PAD src0_sel:WORD_0
	;;#ASMSTART
	v_pk_mul_f32 v[24:25], v[20:21], v[18:19]
	;;#ASMEND
	;;#ASMSTART
	v_pk_mul_f32 v[22:23], v[16:17], v[22:23]
	;;#ASMEND
	;; [unrolled: 3-line block ×3, first 2 shown]
	v_cvt_f32_u32_sdwa v11, v6 dst_sel:DWORD dst_unused:UNUSED_PAD src0_sel:WORD_1
	v_cvt_f32_u32_sdwa v10, v6 dst_sel:DWORD dst_unused:UNUSED_PAD src0_sel:WORD_0
	v_cvt_f32_u32_sdwa v12, v7 dst_sel:DWORD dst_unused:UNUSED_PAD src0_sel:WORD_0
	v_cvt_f32_u32_sdwa v7, v8 dst_sel:DWORD dst_unused:UNUSED_PAD src0_sel:WORD_1
	v_cvt_f32_u32_sdwa v6, v8 dst_sel:DWORD dst_unused:UNUSED_PAD src0_sel:WORD_0
	;;#ASMSTART
	v_pk_mul_f32 v[16:17], v[42:43], v[46:47]
	;;#ASMEND
	;;#ASMSTART
	v_pk_mul_f32 v[20:21], v[36:37], v[10:11]
	;;#ASMEND
	;; [unrolled: 3-line block ×4, first 2 shown]
	s_waitcnt vmcnt(3)
	v_cvt_f32_u32_sdwa v7, v2 dst_sel:DWORD dst_unused:UNUSED_PAD src0_sel:WORD_1
	v_cvt_f32_u32_sdwa v6, v2 dst_sel:DWORD dst_unused:UNUSED_PAD src0_sel:WORD_0
	v_cvt_f32_u32_sdwa v43, v9 dst_sel:DWORD dst_unused:UNUSED_PAD src0_sel:WORD_1
	v_cvt_f32_u32_sdwa v42, v9 dst_sel:DWORD dst_unused:UNUSED_PAD src0_sel:WORD_0
	;;#ASMSTART
	v_pk_mul_f32 v[8:9], v[30:31], v[42:43]
	;;#ASMEND
	v_cvt_f32_u32_sdwa v31, v3 dst_sel:DWORD dst_unused:UNUSED_PAD src0_sel:WORD_1
	v_cvt_f32_u32_sdwa v30, v3 dst_sel:DWORD dst_unused:UNUSED_PAD src0_sel:WORD_0
	v_cvt_f32_u32_sdwa v3, v4 dst_sel:DWORD dst_unused:UNUSED_PAD src0_sel:WORD_1
	v_cvt_f32_u32_sdwa v2, v4 dst_sel:DWORD dst_unused:UNUSED_PAD src0_sel:WORD_0
	;;#ASMSTART
	v_pk_mul_f32 v[10:11], v[28:29], v[6:7]
	;;#ASMEND
	;;#ASMSTART
	v_pk_mul_f32 v[6:7], v[26:27], v[30:31]
	;;#ASMEND
	v_and_b32_e32 v26, 0x7fffffff, v24
	v_mov_b32_e32 v28, 0x2edbe6ff
	v_cvt_f32_u32_sdwa v33, v5 dst_sel:DWORD dst_unused:UNUSED_PAD src0_sel:WORD_1
	v_cvt_f32_u32_sdwa v32, v5 dst_sel:DWORD dst_unused:UNUSED_PAD src0_sel:WORD_0
	;;#ASMSTART
	v_pk_mul_f32 v[4:5], v[44:45], v[2:3]
	;;#ASMEND
	;;#ASMSTART
	v_pk_mul_f32 v[2:3], v[40:41], v[32:33]
	;;#ASMEND
	v_and_b32_e32 v27, 0x7fffffff, v25
	;;#ASMSTART
	v_max3_f32 v26, v28, v26, v27

	;;#ASMEND
	v_and_b32_e32 v28, 0x7fffffff, v23
	v_and_b32_e32 v27, 0x7fffffff, v22
	;;#ASMSTART
	v_max3_f32 v26, v26, v27, v28

	;;#ASMEND
	v_and_b32_e32 v28, 0x7fffffff, v19
	;; [unrolled: 6-line block ×11, first 2 shown]
	v_and_b32_e32 v27, 0x7fffffff, v2
	;;#ASMSTART
	v_max3_f32 v28, v26, v27, v28

	;;#ASMEND
	s_cbranch_scc0 .LBB50_10
; %bb.4:
	s_mul_hi_i32 s2, s14, 0x2aaaaaab
	s_lshr_b32 s3, s2, 31
	s_ashr_i32 s4, s2, 2
	s_add_i32 s4, s4, s3
	s_cmp_lt_i32 s4, 16
	s_cbranch_scc1 .LBB50_11
; %bb.5:
	s_cmp_lt_i32 s4, 32
	s_cbranch_scc1 .LBB50_12
; %bb.6:
	;; [unrolled: 3-line block ×3, first 2 shown]
	s_cmp_eq_u32 s4, 64
	v_mov_b32_e32 v26, v28
	s_cbranch_scc0 .LBB50_9
; %bb.8:
	s_nop 0
	v_mov_b32_dpp v26, v28 quad_perm:[1,0,3,2] row_mask:0xf bank_mask:0xf
	v_cmp_gt_f32_e32 vcc, v28, v26
	v_cndmask_b32_e32 v26, v26, v28, vcc
	v_bfrev_b32_e32 v29, 0.5
	s_nop 0
	v_mov_b32_dpp v27, v26 quad_perm:[2,3,0,1] row_mask:0xf bank_mask:0xf
	v_cmp_gt_f32_e32 vcc, v26, v27
	v_cndmask_b32_e32 v26, v27, v26, vcc
	s_nop 1
	v_mov_b32_dpp v27, v26 row_ror:4 row_mask:0xf bank_mask:0xf
	v_cmp_gt_f32_e32 vcc, v26, v27
	v_cndmask_b32_e32 v26, v27, v26, vcc
	s_nop 1
	v_mov_b32_dpp v27, v26 row_ror:8 row_mask:0xf bank_mask:0xf
	v_cmp_gt_f32_e32 vcc, v26, v27
	v_cndmask_b32_e32 v26, v27, v26, vcc
	s_nop 1
	v_mov_b32_dpp v27, v26 row_bcast:15 row_mask:0xf bank_mask:0xf
	v_cmp_gt_f32_e32 vcc, v26, v27
	v_cndmask_b32_e32 v26, v27, v26, vcc
	s_nop 1
	v_mov_b32_dpp v27, v26 row_bcast:31 row_mask:0xf bank_mask:0xf
	v_cmp_gt_f32_e32 vcc, v26, v27
	v_cndmask_b32_e32 v26, v27, v26, vcc
	v_mbcnt_lo_u32_b32 v27, -1, 0
	v_mbcnt_hi_u32_b32 v27, -1, v27
	v_lshl_or_b32 v27, v27, 2, v29
	ds_bpermute_b32 v26, v27, v26
.LBB50_9:
	s_mov_b64 s[2:3], 0
	s_branch .LBB50_14
.LBB50_10:
	s_mov_b64 s[2:3], 0
                                        ; implicit-def: $vgpr29
                                        ; implicit-def: $vgpr26_vgpr27
	s_cbranch_execnz .LBB50_43
	s_branch .LBB50_46
.LBB50_11:
                                        ; implicit-def: $vgpr26
	s_branch .LBB50_21
.LBB50_12:
                                        ; implicit-def: $vgpr26
	s_branch .LBB50_18
.LBB50_13:
	s_mov_b64 s[2:3], -1
                                        ; implicit-def: $vgpr26
.LBB50_14:
	s_andn2_b64 vcc, exec, s[2:3]
	s_cbranch_vccnz .LBB50_17
; %bb.15:
	s_cmp_eq_u32 s4, 32
	s_waitcnt lgkmcnt(0)
	v_mov_b32_e32 v26, v28
	s_cbranch_scc0 .LBB50_17
; %bb.16:
	s_nop 0
	v_mov_b32_dpp v26, v28 quad_perm:[1,0,3,2] row_mask:0xf bank_mask:0xf
	v_cmp_gt_f32_e32 vcc, v28, v26
	v_cndmask_b32_e32 v26, v26, v28, vcc
	v_mov_b32_e32 v29, 0x7c
	s_nop 0
	v_mov_b32_dpp v27, v26 quad_perm:[2,3,0,1] row_mask:0xf bank_mask:0xf
	v_cmp_gt_f32_e32 vcc, v26, v27
	v_cndmask_b32_e32 v26, v27, v26, vcc
	s_nop 1
	v_mov_b32_dpp v27, v26 row_half_mirror row_mask:0xf bank_mask:0xf
	v_cmp_gt_f32_e32 vcc, v26, v27
	v_cndmask_b32_e32 v26, v27, v26, vcc
	s_nop 1
	v_mov_b32_dpp v27, v26 row_mirror row_mask:0xf bank_mask:0xf
	v_cmp_gt_f32_e32 vcc, v26, v27
	v_cndmask_b32_e32 v26, v27, v26, vcc
	s_nop 1
	v_mov_b32_dpp v27, v26 row_bcast:15 row_mask:0xa bank_mask:0xf
	v_cmp_gt_f32_e32 vcc, v26, v27
	v_cndmask_b32_e32 v26, v27, v26, vcc
	v_mbcnt_lo_u32_b32 v27, -1, 0
	v_mbcnt_hi_u32_b32 v27, -1, v27
	v_lshl_or_b32 v27, v27, 2, v29
	ds_bpermute_b32 v26, v27, v26
.LBB50_17:
	s_cbranch_execnz .LBB50_20
.LBB50_18:
	s_cmp_eq_u32 s4, 16
	s_waitcnt lgkmcnt(0)
	v_mov_b32_e32 v26, v28
	s_cbranch_scc0 .LBB50_20
; %bb.19:
	s_nop 0
	v_mov_b32_dpp v26, v28 quad_perm:[1,0,3,2] row_mask:0xf bank_mask:0xf
	v_cmp_gt_f32_e32 vcc, v28, v26
	v_cndmask_b32_e32 v26, v26, v28, vcc
	s_nop 1
	v_mov_b32_dpp v27, v26 quad_perm:[2,3,0,1] row_mask:0xf bank_mask:0xf
	v_cmp_gt_f32_e32 vcc, v26, v27
	v_cndmask_b32_e32 v26, v27, v26, vcc
	s_nop 1
	v_mov_b32_dpp v27, v26 row_half_mirror row_mask:0xf bank_mask:0xf
	v_cmp_gt_f32_e32 vcc, v26, v27
	v_cndmask_b32_e32 v26, v27, v26, vcc
	s_nop 1
	v_mov_b32_dpp v27, v26 row_mirror row_mask:0xf bank_mask:0xf
	v_cmp_gt_f32_e32 vcc, v26, v27
	v_cndmask_b32_e32 v26, v27, v26, vcc
.LBB50_20:
	s_cbranch_execnz .LBB50_33
.LBB50_21:
	s_cmp_lt_i32 s4, 4
	s_cbranch_scc1 .LBB50_25
; %bb.22:
	s_cmp_lt_i32 s4, 8
	s_cbranch_scc1 .LBB50_26
; %bb.23:
	s_cmp_eq_u32 s4, 8
	s_waitcnt lgkmcnt(0)
	v_mov_b32_e32 v26, v28
	s_cbranch_scc0 .LBB50_27
; %bb.24:
	s_nop 0
	v_mov_b32_dpp v26, v28 quad_perm:[1,0,3,2] row_mask:0xf bank_mask:0xf
	v_cmp_gt_f32_e32 vcc, v28, v26
	v_cndmask_b32_e32 v26, v26, v28, vcc
	s_nop 1
	v_mov_b32_dpp v27, v26 quad_perm:[2,3,0,1] row_mask:0xf bank_mask:0xf
	v_cmp_gt_f32_e32 vcc, v26, v27
	v_cndmask_b32_e32 v26, v27, v26, vcc
	s_nop 1
	v_mov_b32_dpp v27, v26 row_half_mirror row_mask:0xf bank_mask:0xf
	v_cmp_gt_f32_e32 vcc, v26, v27
	v_cndmask_b32_e32 v26, v27, v26, vcc
	s_cbranch_execz .LBB50_28
	s_branch .LBB50_30
.LBB50_25:
                                        ; implicit-def: $vgpr26
	s_branch .LBB50_31
.LBB50_26:
                                        ; implicit-def: $vgpr26
	s_branch .LBB50_28
.LBB50_27:
	s_cbranch_execnz .LBB50_30
.LBB50_28:
	s_cmp_eq_u32 s4, 4
	s_waitcnt lgkmcnt(0)
	v_mov_b32_e32 v26, v28
	s_cbranch_scc0 .LBB50_30
; %bb.29:
	s_nop 0
	v_mov_b32_dpp v26, v28 quad_perm:[1,0,3,2] row_mask:0xf bank_mask:0xf
	v_cmp_gt_f32_e32 vcc, v28, v26
	v_cndmask_b32_e32 v26, v26, v28, vcc
	s_nop 1
	v_mov_b32_dpp v27, v26 quad_perm:[2,3,0,1] row_mask:0xf bank_mask:0xf
	v_cmp_gt_f32_e32 vcc, v26, v27
	v_cndmask_b32_e32 v26, v27, v26, vcc
.LBB50_30:
	s_cbranch_execnz .LBB50_33
.LBB50_31:
	s_cmp_lg_u32 s4, 2
	s_waitcnt lgkmcnt(0)
	v_mov_b32_e32 v26, v28
	s_cbranch_scc1 .LBB50_33
; %bb.32:
	s_nop 0
	v_mov_b32_dpp v26, v28 quad_perm:[1,0,3,2] row_mask:0xf bank_mask:0xf
	v_cmp_gt_f32_e32 vcc, v28, v26
	v_cndmask_b32_e32 v26, v26, v28, vcc
.LBB50_33:
	v_cvt_f32_u32_e32 v27, s4
	s_waitcnt lgkmcnt(0)
	v_mul_f32_e32 v29, 0x3c010204, v26
	s_sub_i32 s2, 0, s4
	v_rcp_iflag_f32_e32 v27, v27
	v_mul_f32_e32 v26, 0x4f7ffffe, v27
	v_cvt_u32_f32_e32 v26, v26
	v_mul_u32_u24_e32 v27, 24, v0
	v_cmp_gt_u32_e32 vcc, s9, v27
	v_mul_lo_u32 v27, s2, v26
	v_mul_hi_u32 v27, v26, v27
	v_add_u32_e32 v26, v26, v27
	v_mul_hi_u32 v26, v0, v26
	v_mul_lo_u32 v27, v26, s4
	v_sub_u32_e32 v27, v0, v27
	v_add_u32_e32 v30, 1, v26
	v_cmp_le_u32_e64 s[2:3], s4, v27
	v_cndmask_b32_e64 v26, v26, v30, s[2:3]
	v_subrev_u32_e32 v30, s4, v27
	v_cndmask_b32_e64 v27, v27, v30, s[2:3]
	v_add_u32_e32 v30, 1, v26
	v_cmp_le_u32_e64 s[2:3], s4, v27
	v_cndmask_b32_e64 v30, v26, v30, s[2:3]
	v_mul_lo_u32 v26, v30, s4
	v_sub_u32_e32 v26, v0, v26
	v_cmp_eq_u32_e64 s[2:3], 0, v26
	s_and_b64 s[10:11], s[2:3], vcc
	s_mov_b64 s[4:5], 0
	s_mov_b64 s[2:3], 0
                                        ; implicit-def: $vgpr26_vgpr27
	s_and_saveexec_b64 s[18:19], s[10:11]
	s_xor_b64 s[10:11], exec, s[18:19]
	s_cbranch_execz .LBB50_42
; %bb.34:
	s_bitcmp0_b32 s15, 0
	s_cbranch_scc0 .LBB50_39
; %bb.35:
	s_ashr_i32 s2, s9, 31
	s_mul_hi_u32 s3, s9, s6
	s_mul_i32 s2, s2, s6
	s_add_i32 s19, s3, s2
	s_mul_i32 s18, s9, s6
	s_ashr_i32 s15, s14, 31
	s_or_b64 s[2:3], s[18:19], s[14:15]
	s_mov_b32 s2, 0
	s_cmp_lg_u64 s[2:3], 0
	s_cbranch_scc0 .LBB50_50
; %bb.36:
	s_add_u32 s2, s14, s15
	s_mov_b32 s24, s15
	s_mov_b32 s25, s15
	s_addc_u32 s3, s15, s15
	s_xor_b64 s[26:27], s[2:3], s[24:25]
	v_cvt_f32_u32_e32 v26, s26
	v_cvt_f32_u32_e32 v27, s27
	s_sub_u32 s2, 0, s26
	s_subb_u32 s3, 0, s27
	v_madmk_f32 v26, v27, 0x4f800000, v26
	v_rcp_f32_e32 v26, v26
	v_mul_f32_e32 v26, 0x5f7ffffc, v26
	v_mul_f32_e32 v27, 0x2f800000, v26
	v_trunc_f32_e32 v27, v27
	v_madmk_f32 v26, v27, 0xcf800000, v26
	v_cvt_u32_f32_e32 v27, v27
	v_cvt_u32_f32_e32 v26, v26
	v_readfirstlane_b32 s12, v27
	v_readfirstlane_b32 s15, v26
	s_mul_i32 s28, s2, s12
	s_mul_hi_u32 s30, s2, s15
	s_mul_i32 s29, s3, s15
	s_add_i32 s28, s30, s28
	s_add_i32 s28, s28, s29
	s_mul_i32 s31, s2, s15
	s_mul_hi_u32 s29, s15, s28
	s_mul_i32 s30, s15, s28
	s_mul_hi_u32 s15, s15, s31
	s_add_u32 s15, s15, s30
	s_addc_u32 s29, 0, s29
	s_mul_hi_u32 s33, s12, s31
	s_mul_i32 s31, s12, s31
	s_add_u32 s15, s15, s31
	s_mul_hi_u32 s30, s12, s28
	s_addc_u32 s15, s29, s33
	s_addc_u32 s29, s30, 0
	s_mul_i32 s28, s12, s28
	s_add_u32 s15, s15, s28
	s_addc_u32 s28, 0, s29
	v_add_co_u32_e32 v26, vcc, s15, v26
	s_cmp_lg_u64 vcc, 0
	s_addc_u32 s12, s12, s28
	v_readfirstlane_b32 s28, v26
	s_mul_i32 s15, s2, s12
	s_mul_hi_u32 s29, s2, s28
	s_add_i32 s15, s29, s15
	s_mul_i32 s3, s3, s28
	s_add_i32 s15, s15, s3
	s_mul_i32 s2, s2, s28
	s_mul_hi_u32 s29, s12, s2
	s_mul_i32 s30, s12, s2
	s_mul_i32 s33, s28, s15
	s_mul_hi_u32 s2, s28, s2
	s_mul_hi_u32 s31, s28, s15
	s_add_u32 s2, s2, s33
	s_addc_u32 s28, 0, s31
	s_add_u32 s2, s2, s30
	s_mul_hi_u32 s3, s12, s15
	s_addc_u32 s2, s28, s29
	s_addc_u32 s3, s3, 0
	s_mul_i32 s15, s12, s15
	s_add_u32 s2, s2, s15
	s_addc_u32 s3, 0, s3
	v_add_co_u32_e32 v26, vcc, s2, v26
	s_cmp_lg_u64 vcc, 0
	s_addc_u32 s12, s12, s3
	s_ashr_i32 s28, s19, 31
	s_add_u32 s2, s18, s28
	s_mov_b32 s29, s28
	s_addc_u32 s3, s19, s28
	s_xor_b64 s[30:31], s[2:3], s[28:29]
	v_readfirstlane_b32 s15, v26
	s_mul_i32 s3, s30, s12
	s_mul_hi_u32 s19, s30, s15
	s_mul_hi_u32 s2, s30, s12
	s_add_u32 s3, s19, s3
	s_addc_u32 s2, 0, s2
	s_mul_hi_u32 s33, s31, s15
	s_mul_i32 s15, s31, s15
	s_add_u32 s3, s3, s15
	s_mul_hi_u32 s19, s31, s12
	s_addc_u32 s2, s2, s33
	s_addc_u32 s3, s19, 0
	s_mul_i32 s12, s31, s12
	s_add_u32 s12, s2, s12
	s_addc_u32 s15, 0, s3
	s_mul_i32 s2, s26, s15
	s_mul_hi_u32 s3, s26, s12
	s_add_i32 s2, s3, s2
	s_mul_i32 s3, s27, s12
	s_add_i32 s19, s2, s3
	s_mul_i32 s3, s26, s12
	v_mov_b32_e32 v26, s3
	s_sub_i32 s2, s31, s19
	v_sub_co_u32_e32 v26, vcc, s30, v26
	s_cmp_lg_u64 vcc, 0
	s_subb_u32 s30, s2, s27
	v_subrev_co_u32_e64 v27, s[2:3], s26, v26
	s_cmp_lg_u64 s[2:3], 0
	s_subb_u32 s30, s30, 0
	s_cmp_ge_u32 s30, s27
	s_cselect_b32 s33, -1, 0
	v_cmp_le_u32_e64 s[2:3], s26, v27
	s_cmp_eq_u32 s30, s27
	v_cndmask_b32_e64 v27, 0, -1, s[2:3]
	v_mov_b32_e32 v31, s33
	s_cselect_b64 s[2:3], -1, 0
	v_cndmask_b32_e64 v27, v31, v27, s[2:3]
	s_add_u32 s2, s12, 1
	s_addc_u32 s30, s15, 0
	s_add_u32 s3, s12, 2
	s_addc_u32 s33, s15, 0
	v_mov_b32_e32 v31, s2
	v_mov_b32_e32 v32, s3
	v_cmp_ne_u32_e64 s[2:3], 0, v27
	v_cndmask_b32_e64 v27, v31, v32, s[2:3]
	v_mov_b32_e32 v31, s30
	v_mov_b32_e32 v32, s33
	s_cmp_lg_u64 vcc, 0
	v_cndmask_b32_e64 v31, v31, v32, s[2:3]
	s_subb_u32 s2, s31, s19
	s_cmp_ge_u32 s2, s27
	s_cselect_b32 s3, -1, 0
	v_cmp_le_u32_e32 vcc, s26, v26
	s_cmp_eq_u32 s2, s27
	v_cndmask_b32_e64 v26, 0, -1, vcc
	v_mov_b32_e32 v32, s3
	s_cselect_b64 vcc, -1, 0
	v_cndmask_b32_e32 v26, v32, v26, vcc
	v_mov_b32_e32 v32, s15
	v_cmp_ne_u32_e32 vcc, 0, v26
	v_cndmask_b32_e32 v26, v32, v31, vcc
	v_mov_b32_e32 v31, s12
	v_cndmask_b32_e32 v27, v31, v27, vcc
	s_xor_b64 s[2:3], s[28:29], s[24:25]
	v_xor_b32_e32 v27, s2, v27
	v_xor_b32_e32 v31, s3, v26
	v_mov_b32_e32 v32, s3
	v_subrev_co_u32_e32 v26, vcc, s2, v27
	v_subb_co_u32_e32 v27, vcc, v31, v32, vcc
	s_cbranch_execnz .LBB50_38
.LBB50_37:
	v_cvt_f32_u32_e32 v26, s14
	s_sub_i32 s2, 0, s14
	s_mov_b32 s3, 0
	v_rcp_iflag_f32_e32 v26, v26
	v_mul_f32_e32 v26, 0x4f7ffffe, v26
	v_cvt_u32_f32_e32 v26, v26
	v_readfirstlane_b32 s12, v26
	s_mul_i32 s2, s2, s12
	s_mul_hi_u32 s2, s12, s2
	s_add_i32 s12, s12, s2
	s_mul_hi_u32 s2, s18, s12
	s_mul_i32 s15, s2, s14
	s_sub_i32 s15, s18, s15
	s_add_i32 s12, s2, 1
	s_sub_i32 s18, s15, s14
	s_cmp_ge_u32 s15, s14
	s_cselect_b32 s2, s12, s2
	s_cselect_b32 s15, s18, s15
	s_add_i32 s12, s2, 1
	s_cmp_ge_u32 s15, s14
	s_cselect_b32 s2, s12, s2
	v_pk_mov_b32 v[26:27], s[2:3], s[2:3] op_sel:[0,1]
.LBB50_38:
	v_add_co_u32_e32 v26, vcc, v26, v30
	v_addc_co_u32_e32 v27, vcc, 0, v27, vcc
	s_branch .LBB50_41
.LBB50_39:
                                        ; implicit-def: $vgpr26_vgpr27
	s_cbranch_execz .LBB50_41
; %bb.40:
	v_mul_lo_u32 v26, v30, s8
	v_ashrrev_i32_e32 v27, 31, v26
	v_mov_b32_e32 v30, s7
	v_add_co_u32_e32 v26, vcc, s6, v26
	v_addc_co_u32_e32 v27, vcc, v27, v30, vcc
.LBB50_41:
	s_mov_b64 s[2:3], exec
.LBB50_42:
	s_or_b64 exec, exec, s[10:11]
	s_and_b64 vcc, exec, s[4:5]
	s_cbranch_vccz .LBB50_46
.LBB50_43:
	v_mov_b32_dpp v26, v28 quad_perm:[1,0,3,2] row_mask:0xf bank_mask:0xf
	v_cmp_gt_f32_e32 vcc, v28, v26
	v_cndmask_b32_e32 v26, v26, v28, vcc
	s_nop 1
	v_mov_b32_dpp v27, v26 quad_perm:[2,3,0,1] row_mask:0xf bank_mask:0xf
	v_cmp_gt_f32_e32 vcc, v26, v27
	v_cndmask_b32_e32 v26, v27, v26, vcc
	s_nop 1
	v_mov_b32_dpp v27, v26 row_half_mirror row_mask:0xf bank_mask:0xf
	v_cmp_gt_f32_e32 vcc, v26, v27
	v_cndmask_b32_e32 v26, v27, v26, vcc
	s_nop 1
	v_mov_b32_dpp v27, v26 row_mirror row_mask:0xf bank_mask:0xf
	v_cmp_gt_f32_e32 vcc, v26, v27
	v_cndmask_b32_e32 v26, v27, v26, vcc
	s_nop 1
	v_mov_b32_dpp v27, v26 row_bcast:15 row_mask:0xf bank_mask:0xf
	v_cmp_gt_f32_e32 vcc, v26, v27
	v_cndmask_b32_e32 v26, v27, v26, vcc
	s_nop 1
	v_mov_b32_dpp v27, v26 row_bcast:31 row_mask:0xf bank_mask:0xf
	s_and_saveexec_b64 s[2:3], s[0:1]
	s_cbranch_execz .LBB50_45
; %bb.44:
	v_lshrrev_b32_e32 v28, 4, v0
	v_cmp_gt_f32_e32 vcc, v26, v27
	v_and_b32_e32 v28, 60, v28
	v_cndmask_b32_e32 v26, v27, v26, vcc
	ds_write_b32 v28, v26
.LBB50_45:
	s_or_b64 exec, exec, s[2:3]
	s_waitcnt lgkmcnt(0)
	s_barrier
	ds_read_b32 v26, v38
	v_cmp_eq_u32_e64 s[2:3], 0, v0
	s_waitcnt lgkmcnt(0)
	v_mov_b32_dpp v27, v26 quad_perm:[1,0,3,2] row_mask:0xf bank_mask:0xf
	v_cmp_gt_f32_e32 vcc, v26, v27
	v_cndmask_b32_e32 v26, v27, v26, vcc
	s_nop 1
	v_mov_b32_dpp v27, v26 quad_perm:[2,3,0,1] row_mask:0xf bank_mask:0xf
	v_cmp_gt_f32_e32 vcc, v26, v27
	v_cndmask_b32_e32 v26, v27, v26, vcc
	v_mul_f32_e32 v29, 0x3c010204, v26
	v_pk_mov_b32 v[26:27], s[6:7], s[6:7] op_sel:[0,1]
.LBB50_46:
	s_and_saveexec_b64 s[0:1], s[2:3]
	s_cbranch_execz .LBB50_48
; %bb.47:
	v_lshlrev_b64 v[26:27], 2, v[26:27]
	v_mov_b32_e32 v0, s21
	v_add_co_u32_e32 v26, vcc, s20, v26
	v_addc_co_u32_e32 v27, vcc, v0, v27, vcc
	global_store_dword v[26:27], v29, off
.LBB50_48:
	s_or_b64 exec, exec, s[0:1]
	s_add_i32 s0, s9, 3
	s_ashr_i32 s1, s0, 31
	s_lshr_b32 s1, s1, 30
	;;#ASMSTART
	v_rcp_f32 v26, v29
	;;#ASMEND
	v_mov_b32_e32 v27, v26
	;;#ASMSTART
	v_pk_mul_f32 v[24:25], v[24:25], v[26:27]
	;;#ASMEND
	;;#ASMSTART
	v_pk_mul_f32 v[22:23], v[22:23], v[26:27]
	;;#ASMEND
	s_add_i32 s0, s0, s1
	v_cvt_i32_f32_e32 v0, v24
	v_cvt_i32_f32_sdwa v24, v25 dst_sel:BYTE_1 dst_unused:UNUSED_PAD src0_sel:DWORD
	v_cvt_i32_f32_e32 v22, v22
	v_cvt_i32_f32_sdwa v23, v23 dst_sel:BYTE_1 dst_unused:UNUSED_PAD src0_sel:DWORD
	;;#ASMSTART
	v_pk_mul_f32 v[18:19], v[18:19], v[26:27]
	;;#ASMEND
	;;#ASMSTART
	v_pk_mul_f32 v[16:17], v[16:17], v[26:27]
	;;#ASMEND
	s_and_b32 s2, s0, -4
	s_ashr_i32 s0, s13, 31
	v_cvt_i32_f32_e32 v18, v18
	v_cvt_i32_f32_sdwa v19, v19 dst_sel:BYTE_1 dst_unused:UNUSED_PAD src0_sel:DWORD
	v_cvt_i32_f32_e32 v25, v16
	v_cvt_i32_f32_sdwa v17, v17 dst_sel:BYTE_1 dst_unused:UNUSED_PAD src0_sel:DWORD
	s_mul_hi_u32 s1, s13, s6
	s_mul_i32 s0, s0, s6
	s_add_i32 s1, s1, s0
	s_mul_i32 s0, s13, s6
	s_add_u32 s0, s16, s0
	v_or_b32_sdwa v0, v0, v24 dst_sel:DWORD dst_unused:UNUSED_PAD src0_sel:BYTE_0 src1_sel:DWORD
	v_or_b32_sdwa v16, v22, v23 dst_sel:WORD_1 dst_unused:UNUSED_PAD src0_sel:BYTE_0 src1_sel:DWORD
	s_addc_u32 s1, s17, s1
	v_or_b32_sdwa v16, v0, v16 dst_sel:DWORD dst_unused:UNUSED_PAD src0_sel:WORD_0 src1_sel:DWORD
	v_or_b32_sdwa v0, v18, v19 dst_sel:DWORD dst_unused:UNUSED_PAD src0_sel:BYTE_0 src1_sel:DWORD
	v_or_b32_sdwa v17, v25, v17 dst_sel:WORD_1 dst_unused:UNUSED_PAD src0_sel:BYTE_0 src1_sel:DWORD
	s_and_b32 s1, s1, 0xffff
	s_mov_b32 s3, 0x20000
	v_or_b32_sdwa v17, v0, v17 dst_sel:DWORD dst_unused:UNUSED_PAD src0_sel:WORD_0 src1_sel:DWORD
	buffer_store_dwordx2 v[16:17], v1, s[0:3], 0 offen
	;;#ASMSTART
	s_nop 0
	;;#ASMEND
	;;#ASMSTART
	v_pk_mul_f32 v[16:17], v[20:21], v[26:27]
	;;#ASMEND
	;;#ASMSTART
	v_pk_mul_f32 v[14:15], v[14:15], v[26:27]
	;;#ASMEND
	v_cvt_i32_f32_e32 v0, v16
	v_cvt_i32_f32_sdwa v16, v17 dst_sel:BYTE_1 dst_unused:UNUSED_PAD src0_sel:DWORD
	v_cvt_i32_f32_e32 v14, v14
	v_cvt_i32_f32_sdwa v15, v15 dst_sel:BYTE_1 dst_unused:UNUSED_PAD src0_sel:DWORD
	;;#ASMSTART
	v_pk_mul_f32 v[12:13], v[12:13], v[26:27]
	;;#ASMEND
	;;#ASMSTART
	v_pk_mul_f32 v[8:9], v[8:9], v[26:27]
	;;#ASMEND
	v_cvt_i32_f32_e32 v12, v12
	v_cvt_i32_f32_sdwa v13, v13 dst_sel:BYTE_1 dst_unused:UNUSED_PAD src0_sel:DWORD
	v_cvt_i32_f32_e32 v17, v8
	v_cvt_i32_f32_sdwa v9, v9 dst_sel:BYTE_1 dst_unused:UNUSED_PAD src0_sel:DWORD
	v_or_b32_sdwa v0, v0, v16 dst_sel:DWORD dst_unused:UNUSED_PAD src0_sel:BYTE_0 src1_sel:DWORD
	v_or_b32_sdwa v8, v14, v15 dst_sel:WORD_1 dst_unused:UNUSED_PAD src0_sel:BYTE_0 src1_sel:DWORD
	v_or_b32_sdwa v8, v0, v8 dst_sel:DWORD dst_unused:UNUSED_PAD src0_sel:WORD_0 src1_sel:DWORD
	v_or_b32_sdwa v0, v12, v13 dst_sel:DWORD dst_unused:UNUSED_PAD src0_sel:BYTE_0 src1_sel:DWORD
	v_or_b32_sdwa v9, v17, v9 dst_sel:WORD_1 dst_unused:UNUSED_PAD src0_sel:BYTE_0 src1_sel:DWORD
	v_or_b32_sdwa v9, v0, v9 dst_sel:DWORD dst_unused:UNUSED_PAD src0_sel:WORD_0 src1_sel:DWORD
	s_movk_i32 s4, 0x200
	buffer_store_dwordx2 v[8:9], v1, s[0:3], s4 offen
	;;#ASMSTART
	s_nop 0
	;;#ASMEND
	;;#ASMSTART
	v_pk_mul_f32 v[8:9], v[10:11], v[26:27]
	;;#ASMEND
	;;#ASMSTART
	v_pk_mul_f32 v[6:7], v[6:7], v[26:27]
	;;#ASMEND
	v_cvt_i32_f32_e32 v0, v8
	v_cvt_i32_f32_sdwa v8, v9 dst_sel:BYTE_1 dst_unused:UNUSED_PAD src0_sel:DWORD
	v_cvt_i32_f32_e32 v6, v6
	v_cvt_i32_f32_sdwa v7, v7 dst_sel:BYTE_1 dst_unused:UNUSED_PAD src0_sel:DWORD
	;;#ASMSTART
	v_pk_mul_f32 v[4:5], v[4:5], v[26:27]
	;;#ASMEND
	;;#ASMSTART
	v_pk_mul_f32 v[2:3], v[2:3], v[26:27]
	;;#ASMEND
	v_cvt_i32_f32_e32 v4, v4
	v_cvt_i32_f32_sdwa v5, v5 dst_sel:BYTE_1 dst_unused:UNUSED_PAD src0_sel:DWORD
	v_cvt_i32_f32_e32 v9, v2
	v_cvt_i32_f32_sdwa v3, v3 dst_sel:BYTE_1 dst_unused:UNUSED_PAD src0_sel:DWORD
	v_or_b32_sdwa v0, v0, v8 dst_sel:DWORD dst_unused:UNUSED_PAD src0_sel:BYTE_0 src1_sel:DWORD
	v_or_b32_sdwa v2, v6, v7 dst_sel:WORD_1 dst_unused:UNUSED_PAD src0_sel:BYTE_0 src1_sel:DWORD
	v_or_b32_sdwa v2, v0, v2 dst_sel:DWORD dst_unused:UNUSED_PAD src0_sel:WORD_0 src1_sel:DWORD
	v_or_b32_sdwa v0, v4, v5 dst_sel:DWORD dst_unused:UNUSED_PAD src0_sel:BYTE_0 src1_sel:DWORD
	v_or_b32_sdwa v3, v9, v3 dst_sel:WORD_1 dst_unused:UNUSED_PAD src0_sel:BYTE_0 src1_sel:DWORD
	v_or_b32_sdwa v3, v0, v3 dst_sel:DWORD dst_unused:UNUSED_PAD src0_sel:WORD_0 src1_sel:DWORD
	s_movk_i32 s4, 0x400
	buffer_store_dwordx2 v[2:3], v1, s[0:3], s4 offen
	;;#ASMSTART
	s_nop 0
	;;#ASMEND
.LBB50_49:
	s_endpgm
.LBB50_50:
                                        ; implicit-def: $vgpr26_vgpr27
	s_branch .LBB50_37
	.section	.rodata,"a",@progbits
	.p2align	6, 0x0
	.amdhsa_kernel _ZN5aiter24add_rmsnorm_quant_kernelItaLi256ELi24ELb1ELb1ELb1ELi1EEEvPT0_PT_PfS4_S4_S4_diiiiiiib
		.amdhsa_group_segment_fixed_size 32
		.amdhsa_private_segment_fixed_size 0
		.amdhsa_kernarg_size 88
		.amdhsa_user_sgpr_count 6
		.amdhsa_user_sgpr_private_segment_buffer 1
		.amdhsa_user_sgpr_dispatch_ptr 0
		.amdhsa_user_sgpr_queue_ptr 0
		.amdhsa_user_sgpr_kernarg_segment_ptr 1
		.amdhsa_user_sgpr_dispatch_id 0
		.amdhsa_user_sgpr_flat_scratch_init 0
		.amdhsa_user_sgpr_kernarg_preload_length 0
		.amdhsa_user_sgpr_kernarg_preload_offset 0
		.amdhsa_user_sgpr_private_segment_size 0
		.amdhsa_uses_dynamic_stack 0
		.amdhsa_system_sgpr_private_segment_wavefront_offset 0
		.amdhsa_system_sgpr_workgroup_id_x 1
		.amdhsa_system_sgpr_workgroup_id_y 0
		.amdhsa_system_sgpr_workgroup_id_z 0
		.amdhsa_system_sgpr_workgroup_info 0
		.amdhsa_system_vgpr_workitem_id 0
		.amdhsa_next_free_vgpr 67
		.amdhsa_next_free_sgpr 40
		.amdhsa_accum_offset 68
		.amdhsa_reserve_vcc 1
		.amdhsa_reserve_flat_scratch 0
		.amdhsa_float_round_mode_32 0
		.amdhsa_float_round_mode_16_64 0
		.amdhsa_float_denorm_mode_32 3
		.amdhsa_float_denorm_mode_16_64 3
		.amdhsa_dx10_clamp 1
		.amdhsa_ieee_mode 1
		.amdhsa_fp16_overflow 0
		.amdhsa_tg_split 0
		.amdhsa_exception_fp_ieee_invalid_op 0
		.amdhsa_exception_fp_denorm_src 0
		.amdhsa_exception_fp_ieee_div_zero 0
		.amdhsa_exception_fp_ieee_overflow 0
		.amdhsa_exception_fp_ieee_underflow 0
		.amdhsa_exception_fp_ieee_inexact 0
		.amdhsa_exception_int_div_zero 0
	.end_amdhsa_kernel
	.section	.text._ZN5aiter24add_rmsnorm_quant_kernelItaLi256ELi24ELb1ELb1ELb1ELi1EEEvPT0_PT_PfS4_S4_S4_diiiiiiib,"axG",@progbits,_ZN5aiter24add_rmsnorm_quant_kernelItaLi256ELi24ELb1ELb1ELb1ELi1EEEvPT0_PT_PfS4_S4_S4_diiiiiiib,comdat
.Lfunc_end50:
	.size	_ZN5aiter24add_rmsnorm_quant_kernelItaLi256ELi24ELb1ELb1ELb1ELi1EEEvPT0_PT_PfS4_S4_S4_diiiiiiib, .Lfunc_end50-_ZN5aiter24add_rmsnorm_quant_kernelItaLi256ELi24ELb1ELb1ELb1ELi1EEEvPT0_PT_PfS4_S4_S4_diiiiiiib
                                        ; -- End function
	.section	.AMDGPU.csdata,"",@progbits
; Kernel info:
; codeLenInByte = 4708
; NumSgprs: 44
; NumVgprs: 67
; NumAgprs: 0
; TotalNumVgprs: 67
; ScratchSize: 0
; MemoryBound: 0
; FloatMode: 240
; IeeeMode: 1
; LDSByteSize: 32 bytes/workgroup (compile time only)
; SGPRBlocks: 5
; VGPRBlocks: 8
; NumSGPRsForWavesPerEU: 44
; NumVGPRsForWavesPerEU: 67
; AccumOffset: 68
; Occupancy: 7
; WaveLimiterHint : 0
; COMPUTE_PGM_RSRC2:SCRATCH_EN: 0
; COMPUTE_PGM_RSRC2:USER_SGPR: 6
; COMPUTE_PGM_RSRC2:TRAP_HANDLER: 0
; COMPUTE_PGM_RSRC2:TGID_X_EN: 1
; COMPUTE_PGM_RSRC2:TGID_Y_EN: 0
; COMPUTE_PGM_RSRC2:TGID_Z_EN: 0
; COMPUTE_PGM_RSRC2:TIDIG_COMP_CNT: 0
; COMPUTE_PGM_RSRC3_GFX90A:ACCUM_OFFSET: 16
; COMPUTE_PGM_RSRC3_GFX90A:TG_SPLIT: 0
	.section	.text._ZN5aiter24add_rmsnorm_quant_kernelIDF16_aLi256ELi24ELb1ELb1ELb0ELi1EEEvPT0_PT_PfS4_S4_S4_diiiiiiib,"axG",@progbits,_ZN5aiter24add_rmsnorm_quant_kernelIDF16_aLi256ELi24ELb1ELb1ELb0ELi1EEEvPT0_PT_PfS4_S4_S4_diiiiiiib,comdat
	.protected	_ZN5aiter24add_rmsnorm_quant_kernelIDF16_aLi256ELi24ELb1ELb1ELb0ELi1EEEvPT0_PT_PfS4_S4_S4_diiiiiiib ; -- Begin function _ZN5aiter24add_rmsnorm_quant_kernelIDF16_aLi256ELi24ELb1ELb1ELb0ELi1EEEvPT0_PT_PfS4_S4_S4_diiiiiiib
	.globl	_ZN5aiter24add_rmsnorm_quant_kernelIDF16_aLi256ELi24ELb1ELb1ELb0ELi1EEEvPT0_PT_PfS4_S4_S4_diiiiiiib
	.p2align	8
	.type	_ZN5aiter24add_rmsnorm_quant_kernelIDF16_aLi256ELi24ELb1ELb1ELb0ELi1EEEvPT0_PT_PfS4_S4_S4_diiiiiiib,@function
_ZN5aiter24add_rmsnorm_quant_kernelIDF16_aLi256ELi24ELb1ELb1ELb0ELi1EEEvPT0_PT_PfS4_S4_S4_diiiiiiib: ; @_ZN5aiter24add_rmsnorm_quant_kernelIDF16_aLi256ELi24ELb1ELb1ELb0ELi1EEEvPT0_PT_PfS4_S4_S4_diiiiiiib
; %bb.0:
	s_load_dwordx8 s[8:15], s[4:5], 0x38
	s_mov_b32 s7, 0
	s_waitcnt lgkmcnt(0)
	s_ashr_i32 s0, s8, 31
	v_mov_b32_e32 v2, s8
	v_mov_b32_e32 v3, s0
	v_cmp_ge_i64_e32 vcc, s[6:7], v[2:3]
	s_cbranch_vccnz .LBB51_49
; %bb.1:
	s_load_dwordx8 s[16:23], s[4:5], 0x0
	s_ashr_i32 s0, s10, 31
	s_mul_hi_u32 s1, s10, s6
	s_mul_i32 s0, s0, s6
	s_add_i32 s1, s1, s0
	s_mul_i32 s0, s10, s6
	s_lshl_b64 s[0:1], s[0:1], 1
	s_waitcnt lgkmcnt(0)
	s_add_u32 s0, s22, s0
	s_addc_u32 s1, s23, s1
	s_add_i32 s2, s9, 1
	s_lshr_b32 s3, s2, 31
	s_add_i32 s2, s2, s3
	s_lshl_b32 s2, s2, 1
	s_load_dwordx8 s[24:31], s[4:5], 0x20
	s_and_b32 s2, s2, -4
	s_and_b32 s1, s1, 0xffff
	s_mov_b32 s3, 0x20000
	v_mul_u32_u24_e32 v1, 48, v0
	buffer_load_dwordx4 v[34:37], v1, s[0:3], 16 offen
	buffer_load_dwordx4 v[14:17], v1, s[0:3], 0 offen
	;; [unrolled: 1-line block ×3, first 2 shown]
	s_ashr_i32 s0, s11, 31
	s_mul_hi_u32 s1, s11, s6
	s_mul_i32 s0, s0, s6
	s_add_i32 s1, s1, s0
	s_mul_i32 s0, s11, s6
	s_waitcnt lgkmcnt(0)
	s_and_b32 s37, s27, 0xffff
	s_lshl_b64 s[0:1], s[0:1], 1
	s_add_u32 s0, s24, s0
	s_addc_u32 s1, s25, s1
	s_and_b32 s1, s1, 0xffff
	buffer_load_dwordx4 v[30:33], v1, s[0:3], 16 offen
	buffer_load_dwordx4 v[22:25], v1, s[0:3], 32 offen
	;; [unrolled: 1-line block ×3, first 2 shown]
	s_mov_b32 s39, s3
	s_mov_b32 s36, s26
	;; [unrolled: 1-line block ×3, first 2 shown]
	buffer_load_dwordx4 v[10:13], v1, s[36:39], 0 offen
	buffer_load_dwordx4 v[6:9], v1, s[36:39], 16 offen
	;; [unrolled: 1-line block ×3, first 2 shown]
	s_ashr_i32 s4, s12, 31
	s_mul_hi_u32 s1, s12, s6
	s_mul_i32 s4, s4, s6
	s_mul_i32 s0, s12, s6
	s_add_i32 s1, s1, s4
	s_lshl_b64 s[0:1], s[0:1], 1
	s_add_u32 s0, s18, s0
	s_addc_u32 s1, s19, s1
	s_and_b32 s1, s1, 0xffff
	s_waitcnt vmcnt(8)
	v_cvt_f32_f16_e32 v38, v34
	v_cvt_f32_f16_sdwa v39, v34 dst_sel:DWORD dst_unused:UNUSED_PAD src0_sel:WORD_1
	s_waitcnt vmcnt(6)
	v_cvt_f32_f16_e32 v42, v26
	v_cvt_f32_f16_sdwa v43, v26 dst_sel:DWORD dst_unused:UNUSED_PAD src0_sel:WORD_1
	v_cvt_f32_f16_e32 v44, v27
	v_cvt_f32_f16_sdwa v45, v27 dst_sel:DWORD dst_unused:UNUSED_PAD src0_sel:WORD_1
	;; [unrolled: 2-line block ×4, first 2 shown]
	v_cvt_f32_f16_e32 v36, v37
	s_waitcnt vmcnt(5)
	v_cvt_f32_f16_e32 v26, v30
	v_cvt_f32_f16_sdwa v27, v30 dst_sel:DWORD dst_unused:UNUSED_PAD src0_sel:WORD_1
	v_cvt_f32_f16_sdwa v37, v37 dst_sel:DWORD dst_unused:UNUSED_PAD src0_sel:WORD_1
	v_cvt_f32_f16_e32 v46, v28
	v_cvt_f32_f16_sdwa v47, v28 dst_sel:DWORD dst_unused:UNUSED_PAD src0_sel:WORD_1
	v_cvt_f32_f16_e32 v48, v29
	;; [unrolled: 2-line block ×5, first 2 shown]
	v_cvt_f32_f16_sdwa v53, v33 dst_sel:DWORD dst_unused:UNUSED_PAD src0_sel:WORD_1
	s_waitcnt vmcnt(4)
	v_cvt_f32_f16_e32 v54, v22
	v_cvt_f32_f16_sdwa v55, v22 dst_sel:DWORD dst_unused:UNUSED_PAD src0_sel:WORD_1
	v_cvt_f32_f16_e32 v56, v24
	v_cvt_f32_f16_sdwa v57, v24 dst_sel:DWORD dst_unused:UNUSED_PAD src0_sel:WORD_1
	;; [unrolled: 2-line block ×4, first 2 shown]
	v_pk_add_f32 v[24:25], v[38:39], v[26:27]
	s_waitcnt vmcnt(3)
	v_cvt_f32_f16_e32 v38, v19
	v_cvt_f32_f16_sdwa v39, v19 dst_sel:DWORD dst_unused:UNUSED_PAD src0_sel:WORD_1
	v_cvt_f32_f16_e32 v50, v14
	v_cvt_f32_f16_sdwa v51, v14 dst_sel:DWORD dst_unused:UNUSED_PAD src0_sel:WORD_1
	;; [unrolled: 2-line block ×3, first 2 shown]
	v_pk_add_f32 v[32:33], v[34:35], v[28:29]
	v_pk_add_f32 v[30:31], v[40:41], v[30:31]
	;; [unrolled: 1-line block ×5, first 2 shown]
	v_cvt_f32_f16_e32 v38, v16
	v_cvt_f32_f16_sdwa v39, v16 dst_sel:DWORD dst_unused:UNUSED_PAD src0_sel:WORD_1
	v_cvt_f32_f16_e32 v40, v20
	v_cvt_f32_f16_sdwa v41, v20 dst_sel:DWORD dst_unused:UNUSED_PAD src0_sel:WORD_1
	;; [unrolled: 2-line block ×5, first 2 shown]
	v_pk_add_f32 v[34:35], v[50:51], v[62:63]
	v_pk_add_f32 v[16:17], v[38:39], v[40:41]
	v_pk_add_f32 v[20:21], v[42:43], v[20:21]
	v_pk_add_f32 v[22:23], v[44:45], v[22:23]
	v_pk_add_f32 v[18:19], v[46:47], v[56:57]
	v_cvt_f16_f32_e32 v44, v35
	v_cvt_f16_f32_e32 v45, v37
	;; [unrolled: 1-line block ×8, first 2 shown]
	v_pack_b32_f16 v41, v40, v39
	v_pack_b32_f16 v40, v42, v38
	;; [unrolled: 1-line block ×4, first 2 shown]
	buffer_store_dwordx4 v[38:41], v1, s[0:3], 0 offen
	v_cvt_f16_f32_e32 v42, v29
	v_cvt_f16_f32_e32 v38, v24
	;; [unrolled: 1-line block ×8, first 2 shown]
	v_pk_add_f32 v[14:15], v[48:49], v[58:59]
	v_pack_b32_f16 v41, v41, v42
	v_pack_b32_f16 v40, v40, v43
	;; [unrolled: 1-line block ×4, first 2 shown]
	;;#ASMSTART
	s_nop 0
	;;#ASMEND
	buffer_store_dwordx4 v[38:41], v1, s[0:3], 16 offen
	v_cvt_f16_f32_e32 v42, v15
	v_cvt_f16_f32_e32 v38, v26
	;; [unrolled: 1-line block ×8, first 2 shown]
	v_pack_b32_f16 v41, v41, v42
	v_pack_b32_f16 v40, v40, v43
	;; [unrolled: 1-line block ×4, first 2 shown]
	;;#ASMSTART
	s_nop 0
	;;#ASMEND
	buffer_store_dwordx4 v[38:41], v1, s[0:3], 32 offen
	v_pk_mul_f32 v[42:43], v[16:17], v[16:17]
	v_pk_mul_f32 v[38:39], v[34:35], v[34:35]
	;; [unrolled: 1-line block ×3, first 2 shown]
	v_add_f32_e32 v1, v38, v39
	v_add_f32_e32 v1, v40, v1
	;; [unrolled: 1-line block ×4, first 2 shown]
	v_pk_mul_f32 v[44:45], v[20:21], v[20:21]
	v_add_f32_e32 v1, v43, v1
	v_add_f32_e32 v1, v44, v1
	v_pk_mul_f32 v[46:47], v[24:25], v[24:25]
	v_add_f32_e32 v1, v45, v1
	v_add_f32_e32 v1, v46, v1
	;; [unrolled: 3-line block ×9, first 2 shown]
	v_add_f32_e32 v1, v39, v1
	v_and_b32_e32 v39, 63, v0
	v_cmp_eq_u32_e64 s[0:1], 63, v39
	v_mov_b32_dpp v38, v1 quad_perm:[1,0,3,2] row_mask:0xf bank_mask:0xf
	v_add_f32_e32 v1, v1, v38
	;;#ASMSTART
	s_nop 0
	;;#ASMEND
	s_nop 1
	v_mov_b32_dpp v38, v1 quad_perm:[2,3,0,1] row_mask:0xf bank_mask:0xf
	v_add_f32_e32 v1, v1, v38
	s_nop 1
	v_mov_b32_dpp v38, v1 row_half_mirror row_mask:0xf bank_mask:0xf
	v_add_f32_e32 v1, v1, v38
	s_nop 1
	v_mov_b32_dpp v38, v1 row_mirror row_mask:0xf bank_mask:0xf
	v_add_f32_e32 v1, v1, v38
	s_nop 1
	v_mov_b32_dpp v38, v1 row_bcast:15 row_mask:0xf bank_mask:0xf
	v_add_f32_e32 v1, v1, v38
	s_nop 1
	v_mov_b32_dpp v38, v1 row_bcast:31 row_mask:0xf bank_mask:0xf
	s_and_saveexec_b64 s[2:3], s[0:1]
	s_cbranch_execz .LBB51_3
; %bb.2:
	v_lshrrev_b32_e32 v39, 4, v0
	v_and_b32_e32 v39, 60, v39
	v_add_f32_e32 v1, v1, v38
	ds_write_b32 v39, v1 offset:16
.LBB51_3:
	s_or_b64 exec, exec, s[2:3]
	v_and_b32_e32 v1, 3, v0
	v_lshlrev_b32_e32 v38, 2, v1
	s_waitcnt lgkmcnt(0)
	s_barrier
	ds_read_b32 v1, v38 offset:16
	v_cvt_f32_i32_e32 v39, s9
	s_waitcnt vmcnt(5)
	v_cvt_f32_f16_sdwa v49, v13 dst_sel:DWORD dst_unused:UNUSED_PAD src0_sel:WORD_1
	v_cvt_f32_f16_e32 v48, v13
	s_waitcnt vmcnt(4)
	v_cvt_f32_f16_sdwa v13, v7 dst_sel:DWORD dst_unused:UNUSED_PAD src0_sel:WORD_1
	s_waitcnt lgkmcnt(0)
	v_mov_b32_dpp v40, v1 quad_perm:[1,0,3,2] row_mask:0xf bank_mask:0xf
	v_add_f32_e32 v1, v1, v40
	s_cmp_lg_u32 s14, 0
	s_nop 0
	v_mov_b32_dpp v40, v1 quad_perm:[2,3,0,1] row_mask:0xf bank_mask:0xf
	v_add_f32_e32 v1, v1, v40
	v_div_scale_f32 v40, s[2:3], v39, v39, v1
	v_rcp_f32_e32 v41, v40
	v_div_scale_f32 v42, vcc, v1, v39, v1
	s_mov_b32 s2, 0x800000
	v_fma_f32 v43, -v40, v41, 1.0
	v_fmac_f32_e32 v41, v43, v41
	v_mul_f32_e32 v43, v42, v41
	v_fma_f32 v44, -v40, v43, v42
	v_fmac_f32_e32 v43, v44, v41
	v_fma_f32 v40, -v40, v43, v42
	v_div_fmas_f32 v40, v40, v41, v43
	v_div_fixup_f32 v1, v40, v39, v1
	v_cvt_f64_f32_e32 v[40:41], v1
	v_add_f64 v[40:41], v[40:41], s[28:29]
	v_cvt_f32_f64_e32 v1, v[40:41]
	v_mul_f32_e32 v39, 0x4b800000, v1
	v_cmp_gt_f32_e32 vcc, s2, v1
	v_cndmask_b32_e32 v1, v1, v39, vcc
	v_rsq_f32_e32 v39, v1
	v_mul_u32_u24_e32 v1, 24, v0
	v_mul_f32_e32 v40, 0x45800000, v39
	v_cndmask_b32_e32 v40, v39, v40, vcc
	v_mov_b32_e32 v41, v40
	;;#ASMSTART
	v_pk_mul_f32 v[34:35], v[34:35], v[40:41]
	;;#ASMEND
	;;#ASMSTART
	v_pk_mul_f32 v[36:37], v[36:37], v[40:41]
	;;#ASMEND
	;; [unrolled: 3-line block ×12, first 2 shown]
	v_cvt_f32_f16_sdwa v15, v10 dst_sel:DWORD dst_unused:UNUSED_PAD src0_sel:WORD_1
	v_cvt_f32_f16_e32 v14, v10
	v_cvt_f32_f16_sdwa v19, v11 dst_sel:DWORD dst_unused:UNUSED_PAD src0_sel:WORD_1
	v_cvt_f32_f16_e32 v18, v11
	;; [unrolled: 2-line block ×3, first 2 shown]
	;;#ASMSTART
	v_pk_mul_f32 v[24:25], v[34:35], v[14:15]
	;;#ASMEND
	;;#ASMSTART
	v_pk_mul_f32 v[22:23], v[36:37], v[18:19]
	;;#ASMEND
	;; [unrolled: 3-line block ×3, first 2 shown]
	v_cvt_f32_f16_sdwa v11, v6 dst_sel:DWORD dst_unused:UNUSED_PAD src0_sel:WORD_1
	v_cvt_f32_f16_e32 v10, v6
	v_cvt_f32_f16_e32 v12, v7
	v_cvt_f32_f16_sdwa v7, v8 dst_sel:DWORD dst_unused:UNUSED_PAD src0_sel:WORD_1
	v_cvt_f32_f16_e32 v6, v8
	;;#ASMSTART
	v_pk_mul_f32 v[16:17], v[20:21], v[48:49]
	;;#ASMEND
	v_cvt_f32_f16_sdwa v35, v9 dst_sel:DWORD dst_unused:UNUSED_PAD src0_sel:WORD_1
	v_cvt_f32_f16_e32 v34, v9
	;;#ASMSTART
	v_pk_mul_f32 v[20:21], v[42:43], v[10:11]
	;;#ASMEND
	;;#ASMSTART
	v_pk_mul_f32 v[14:15], v[32:33], v[12:13]
	;;#ASMEND
	;; [unrolled: 3-line block ×4, first 2 shown]
	s_waitcnt vmcnt(3)
	v_cvt_f32_f16_sdwa v7, v2 dst_sel:DWORD dst_unused:UNUSED_PAD src0_sel:WORD_1
	v_cvt_f32_f16_e32 v6, v2
	v_cvt_f32_f16_e32 v28, v3
	v_cvt_f32_f16_sdwa v29, v3 dst_sel:DWORD dst_unused:UNUSED_PAD src0_sel:WORD_1
	v_cvt_f32_f16_sdwa v3, v4 dst_sel:DWORD dst_unused:UNUSED_PAD src0_sel:WORD_1
	v_cvt_f32_f16_e32 v2, v4
	;;#ASMSTART
	v_pk_mul_f32 v[10:11], v[26:27], v[6:7]
	;;#ASMEND
	;;#ASMSTART
	v_pk_mul_f32 v[6:7], v[44:45], v[28:29]
	;;#ASMEND
	v_and_b32_e32 v26, 0x7fffffff, v24
	v_mov_b32_e32 v28, 0x2edbe6ff
	v_cvt_f32_f16_sdwa v31, v5 dst_sel:DWORD dst_unused:UNUSED_PAD src0_sel:WORD_1
	v_cvt_f32_f16_e32 v30, v5
	;;#ASMSTART
	v_pk_mul_f32 v[4:5], v[46:47], v[2:3]
	;;#ASMEND
	;;#ASMSTART
	v_pk_mul_f32 v[2:3], v[40:41], v[30:31]
	;;#ASMEND
	v_and_b32_e32 v27, 0x7fffffff, v25
	;;#ASMSTART
	v_max3_f32 v26, v28, v26, v27

	;;#ASMEND
	v_and_b32_e32 v28, 0x7fffffff, v23
	v_and_b32_e32 v27, 0x7fffffff, v22
	;;#ASMSTART
	v_max3_f32 v26, v26, v27, v28

	;;#ASMEND
	v_and_b32_e32 v28, 0x7fffffff, v19
	;; [unrolled: 6-line block ×11, first 2 shown]
	v_and_b32_e32 v27, 0x7fffffff, v2
	;;#ASMSTART
	v_max3_f32 v28, v26, v27, v28

	;;#ASMEND
	s_cbranch_scc0 .LBB51_10
; %bb.4:
	s_mul_hi_i32 s2, s14, 0x2aaaaaab
	s_lshr_b32 s3, s2, 31
	s_ashr_i32 s10, s2, 2
	s_add_i32 s10, s10, s3
	s_cmp_lt_i32 s10, 16
	s_cbranch_scc1 .LBB51_11
; %bb.5:
	s_cmp_lt_i32 s10, 32
	s_cbranch_scc1 .LBB51_12
; %bb.6:
	;; [unrolled: 3-line block ×3, first 2 shown]
	s_cmp_eq_u32 s10, 64
	v_mov_b32_e32 v26, v28
	s_cbranch_scc0 .LBB51_9
; %bb.8:
	s_nop 0
	v_mov_b32_dpp v26, v28 quad_perm:[1,0,3,2] row_mask:0xf bank_mask:0xf
	v_cmp_gt_f32_e32 vcc, v28, v26
	v_cndmask_b32_e32 v26, v26, v28, vcc
	v_bfrev_b32_e32 v29, 0.5
	s_nop 0
	v_mov_b32_dpp v27, v26 quad_perm:[2,3,0,1] row_mask:0xf bank_mask:0xf
	v_cmp_gt_f32_e32 vcc, v26, v27
	v_cndmask_b32_e32 v26, v27, v26, vcc
	s_nop 1
	v_mov_b32_dpp v27, v26 row_ror:4 row_mask:0xf bank_mask:0xf
	v_cmp_gt_f32_e32 vcc, v26, v27
	v_cndmask_b32_e32 v26, v27, v26, vcc
	s_nop 1
	v_mov_b32_dpp v27, v26 row_ror:8 row_mask:0xf bank_mask:0xf
	v_cmp_gt_f32_e32 vcc, v26, v27
	v_cndmask_b32_e32 v26, v27, v26, vcc
	s_nop 1
	v_mov_b32_dpp v27, v26 row_bcast:15 row_mask:0xf bank_mask:0xf
	v_cmp_gt_f32_e32 vcc, v26, v27
	v_cndmask_b32_e32 v26, v27, v26, vcc
	s_nop 1
	v_mov_b32_dpp v27, v26 row_bcast:31 row_mask:0xf bank_mask:0xf
	v_cmp_gt_f32_e32 vcc, v26, v27
	v_cndmask_b32_e32 v26, v27, v26, vcc
	v_mbcnt_lo_u32_b32 v27, -1, 0
	v_mbcnt_hi_u32_b32 v27, -1, v27
	v_lshl_or_b32 v27, v27, 2, v29
	ds_bpermute_b32 v26, v27, v26
.LBB51_9:
	s_mov_b64 s[2:3], 0
	s_branch .LBB51_14
.LBB51_10:
	s_mov_b64 s[2:3], 0
                                        ; implicit-def: $vgpr29
                                        ; implicit-def: $vgpr26_vgpr27
	s_cbranch_execnz .LBB51_43
	s_branch .LBB51_46
.LBB51_11:
                                        ; implicit-def: $vgpr26
	s_branch .LBB51_21
.LBB51_12:
                                        ; implicit-def: $vgpr26
	s_branch .LBB51_18
.LBB51_13:
	s_mov_b64 s[2:3], -1
                                        ; implicit-def: $vgpr26
.LBB51_14:
	s_andn2_b64 vcc, exec, s[2:3]
	s_cbranch_vccnz .LBB51_17
; %bb.15:
	s_cmp_eq_u32 s10, 32
	s_waitcnt lgkmcnt(0)
	v_mov_b32_e32 v26, v28
	s_cbranch_scc0 .LBB51_17
; %bb.16:
	s_nop 0
	v_mov_b32_dpp v26, v28 quad_perm:[1,0,3,2] row_mask:0xf bank_mask:0xf
	v_cmp_gt_f32_e32 vcc, v28, v26
	v_cndmask_b32_e32 v26, v26, v28, vcc
	v_mov_b32_e32 v29, 0x7c
	s_nop 0
	v_mov_b32_dpp v27, v26 quad_perm:[2,3,0,1] row_mask:0xf bank_mask:0xf
	v_cmp_gt_f32_e32 vcc, v26, v27
	v_cndmask_b32_e32 v26, v27, v26, vcc
	s_nop 1
	v_mov_b32_dpp v27, v26 row_half_mirror row_mask:0xf bank_mask:0xf
	v_cmp_gt_f32_e32 vcc, v26, v27
	v_cndmask_b32_e32 v26, v27, v26, vcc
	s_nop 1
	v_mov_b32_dpp v27, v26 row_mirror row_mask:0xf bank_mask:0xf
	v_cmp_gt_f32_e32 vcc, v26, v27
	v_cndmask_b32_e32 v26, v27, v26, vcc
	s_nop 1
	v_mov_b32_dpp v27, v26 row_bcast:15 row_mask:0xa bank_mask:0xf
	v_cmp_gt_f32_e32 vcc, v26, v27
	v_cndmask_b32_e32 v26, v27, v26, vcc
	v_mbcnt_lo_u32_b32 v27, -1, 0
	v_mbcnt_hi_u32_b32 v27, -1, v27
	v_lshl_or_b32 v27, v27, 2, v29
	ds_bpermute_b32 v26, v27, v26
.LBB51_17:
	s_cbranch_execnz .LBB51_20
.LBB51_18:
	s_cmp_eq_u32 s10, 16
	s_waitcnt lgkmcnt(0)
	v_mov_b32_e32 v26, v28
	s_cbranch_scc0 .LBB51_20
; %bb.19:
	s_nop 0
	v_mov_b32_dpp v26, v28 quad_perm:[1,0,3,2] row_mask:0xf bank_mask:0xf
	v_cmp_gt_f32_e32 vcc, v28, v26
	v_cndmask_b32_e32 v26, v26, v28, vcc
	s_nop 1
	v_mov_b32_dpp v27, v26 quad_perm:[2,3,0,1] row_mask:0xf bank_mask:0xf
	v_cmp_gt_f32_e32 vcc, v26, v27
	v_cndmask_b32_e32 v26, v27, v26, vcc
	s_nop 1
	v_mov_b32_dpp v27, v26 row_half_mirror row_mask:0xf bank_mask:0xf
	v_cmp_gt_f32_e32 vcc, v26, v27
	v_cndmask_b32_e32 v26, v27, v26, vcc
	s_nop 1
	v_mov_b32_dpp v27, v26 row_mirror row_mask:0xf bank_mask:0xf
	v_cmp_gt_f32_e32 vcc, v26, v27
	v_cndmask_b32_e32 v26, v27, v26, vcc
.LBB51_20:
	s_cbranch_execnz .LBB51_33
.LBB51_21:
	s_cmp_lt_i32 s10, 4
	s_cbranch_scc1 .LBB51_25
; %bb.22:
	s_cmp_lt_i32 s10, 8
	s_cbranch_scc1 .LBB51_26
; %bb.23:
	s_cmp_eq_u32 s10, 8
	s_waitcnt lgkmcnt(0)
	v_mov_b32_e32 v26, v28
	s_cbranch_scc0 .LBB51_27
; %bb.24:
	s_nop 0
	v_mov_b32_dpp v26, v28 quad_perm:[1,0,3,2] row_mask:0xf bank_mask:0xf
	v_cmp_gt_f32_e32 vcc, v28, v26
	v_cndmask_b32_e32 v26, v26, v28, vcc
	s_nop 1
	v_mov_b32_dpp v27, v26 quad_perm:[2,3,0,1] row_mask:0xf bank_mask:0xf
	v_cmp_gt_f32_e32 vcc, v26, v27
	v_cndmask_b32_e32 v26, v27, v26, vcc
	s_nop 1
	v_mov_b32_dpp v27, v26 row_half_mirror row_mask:0xf bank_mask:0xf
	v_cmp_gt_f32_e32 vcc, v26, v27
	v_cndmask_b32_e32 v26, v27, v26, vcc
	s_cbranch_execz .LBB51_28
	s_branch .LBB51_30
.LBB51_25:
                                        ; implicit-def: $vgpr26
	s_branch .LBB51_31
.LBB51_26:
                                        ; implicit-def: $vgpr26
	s_branch .LBB51_28
.LBB51_27:
	s_cbranch_execnz .LBB51_30
.LBB51_28:
	s_cmp_eq_u32 s10, 4
	s_waitcnt lgkmcnt(0)
	v_mov_b32_e32 v26, v28
	s_cbranch_scc0 .LBB51_30
; %bb.29:
	s_nop 0
	v_mov_b32_dpp v26, v28 quad_perm:[1,0,3,2] row_mask:0xf bank_mask:0xf
	v_cmp_gt_f32_e32 vcc, v28, v26
	v_cndmask_b32_e32 v26, v26, v28, vcc
	s_nop 1
	v_mov_b32_dpp v27, v26 quad_perm:[2,3,0,1] row_mask:0xf bank_mask:0xf
	v_cmp_gt_f32_e32 vcc, v26, v27
	v_cndmask_b32_e32 v26, v27, v26, vcc
.LBB51_30:
	s_cbranch_execnz .LBB51_33
.LBB51_31:
	s_cmp_lg_u32 s10, 2
	s_waitcnt lgkmcnt(0)
	v_mov_b32_e32 v26, v28
	s_cbranch_scc1 .LBB51_33
; %bb.32:
	s_nop 0
	v_mov_b32_dpp v26, v28 quad_perm:[1,0,3,2] row_mask:0xf bank_mask:0xf
	v_cmp_gt_f32_e32 vcc, v28, v26
	v_cndmask_b32_e32 v26, v26, v28, vcc
.LBB51_33:
	v_cvt_f32_u32_e32 v27, s10
	s_waitcnt lgkmcnt(0)
	v_mul_f32_e32 v29, 0x3c010204, v26
	s_sub_i32 s2, 0, s10
	v_cmp_gt_u32_e32 vcc, s9, v1
	v_rcp_iflag_f32_e32 v27, v27
	s_mov_b64 s[4:5], 0
	v_mul_f32_e32 v26, 0x4f7ffffe, v27
	v_cvt_u32_f32_e32 v26, v26
	v_mul_lo_u32 v27, s2, v26
	v_mul_hi_u32 v27, v26, v27
	v_add_u32_e32 v26, v26, v27
	v_mul_hi_u32 v26, v0, v26
	v_mul_lo_u32 v27, v26, s10
	v_sub_u32_e32 v27, v0, v27
	v_add_u32_e32 v30, 1, v26
	v_cmp_le_u32_e64 s[2:3], s10, v27
	v_cndmask_b32_e64 v26, v26, v30, s[2:3]
	v_subrev_u32_e32 v30, s10, v27
	v_cndmask_b32_e64 v27, v27, v30, s[2:3]
	v_add_u32_e32 v30, 1, v26
	v_cmp_le_u32_e64 s[2:3], s10, v27
	v_cndmask_b32_e64 v30, v26, v30, s[2:3]
	v_mul_lo_u32 v26, v30, s10
	v_sub_u32_e32 v26, v0, v26
	v_cmp_eq_u32_e64 s[2:3], 0, v26
	s_and_b64 s[10:11], s[2:3], vcc
	s_mov_b64 s[2:3], 0
                                        ; implicit-def: $vgpr26_vgpr27
	s_and_saveexec_b64 s[18:19], s[10:11]
	s_xor_b64 s[10:11], exec, s[18:19]
	s_cbranch_execz .LBB51_42
; %bb.34:
	s_bitcmp0_b32 s15, 0
	s_cbranch_scc0 .LBB51_39
; %bb.35:
	s_ashr_i32 s2, s9, 31
	s_mul_hi_u32 s3, s9, s6
	s_mul_i32 s2, s2, s6
	s_add_i32 s19, s3, s2
	s_mul_i32 s18, s9, s6
	s_ashr_i32 s15, s14, 31
	s_or_b64 s[2:3], s[18:19], s[14:15]
	s_mov_b32 s2, 0
	s_cmp_lg_u64 s[2:3], 0
	s_cbranch_scc0 .LBB51_50
; %bb.36:
	s_add_u32 s2, s14, s15
	s_mov_b32 s24, s15
	s_mov_b32 s25, s15
	s_addc_u32 s3, s15, s15
	s_xor_b64 s[26:27], s[2:3], s[24:25]
	v_cvt_f32_u32_e32 v26, s26
	v_cvt_f32_u32_e32 v27, s27
	s_sub_u32 s2, 0, s26
	s_subb_u32 s3, 0, s27
	v_madmk_f32 v26, v27, 0x4f800000, v26
	v_rcp_f32_e32 v26, v26
	v_mul_f32_e32 v26, 0x5f7ffffc, v26
	v_mul_f32_e32 v27, 0x2f800000, v26
	v_trunc_f32_e32 v27, v27
	v_madmk_f32 v26, v27, 0xcf800000, v26
	v_cvt_u32_f32_e32 v27, v27
	v_cvt_u32_f32_e32 v26, v26
	v_readfirstlane_b32 s12, v27
	v_readfirstlane_b32 s15, v26
	s_mul_i32 s28, s2, s12
	s_mul_hi_u32 s30, s2, s15
	s_mul_i32 s29, s3, s15
	s_add_i32 s28, s30, s28
	s_add_i32 s28, s28, s29
	s_mul_i32 s31, s2, s15
	s_mul_hi_u32 s29, s15, s28
	s_mul_i32 s30, s15, s28
	s_mul_hi_u32 s15, s15, s31
	s_add_u32 s15, s15, s30
	s_addc_u32 s29, 0, s29
	s_mul_hi_u32 s33, s12, s31
	s_mul_i32 s31, s12, s31
	s_add_u32 s15, s15, s31
	s_mul_hi_u32 s30, s12, s28
	s_addc_u32 s15, s29, s33
	s_addc_u32 s29, s30, 0
	s_mul_i32 s28, s12, s28
	s_add_u32 s15, s15, s28
	s_addc_u32 s28, 0, s29
	v_add_co_u32_e32 v26, vcc, s15, v26
	s_cmp_lg_u64 vcc, 0
	s_addc_u32 s12, s12, s28
	v_readfirstlane_b32 s28, v26
	s_mul_i32 s15, s2, s12
	s_mul_hi_u32 s29, s2, s28
	s_add_i32 s15, s29, s15
	s_mul_i32 s3, s3, s28
	s_add_i32 s15, s15, s3
	s_mul_i32 s2, s2, s28
	s_mul_hi_u32 s29, s12, s2
	s_mul_i32 s30, s12, s2
	s_mul_i32 s33, s28, s15
	s_mul_hi_u32 s2, s28, s2
	s_mul_hi_u32 s31, s28, s15
	s_add_u32 s2, s2, s33
	s_addc_u32 s28, 0, s31
	s_add_u32 s2, s2, s30
	s_mul_hi_u32 s3, s12, s15
	s_addc_u32 s2, s28, s29
	s_addc_u32 s3, s3, 0
	s_mul_i32 s15, s12, s15
	s_add_u32 s2, s2, s15
	s_addc_u32 s3, 0, s3
	v_add_co_u32_e32 v26, vcc, s2, v26
	s_cmp_lg_u64 vcc, 0
	s_addc_u32 s12, s12, s3
	s_ashr_i32 s28, s19, 31
	s_add_u32 s2, s18, s28
	s_mov_b32 s29, s28
	s_addc_u32 s3, s19, s28
	s_xor_b64 s[30:31], s[2:3], s[28:29]
	v_readfirstlane_b32 s15, v26
	s_mul_i32 s3, s30, s12
	s_mul_hi_u32 s19, s30, s15
	s_mul_hi_u32 s2, s30, s12
	s_add_u32 s3, s19, s3
	s_addc_u32 s2, 0, s2
	s_mul_hi_u32 s33, s31, s15
	s_mul_i32 s15, s31, s15
	s_add_u32 s3, s3, s15
	s_mul_hi_u32 s19, s31, s12
	s_addc_u32 s2, s2, s33
	s_addc_u32 s3, s19, 0
	s_mul_i32 s12, s31, s12
	s_add_u32 s12, s2, s12
	s_addc_u32 s15, 0, s3
	s_mul_i32 s2, s26, s15
	s_mul_hi_u32 s3, s26, s12
	s_add_i32 s2, s3, s2
	s_mul_i32 s3, s27, s12
	s_add_i32 s19, s2, s3
	s_mul_i32 s3, s26, s12
	v_mov_b32_e32 v26, s3
	s_sub_i32 s2, s31, s19
	v_sub_co_u32_e32 v26, vcc, s30, v26
	s_cmp_lg_u64 vcc, 0
	s_subb_u32 s30, s2, s27
	v_subrev_co_u32_e64 v27, s[2:3], s26, v26
	s_cmp_lg_u64 s[2:3], 0
	s_subb_u32 s30, s30, 0
	s_cmp_ge_u32 s30, s27
	s_cselect_b32 s33, -1, 0
	v_cmp_le_u32_e64 s[2:3], s26, v27
	s_cmp_eq_u32 s30, s27
	v_cndmask_b32_e64 v27, 0, -1, s[2:3]
	v_mov_b32_e32 v31, s33
	s_cselect_b64 s[2:3], -1, 0
	v_cndmask_b32_e64 v27, v31, v27, s[2:3]
	s_add_u32 s2, s12, 1
	s_addc_u32 s30, s15, 0
	s_add_u32 s3, s12, 2
	s_addc_u32 s33, s15, 0
	v_mov_b32_e32 v31, s2
	v_mov_b32_e32 v32, s3
	v_cmp_ne_u32_e64 s[2:3], 0, v27
	v_cndmask_b32_e64 v27, v31, v32, s[2:3]
	v_mov_b32_e32 v31, s30
	v_mov_b32_e32 v32, s33
	s_cmp_lg_u64 vcc, 0
	v_cndmask_b32_e64 v31, v31, v32, s[2:3]
	s_subb_u32 s2, s31, s19
	s_cmp_ge_u32 s2, s27
	s_cselect_b32 s3, -1, 0
	v_cmp_le_u32_e32 vcc, s26, v26
	s_cmp_eq_u32 s2, s27
	v_cndmask_b32_e64 v26, 0, -1, vcc
	v_mov_b32_e32 v32, s3
	s_cselect_b64 vcc, -1, 0
	v_cndmask_b32_e32 v26, v32, v26, vcc
	v_mov_b32_e32 v32, s15
	v_cmp_ne_u32_e32 vcc, 0, v26
	v_cndmask_b32_e32 v26, v32, v31, vcc
	v_mov_b32_e32 v31, s12
	v_cndmask_b32_e32 v27, v31, v27, vcc
	s_xor_b64 s[2:3], s[28:29], s[24:25]
	v_xor_b32_e32 v27, s2, v27
	v_xor_b32_e32 v31, s3, v26
	v_mov_b32_e32 v32, s3
	v_subrev_co_u32_e32 v26, vcc, s2, v27
	v_subb_co_u32_e32 v27, vcc, v31, v32, vcc
	s_cbranch_execnz .LBB51_38
.LBB51_37:
	v_cvt_f32_u32_e32 v26, s14
	s_sub_i32 s2, 0, s14
	s_mov_b32 s3, 0
	v_rcp_iflag_f32_e32 v26, v26
	v_mul_f32_e32 v26, 0x4f7ffffe, v26
	v_cvt_u32_f32_e32 v26, v26
	v_readfirstlane_b32 s12, v26
	s_mul_i32 s2, s2, s12
	s_mul_hi_u32 s2, s12, s2
	s_add_i32 s12, s12, s2
	s_mul_hi_u32 s2, s18, s12
	s_mul_i32 s15, s2, s14
	s_sub_i32 s15, s18, s15
	s_add_i32 s12, s2, 1
	s_sub_i32 s18, s15, s14
	s_cmp_ge_u32 s15, s14
	s_cselect_b32 s2, s12, s2
	s_cselect_b32 s15, s18, s15
	s_add_i32 s12, s2, 1
	s_cmp_ge_u32 s15, s14
	s_cselect_b32 s2, s12, s2
	v_pk_mov_b32 v[26:27], s[2:3], s[2:3] op_sel:[0,1]
.LBB51_38:
	v_add_co_u32_e32 v26, vcc, v26, v30
	v_addc_co_u32_e32 v27, vcc, 0, v27, vcc
	s_branch .LBB51_41
.LBB51_39:
                                        ; implicit-def: $vgpr26_vgpr27
	s_cbranch_execz .LBB51_41
; %bb.40:
	v_mul_lo_u32 v26, v30, s8
	v_ashrrev_i32_e32 v27, 31, v26
	v_mov_b32_e32 v30, s7
	v_add_co_u32_e32 v26, vcc, s6, v26
	v_addc_co_u32_e32 v27, vcc, v27, v30, vcc
.LBB51_41:
	s_mov_b64 s[2:3], exec
.LBB51_42:
	s_or_b64 exec, exec, s[10:11]
	s_and_b64 vcc, exec, s[4:5]
	s_cbranch_vccz .LBB51_46
.LBB51_43:
	v_mov_b32_dpp v26, v28 quad_perm:[1,0,3,2] row_mask:0xf bank_mask:0xf
	v_cmp_gt_f32_e32 vcc, v28, v26
	v_cndmask_b32_e32 v26, v26, v28, vcc
	s_nop 1
	v_mov_b32_dpp v27, v26 quad_perm:[2,3,0,1] row_mask:0xf bank_mask:0xf
	v_cmp_gt_f32_e32 vcc, v26, v27
	v_cndmask_b32_e32 v26, v27, v26, vcc
	s_nop 1
	v_mov_b32_dpp v27, v26 row_half_mirror row_mask:0xf bank_mask:0xf
	v_cmp_gt_f32_e32 vcc, v26, v27
	v_cndmask_b32_e32 v26, v27, v26, vcc
	s_nop 1
	v_mov_b32_dpp v27, v26 row_mirror row_mask:0xf bank_mask:0xf
	v_cmp_gt_f32_e32 vcc, v26, v27
	v_cndmask_b32_e32 v26, v27, v26, vcc
	s_nop 1
	v_mov_b32_dpp v27, v26 row_bcast:15 row_mask:0xf bank_mask:0xf
	v_cmp_gt_f32_e32 vcc, v26, v27
	v_cndmask_b32_e32 v26, v27, v26, vcc
	s_nop 1
	v_mov_b32_dpp v27, v26 row_bcast:31 row_mask:0xf bank_mask:0xf
	s_and_saveexec_b64 s[2:3], s[0:1]
	s_cbranch_execz .LBB51_45
; %bb.44:
	v_lshrrev_b32_e32 v28, 4, v0
	v_cmp_gt_f32_e32 vcc, v26, v27
	v_and_b32_e32 v28, 60, v28
	v_cndmask_b32_e32 v26, v27, v26, vcc
	ds_write_b32 v28, v26
.LBB51_45:
	s_or_b64 exec, exec, s[2:3]
	s_waitcnt lgkmcnt(0)
	s_barrier
	ds_read_b32 v26, v38
	v_cmp_eq_u32_e64 s[2:3], 0, v0
	s_waitcnt lgkmcnt(0)
	v_mov_b32_dpp v27, v26 quad_perm:[1,0,3,2] row_mask:0xf bank_mask:0xf
	v_cmp_gt_f32_e32 vcc, v26, v27
	v_cndmask_b32_e32 v26, v27, v26, vcc
	s_nop 1
	v_mov_b32_dpp v27, v26 quad_perm:[2,3,0,1] row_mask:0xf bank_mask:0xf
	v_cmp_gt_f32_e32 vcc, v26, v27
	v_cndmask_b32_e32 v26, v27, v26, vcc
	v_mul_f32_e32 v29, 0x3c010204, v26
	v_pk_mov_b32 v[26:27], s[6:7], s[6:7] op_sel:[0,1]
.LBB51_46:
	s_and_saveexec_b64 s[0:1], s[2:3]
	s_cbranch_execz .LBB51_48
; %bb.47:
	v_lshlrev_b64 v[26:27], 2, v[26:27]
	v_mov_b32_e32 v0, s21
	v_add_co_u32_e32 v26, vcc, s20, v26
	v_addc_co_u32_e32 v27, vcc, v0, v27, vcc
	global_store_dword v[26:27], v29, off
.LBB51_48:
	s_or_b64 exec, exec, s[0:1]
	s_add_i32 s0, s9, 3
	s_ashr_i32 s1, s0, 31
	s_lshr_b32 s1, s1, 30
	;;#ASMSTART
	v_rcp_f32 v26, v29
	;;#ASMEND
	v_mov_b32_e32 v27, v26
	;;#ASMSTART
	v_pk_mul_f32 v[24:25], v[24:25], v[26:27]
	;;#ASMEND
	;;#ASMSTART
	v_pk_mul_f32 v[22:23], v[22:23], v[26:27]
	;;#ASMEND
	s_add_i32 s0, s0, s1
	v_cvt_i32_f32_e32 v0, v24
	v_cvt_i32_f32_sdwa v24, v25 dst_sel:BYTE_1 dst_unused:UNUSED_PAD src0_sel:DWORD
	v_cvt_i32_f32_e32 v22, v22
	v_cvt_i32_f32_sdwa v23, v23 dst_sel:BYTE_1 dst_unused:UNUSED_PAD src0_sel:DWORD
	;;#ASMSTART
	v_pk_mul_f32 v[18:19], v[18:19], v[26:27]
	;;#ASMEND
	;;#ASMSTART
	v_pk_mul_f32 v[16:17], v[16:17], v[26:27]
	;;#ASMEND
	s_and_b32 s2, s0, -4
	s_ashr_i32 s0, s13, 31
	v_cvt_i32_f32_e32 v18, v18
	v_cvt_i32_f32_sdwa v19, v19 dst_sel:BYTE_1 dst_unused:UNUSED_PAD src0_sel:DWORD
	v_cvt_i32_f32_e32 v25, v16
	v_cvt_i32_f32_sdwa v17, v17 dst_sel:BYTE_1 dst_unused:UNUSED_PAD src0_sel:DWORD
	s_mul_hi_u32 s1, s13, s6
	s_mul_i32 s0, s0, s6
	s_add_i32 s1, s1, s0
	s_mul_i32 s0, s13, s6
	s_add_u32 s0, s16, s0
	v_or_b32_sdwa v0, v0, v24 dst_sel:DWORD dst_unused:UNUSED_PAD src0_sel:BYTE_0 src1_sel:DWORD
	v_or_b32_sdwa v16, v22, v23 dst_sel:WORD_1 dst_unused:UNUSED_PAD src0_sel:BYTE_0 src1_sel:DWORD
	s_addc_u32 s1, s17, s1
	v_or_b32_sdwa v16, v0, v16 dst_sel:DWORD dst_unused:UNUSED_PAD src0_sel:WORD_0 src1_sel:DWORD
	v_or_b32_sdwa v0, v18, v19 dst_sel:DWORD dst_unused:UNUSED_PAD src0_sel:BYTE_0 src1_sel:DWORD
	v_or_b32_sdwa v17, v25, v17 dst_sel:WORD_1 dst_unused:UNUSED_PAD src0_sel:BYTE_0 src1_sel:DWORD
	s_and_b32 s1, s1, 0xffff
	s_mov_b32 s3, 0x20000
	v_or_b32_sdwa v17, v0, v17 dst_sel:DWORD dst_unused:UNUSED_PAD src0_sel:WORD_0 src1_sel:DWORD
	buffer_store_dwordx2 v[16:17], v1, s[0:3], 0 offen
	;;#ASMSTART
	s_nop 0
	;;#ASMEND
	;;#ASMSTART
	v_pk_mul_f32 v[16:17], v[20:21], v[26:27]
	;;#ASMEND
	;;#ASMSTART
	v_pk_mul_f32 v[14:15], v[14:15], v[26:27]
	;;#ASMEND
	v_cvt_i32_f32_e32 v0, v16
	v_cvt_i32_f32_sdwa v16, v17 dst_sel:BYTE_1 dst_unused:UNUSED_PAD src0_sel:DWORD
	v_cvt_i32_f32_e32 v14, v14
	v_cvt_i32_f32_sdwa v15, v15 dst_sel:BYTE_1 dst_unused:UNUSED_PAD src0_sel:DWORD
	;;#ASMSTART
	v_pk_mul_f32 v[12:13], v[12:13], v[26:27]
	;;#ASMEND
	;;#ASMSTART
	v_pk_mul_f32 v[8:9], v[8:9], v[26:27]
	;;#ASMEND
	v_cvt_i32_f32_e32 v12, v12
	v_cvt_i32_f32_sdwa v13, v13 dst_sel:BYTE_1 dst_unused:UNUSED_PAD src0_sel:DWORD
	v_cvt_i32_f32_e32 v17, v8
	v_cvt_i32_f32_sdwa v9, v9 dst_sel:BYTE_1 dst_unused:UNUSED_PAD src0_sel:DWORD
	v_or_b32_sdwa v0, v0, v16 dst_sel:DWORD dst_unused:UNUSED_PAD src0_sel:BYTE_0 src1_sel:DWORD
	v_or_b32_sdwa v8, v14, v15 dst_sel:WORD_1 dst_unused:UNUSED_PAD src0_sel:BYTE_0 src1_sel:DWORD
	v_or_b32_sdwa v8, v0, v8 dst_sel:DWORD dst_unused:UNUSED_PAD src0_sel:WORD_0 src1_sel:DWORD
	v_or_b32_sdwa v0, v12, v13 dst_sel:DWORD dst_unused:UNUSED_PAD src0_sel:BYTE_0 src1_sel:DWORD
	v_or_b32_sdwa v9, v17, v9 dst_sel:WORD_1 dst_unused:UNUSED_PAD src0_sel:BYTE_0 src1_sel:DWORD
	v_or_b32_sdwa v9, v0, v9 dst_sel:DWORD dst_unused:UNUSED_PAD src0_sel:WORD_0 src1_sel:DWORD
	buffer_store_dwordx2 v[8:9], v1, s[0:3], 8 offen
	;;#ASMSTART
	s_nop 0
	;;#ASMEND
	;;#ASMSTART
	v_pk_mul_f32 v[8:9], v[10:11], v[26:27]
	;;#ASMEND
	;;#ASMSTART
	v_pk_mul_f32 v[6:7], v[6:7], v[26:27]
	;;#ASMEND
	v_cvt_i32_f32_e32 v0, v8
	v_cvt_i32_f32_sdwa v8, v9 dst_sel:BYTE_1 dst_unused:UNUSED_PAD src0_sel:DWORD
	v_cvt_i32_f32_e32 v6, v6
	v_cvt_i32_f32_sdwa v7, v7 dst_sel:BYTE_1 dst_unused:UNUSED_PAD src0_sel:DWORD
	;;#ASMSTART
	v_pk_mul_f32 v[4:5], v[4:5], v[26:27]
	;;#ASMEND
	;;#ASMSTART
	v_pk_mul_f32 v[2:3], v[2:3], v[26:27]
	;;#ASMEND
	v_cvt_i32_f32_e32 v4, v4
	v_cvt_i32_f32_sdwa v5, v5 dst_sel:BYTE_1 dst_unused:UNUSED_PAD src0_sel:DWORD
	v_cvt_i32_f32_e32 v9, v2
	v_cvt_i32_f32_sdwa v3, v3 dst_sel:BYTE_1 dst_unused:UNUSED_PAD src0_sel:DWORD
	v_or_b32_sdwa v0, v0, v8 dst_sel:DWORD dst_unused:UNUSED_PAD src0_sel:BYTE_0 src1_sel:DWORD
	v_or_b32_sdwa v2, v6, v7 dst_sel:WORD_1 dst_unused:UNUSED_PAD src0_sel:BYTE_0 src1_sel:DWORD
	v_or_b32_sdwa v2, v0, v2 dst_sel:DWORD dst_unused:UNUSED_PAD src0_sel:WORD_0 src1_sel:DWORD
	v_or_b32_sdwa v0, v4, v5 dst_sel:DWORD dst_unused:UNUSED_PAD src0_sel:BYTE_0 src1_sel:DWORD
	v_or_b32_sdwa v3, v9, v3 dst_sel:WORD_1 dst_unused:UNUSED_PAD src0_sel:BYTE_0 src1_sel:DWORD
	v_or_b32_sdwa v3, v0, v3 dst_sel:DWORD dst_unused:UNUSED_PAD src0_sel:WORD_0 src1_sel:DWORD
	buffer_store_dwordx2 v[2:3], v1, s[0:3], 16 offen
	;;#ASMSTART
	s_nop 0
	;;#ASMEND
.LBB51_49:
	s_endpgm
.LBB51_50:
                                        ; implicit-def: $vgpr26_vgpr27
	s_branch .LBB51_37
	.section	.rodata,"a",@progbits
	.p2align	6, 0x0
	.amdhsa_kernel _ZN5aiter24add_rmsnorm_quant_kernelIDF16_aLi256ELi24ELb1ELb1ELb0ELi1EEEvPT0_PT_PfS4_S4_S4_diiiiiiib
		.amdhsa_group_segment_fixed_size 32
		.amdhsa_private_segment_fixed_size 0
		.amdhsa_kernarg_size 88
		.amdhsa_user_sgpr_count 6
		.amdhsa_user_sgpr_private_segment_buffer 1
		.amdhsa_user_sgpr_dispatch_ptr 0
		.amdhsa_user_sgpr_queue_ptr 0
		.amdhsa_user_sgpr_kernarg_segment_ptr 1
		.amdhsa_user_sgpr_dispatch_id 0
		.amdhsa_user_sgpr_flat_scratch_init 0
		.amdhsa_user_sgpr_kernarg_preload_length 0
		.amdhsa_user_sgpr_kernarg_preload_offset 0
		.amdhsa_user_sgpr_private_segment_size 0
		.amdhsa_uses_dynamic_stack 0
		.amdhsa_system_sgpr_private_segment_wavefront_offset 0
		.amdhsa_system_sgpr_workgroup_id_x 1
		.amdhsa_system_sgpr_workgroup_id_y 0
		.amdhsa_system_sgpr_workgroup_id_z 0
		.amdhsa_system_sgpr_workgroup_info 0
		.amdhsa_system_vgpr_workitem_id 0
		.amdhsa_next_free_vgpr 64
		.amdhsa_next_free_sgpr 40
		.amdhsa_accum_offset 64
		.amdhsa_reserve_vcc 1
		.amdhsa_reserve_flat_scratch 0
		.amdhsa_float_round_mode_32 0
		.amdhsa_float_round_mode_16_64 0
		.amdhsa_float_denorm_mode_32 3
		.amdhsa_float_denorm_mode_16_64 3
		.amdhsa_dx10_clamp 1
		.amdhsa_ieee_mode 1
		.amdhsa_fp16_overflow 0
		.amdhsa_tg_split 0
		.amdhsa_exception_fp_ieee_invalid_op 0
		.amdhsa_exception_fp_denorm_src 0
		.amdhsa_exception_fp_ieee_div_zero 0
		.amdhsa_exception_fp_ieee_overflow 0
		.amdhsa_exception_fp_ieee_underflow 0
		.amdhsa_exception_fp_ieee_inexact 0
		.amdhsa_exception_int_div_zero 0
	.end_amdhsa_kernel
	.section	.text._ZN5aiter24add_rmsnorm_quant_kernelIDF16_aLi256ELi24ELb1ELb1ELb0ELi1EEEvPT0_PT_PfS4_S4_S4_diiiiiiib,"axG",@progbits,_ZN5aiter24add_rmsnorm_quant_kernelIDF16_aLi256ELi24ELb1ELb1ELb0ELi1EEEvPT0_PT_PfS4_S4_S4_diiiiiiib,comdat
.Lfunc_end51:
	.size	_ZN5aiter24add_rmsnorm_quant_kernelIDF16_aLi256ELi24ELb1ELb1ELb0ELi1EEEvPT0_PT_PfS4_S4_S4_diiiiiiib, .Lfunc_end51-_ZN5aiter24add_rmsnorm_quant_kernelIDF16_aLi256ELi24ELb1ELb1ELb0ELi1EEEvPT0_PT_PfS4_S4_S4_diiiiiiib
                                        ; -- End function
	.section	.AMDGPU.csdata,"",@progbits
; Kernel info:
; codeLenInByte = 4612
; NumSgprs: 44
; NumVgprs: 64
; NumAgprs: 0
; TotalNumVgprs: 64
; ScratchSize: 0
; MemoryBound: 0
; FloatMode: 240
; IeeeMode: 1
; LDSByteSize: 32 bytes/workgroup (compile time only)
; SGPRBlocks: 5
; VGPRBlocks: 7
; NumSGPRsForWavesPerEU: 44
; NumVGPRsForWavesPerEU: 64
; AccumOffset: 64
; Occupancy: 8
; WaveLimiterHint : 0
; COMPUTE_PGM_RSRC2:SCRATCH_EN: 0
; COMPUTE_PGM_RSRC2:USER_SGPR: 6
; COMPUTE_PGM_RSRC2:TRAP_HANDLER: 0
; COMPUTE_PGM_RSRC2:TGID_X_EN: 1
; COMPUTE_PGM_RSRC2:TGID_Y_EN: 0
; COMPUTE_PGM_RSRC2:TGID_Z_EN: 0
; COMPUTE_PGM_RSRC2:TIDIG_COMP_CNT: 0
; COMPUTE_PGM_RSRC3_GFX90A:ACCUM_OFFSET: 15
; COMPUTE_PGM_RSRC3_GFX90A:TG_SPLIT: 0
	.section	.text._ZN5aiter24add_rmsnorm_quant_kernelItaLi256ELi24ELb1ELb1ELb0ELi1EEEvPT0_PT_PfS4_S4_S4_diiiiiiib,"axG",@progbits,_ZN5aiter24add_rmsnorm_quant_kernelItaLi256ELi24ELb1ELb1ELb0ELi1EEEvPT0_PT_PfS4_S4_S4_diiiiiiib,comdat
	.protected	_ZN5aiter24add_rmsnorm_quant_kernelItaLi256ELi24ELb1ELb1ELb0ELi1EEEvPT0_PT_PfS4_S4_S4_diiiiiiib ; -- Begin function _ZN5aiter24add_rmsnorm_quant_kernelItaLi256ELi24ELb1ELb1ELb0ELi1EEEvPT0_PT_PfS4_S4_S4_diiiiiiib
	.globl	_ZN5aiter24add_rmsnorm_quant_kernelItaLi256ELi24ELb1ELb1ELb0ELi1EEEvPT0_PT_PfS4_S4_S4_diiiiiiib
	.p2align	8
	.type	_ZN5aiter24add_rmsnorm_quant_kernelItaLi256ELi24ELb1ELb1ELb0ELi1EEEvPT0_PT_PfS4_S4_S4_diiiiiiib,@function
_ZN5aiter24add_rmsnorm_quant_kernelItaLi256ELi24ELb1ELb1ELb0ELi1EEEvPT0_PT_PfS4_S4_S4_diiiiiiib: ; @_ZN5aiter24add_rmsnorm_quant_kernelItaLi256ELi24ELb1ELb1ELb0ELi1EEEvPT0_PT_PfS4_S4_S4_diiiiiiib
; %bb.0:
	s_load_dwordx8 s[8:15], s[4:5], 0x38
	s_mov_b32 s7, 0
	s_waitcnt lgkmcnt(0)
	s_ashr_i32 s0, s8, 31
	v_mov_b32_e32 v2, s8
	v_mov_b32_e32 v3, s0
	v_cmp_ge_i64_e32 vcc, s[6:7], v[2:3]
	s_cbranch_vccnz .LBB52_49
; %bb.1:
	s_load_dwordx8 s[16:23], s[4:5], 0x0
	s_ashr_i32 s0, s10, 31
	s_mul_hi_u32 s1, s10, s6
	s_mul_i32 s0, s0, s6
	s_add_i32 s1, s1, s0
	s_mul_i32 s0, s10, s6
	s_lshl_b64 s[0:1], s[0:1], 1
	s_waitcnt lgkmcnt(0)
	s_add_u32 s0, s22, s0
	s_addc_u32 s1, s23, s1
	s_add_i32 s2, s9, 1
	s_lshr_b32 s3, s2, 31
	s_add_i32 s2, s2, s3
	s_lshl_b32 s2, s2, 1
	s_load_dwordx8 s[24:31], s[4:5], 0x20
	s_and_b32 s2, s2, -4
	s_and_b32 s1, s1, 0xffff
	s_mov_b32 s3, 0x20000
	v_mul_u32_u24_e32 v1, 48, v0
	buffer_load_dwordx4 v[34:37], v1, s[0:3], 16 offen
	buffer_load_dwordx4 v[14:17], v1, s[0:3], 0 offen
	;; [unrolled: 1-line block ×3, first 2 shown]
	s_ashr_i32 s0, s11, 31
	s_mul_hi_u32 s1, s11, s6
	s_mul_i32 s0, s0, s6
	s_add_i32 s1, s1, s0
	s_mul_i32 s0, s11, s6
	s_waitcnt lgkmcnt(0)
	s_and_b32 s37, s27, 0xffff
	s_lshl_b64 s[0:1], s[0:1], 1
	s_add_u32 s0, s24, s0
	s_addc_u32 s1, s25, s1
	s_and_b32 s1, s1, 0xffff
	buffer_load_dwordx4 v[30:33], v1, s[0:3], 16 offen
	buffer_load_dwordx4 v[22:25], v1, s[0:3], 32 offen
	;; [unrolled: 1-line block ×3, first 2 shown]
	s_mov_b32 s39, s3
	s_mov_b32 s36, s26
	;; [unrolled: 1-line block ×3, first 2 shown]
	buffer_load_dwordx4 v[10:13], v1, s[36:39], 0 offen
	buffer_load_dwordx4 v[6:9], v1, s[36:39], 16 offen
	buffer_load_dwordx4 v[2:5], v1, s[36:39], 32 offen
	s_ashr_i32 s4, s12, 31
	s_mul_hi_u32 s1, s12, s6
	s_mul_i32 s4, s4, s6
	s_mul_i32 s0, s12, s6
	s_add_i32 s1, s1, s4
	s_lshl_b64 s[0:1], s[0:1], 1
	s_add_u32 s0, s18, s0
	s_addc_u32 s1, s19, s1
	s_mov_b32 s4, 0x7060302
	s_and_b32 s1, s1, 0xffff
	s_waitcnt vmcnt(8)
	v_cvt_f32_u32_sdwa v39, v34 dst_sel:DWORD dst_unused:UNUSED_PAD src0_sel:WORD_1
	v_cvt_f32_u32_sdwa v38, v34 dst_sel:DWORD dst_unused:UNUSED_PAD src0_sel:WORD_0
	v_cvt_f32_u32_sdwa v41, v35 dst_sel:DWORD dst_unused:UNUSED_PAD src0_sel:WORD_1
	v_cvt_f32_u32_sdwa v40, v35 dst_sel:DWORD dst_unused:UNUSED_PAD src0_sel:WORD_0
	v_cvt_f32_u32_sdwa v35, v36 dst_sel:DWORD dst_unused:UNUSED_PAD src0_sel:WORD_1
	v_cvt_f32_u32_sdwa v34, v36 dst_sel:DWORD dst_unused:UNUSED_PAD src0_sel:WORD_0
	v_cvt_f32_u32_sdwa v43, v37 dst_sel:DWORD dst_unused:UNUSED_PAD src0_sel:WORD_1
	v_cvt_f32_u32_sdwa v42, v37 dst_sel:DWORD dst_unused:UNUSED_PAD src0_sel:WORD_0
	s_waitcnt vmcnt(6)
	v_cvt_f32_u32_sdwa v37, v26 dst_sel:DWORD dst_unused:UNUSED_PAD src0_sel:WORD_1
	v_cvt_f32_u32_sdwa v36, v26 dst_sel:DWORD dst_unused:UNUSED_PAD src0_sel:WORD_0
	v_cvt_f32_u32_sdwa v45, v27 dst_sel:DWORD dst_unused:UNUSED_PAD src0_sel:WORD_1
	v_cvt_f32_u32_sdwa v44, v27 dst_sel:DWORD dst_unused:UNUSED_PAD src0_sel:WORD_0
	v_cvt_f32_u32_sdwa v47, v28 dst_sel:DWORD dst_unused:UNUSED_PAD src0_sel:WORD_1
	v_cvt_f32_u32_sdwa v46, v28 dst_sel:DWORD dst_unused:UNUSED_PAD src0_sel:WORD_0
	v_cvt_f32_u32_sdwa v49, v29 dst_sel:DWORD dst_unused:UNUSED_PAD src0_sel:WORD_1
	v_cvt_f32_u32_sdwa v48, v29 dst_sel:DWORD dst_unused:UNUSED_PAD src0_sel:WORD_0
	;; [unrolled: 9-line block ×4, first 2 shown]
	v_cvt_f32_u32_sdwa v61, v25 dst_sel:DWORD dst_unused:UNUSED_PAD src0_sel:WORD_1
	v_cvt_f32_u32_sdwa v60, v25 dst_sel:DWORD dst_unused:UNUSED_PAD src0_sel:WORD_0
	v_cvt_f32_u32_sdwa v63, v15 dst_sel:DWORD dst_unused:UNUSED_PAD src0_sel:WORD_1
	v_cvt_f32_u32_sdwa v62, v15 dst_sel:DWORD dst_unused:UNUSED_PAD src0_sel:WORD_0
	;; [unrolled: 2-line block ×3, first 2 shown]
	v_pk_add_f32 v[24:25], v[38:39], v[26:27]
	s_waitcnt vmcnt(3)
	v_cvt_f32_u32_sdwa v39, v18 dst_sel:DWORD dst_unused:UNUSED_PAD src0_sel:WORD_1
	v_cvt_f32_u32_sdwa v38, v18 dst_sel:DWORD dst_unused:UNUSED_PAD src0_sel:WORD_0
	v_pk_add_f32 v[28:29], v[40:41], v[28:29]
	v_cvt_f32_u32_sdwa v41, v19 dst_sel:DWORD dst_unused:UNUSED_PAD src0_sel:WORD_1
	v_cvt_f32_u32_sdwa v40, v19 dst_sel:DWORD dst_unused:UNUSED_PAD src0_sel:WORD_0
	v_pk_add_f32 v[32:33], v[34:35], v[30:31]
	v_pk_add_f32 v[30:31], v[42:43], v[52:53]
	;; [unrolled: 1-line block ×3, first 2 shown]
	v_cvt_f32_u32_sdwa v35, v20 dst_sel:DWORD dst_unused:UNUSED_PAD src0_sel:WORD_1
	v_cvt_f32_u32_sdwa v34, v20 dst_sel:DWORD dst_unused:UNUSED_PAD src0_sel:WORD_0
	v_cvt_f32_u32_sdwa v43, v17 dst_sel:DWORD dst_unused:UNUSED_PAD src0_sel:WORD_1
	v_cvt_f32_u32_sdwa v42, v17 dst_sel:DWORD dst_unused:UNUSED_PAD src0_sel:WORD_0
	;; [unrolled: 2-line block ×3, first 2 shown]
	v_pk_add_f32 v[26:27], v[36:37], v[54:55]
	v_pk_add_f32 v[36:37], v[50:51], v[38:39]
	;; [unrolled: 1-line block ×5, first 2 shown]
	v_perm_b32 v41, v35, v34, s4
	v_perm_b32 v40, v17, v16, s4
	;; [unrolled: 1-line block ×4, first 2 shown]
	v_pk_add_f32 v[18:19], v[46:47], v[58:59]
	v_pk_add_f32 v[14:15], v[48:49], v[60:61]
	buffer_store_dwordx4 v[38:41], v1, s[0:3], 0 offen
	;;#ASMSTART
	s_nop 0
	;;#ASMEND
	v_pk_mul_f32 v[42:43], v[16:17], v[16:17]
	v_perm_b32 v41, v31, v30, s4
	v_perm_b32 v40, v33, v32, s4
	;; [unrolled: 1-line block ×4, first 2 shown]
	buffer_store_dwordx4 v[38:41], v1, s[0:3], 16 offen
	;;#ASMSTART
	s_nop 0
	;;#ASMEND
	v_pk_mul_f32 v[44:45], v[34:35], v[34:35]
	v_perm_b32 v41, v15, v14, s4
	v_perm_b32 v40, v19, v18, s4
	;; [unrolled: 1-line block ×4, first 2 shown]
	buffer_store_dwordx4 v[38:41], v1, s[0:3], 32 offen
	v_pk_mul_f32 v[46:47], v[24:25], v[24:25]
	v_pk_mul_f32 v[38:39], v[36:37], v[36:37]
	;; [unrolled: 1-line block ×3, first 2 shown]
	v_add_f32_e32 v1, v38, v39
	v_add_f32_e32 v1, v40, v1
	;; [unrolled: 1-line block ×8, first 2 shown]
	v_pk_mul_f32 v[48:49], v[28:29], v[28:29]
	v_add_f32_e32 v1, v47, v1
	v_add_f32_e32 v1, v48, v1
	v_pk_mul_f32 v[50:51], v[32:33], v[32:33]
	v_add_f32_e32 v1, v49, v1
	v_add_f32_e32 v1, v50, v1
	;; [unrolled: 3-line block ×7, first 2 shown]
	v_add_f32_e32 v1, v39, v1
	v_and_b32_e32 v39, 63, v0
	v_cmp_eq_u32_e64 s[0:1], 63, v39
	v_mov_b32_dpp v38, v1 quad_perm:[1,0,3,2] row_mask:0xf bank_mask:0xf
	v_add_f32_e32 v1, v1, v38
	;;#ASMSTART
	s_nop 0
	;;#ASMEND
	s_nop 1
	v_mov_b32_dpp v38, v1 quad_perm:[2,3,0,1] row_mask:0xf bank_mask:0xf
	v_add_f32_e32 v1, v1, v38
	s_nop 1
	v_mov_b32_dpp v38, v1 row_half_mirror row_mask:0xf bank_mask:0xf
	v_add_f32_e32 v1, v1, v38
	s_nop 1
	v_mov_b32_dpp v38, v1 row_mirror row_mask:0xf bank_mask:0xf
	v_add_f32_e32 v1, v1, v38
	s_nop 1
	v_mov_b32_dpp v38, v1 row_bcast:15 row_mask:0xf bank_mask:0xf
	v_add_f32_e32 v1, v1, v38
	s_nop 1
	v_mov_b32_dpp v38, v1 row_bcast:31 row_mask:0xf bank_mask:0xf
	s_and_saveexec_b64 s[2:3], s[0:1]
	s_cbranch_execz .LBB52_3
; %bb.2:
	v_lshrrev_b32_e32 v39, 4, v0
	v_and_b32_e32 v39, 60, v39
	v_add_f32_e32 v1, v1, v38
	ds_write_b32 v39, v1 offset:16
.LBB52_3:
	s_or_b64 exec, exec, s[2:3]
	v_and_b32_e32 v1, 3, v0
	v_lshlrev_b32_e32 v38, 2, v1
	s_waitcnt lgkmcnt(0)
	s_barrier
	ds_read_b32 v1, v38 offset:16
	v_cvt_f32_i32_e32 v39, s9
	s_waitcnt vmcnt(5)
	v_cvt_f32_u32_sdwa v49, v13 dst_sel:DWORD dst_unused:UNUSED_PAD src0_sel:WORD_1
	v_cvt_f32_u32_sdwa v48, v13 dst_sel:DWORD dst_unused:UNUSED_PAD src0_sel:WORD_0
	s_waitcnt vmcnt(4)
	v_cvt_f32_u32_sdwa v13, v7 dst_sel:DWORD dst_unused:UNUSED_PAD src0_sel:WORD_1
	s_waitcnt lgkmcnt(0)
	v_mov_b32_dpp v40, v1 quad_perm:[1,0,3,2] row_mask:0xf bank_mask:0xf
	v_add_f32_e32 v1, v1, v40
	s_cmp_lg_u32 s14, 0
	s_nop 0
	v_mov_b32_dpp v40, v1 quad_perm:[2,3,0,1] row_mask:0xf bank_mask:0xf
	v_add_f32_e32 v1, v1, v40
	v_div_scale_f32 v40, s[2:3], v39, v39, v1
	v_rcp_f32_e32 v41, v40
	v_div_scale_f32 v42, vcc, v1, v39, v1
	s_mov_b32 s2, 0x800000
	v_fma_f32 v43, -v40, v41, 1.0
	v_fmac_f32_e32 v41, v43, v41
	v_mul_f32_e32 v43, v42, v41
	v_fma_f32 v44, -v40, v43, v42
	v_fmac_f32_e32 v43, v44, v41
	v_fma_f32 v40, -v40, v43, v42
	v_div_fmas_f32 v40, v40, v41, v43
	v_div_fixup_f32 v1, v40, v39, v1
	v_cvt_f64_f32_e32 v[40:41], v1
	v_add_f64 v[40:41], v[40:41], s[28:29]
	v_cvt_f32_f64_e32 v1, v[40:41]
	v_mul_f32_e32 v39, 0x4b800000, v1
	v_cmp_gt_f32_e32 vcc, s2, v1
	v_cndmask_b32_e32 v1, v1, v39, vcc
	v_rsq_f32_e32 v39, v1
	v_mul_u32_u24_e32 v1, 24, v0
	v_mul_f32_e32 v40, 0x45800000, v39
	v_cndmask_b32_e32 v40, v39, v40, vcc
	v_mov_b32_e32 v41, v40
	;;#ASMSTART
	v_pk_mul_f32 v[36:37], v[36:37], v[40:41]
	;;#ASMEND
	;;#ASMSTART
	v_pk_mul_f32 v[20:21], v[20:21], v[40:41]
	;;#ASMEND
	;; [unrolled: 3-line block ×12, first 2 shown]
	v_cvt_f32_u32_sdwa v15, v10 dst_sel:DWORD dst_unused:UNUSED_PAD src0_sel:WORD_1
	v_cvt_f32_u32_sdwa v14, v10 dst_sel:DWORD dst_unused:UNUSED_PAD src0_sel:WORD_0
	v_cvt_f32_u32_sdwa v19, v11 dst_sel:DWORD dst_unused:UNUSED_PAD src0_sel:WORD_1
	v_cvt_f32_u32_sdwa v18, v11 dst_sel:DWORD dst_unused:UNUSED_PAD src0_sel:WORD_0
	;; [unrolled: 2-line block ×3, first 2 shown]
	;;#ASMSTART
	v_pk_mul_f32 v[24:25], v[36:37], v[14:15]
	;;#ASMEND
	;;#ASMSTART
	v_pk_mul_f32 v[22:23], v[20:21], v[18:19]
	;;#ASMEND
	;; [unrolled: 3-line block ×3, first 2 shown]
	v_cvt_f32_u32_sdwa v11, v6 dst_sel:DWORD dst_unused:UNUSED_PAD src0_sel:WORD_1
	v_cvt_f32_u32_sdwa v10, v6 dst_sel:DWORD dst_unused:UNUSED_PAD src0_sel:WORD_0
	v_cvt_f32_u32_sdwa v12, v7 dst_sel:DWORD dst_unused:UNUSED_PAD src0_sel:WORD_0
	v_cvt_f32_u32_sdwa v7, v8 dst_sel:DWORD dst_unused:UNUSED_PAD src0_sel:WORD_1
	v_cvt_f32_u32_sdwa v6, v8 dst_sel:DWORD dst_unused:UNUSED_PAD src0_sel:WORD_0
	;;#ASMSTART
	v_pk_mul_f32 v[16:17], v[34:35], v[48:49]
	;;#ASMEND
	;;#ASMSTART
	v_pk_mul_f32 v[20:21], v[42:43], v[10:11]
	;;#ASMEND
	;; [unrolled: 3-line block ×4, first 2 shown]
	s_waitcnt vmcnt(3)
	v_cvt_f32_u32_sdwa v7, v2 dst_sel:DWORD dst_unused:UNUSED_PAD src0_sel:WORD_1
	v_cvt_f32_u32_sdwa v6, v2 dst_sel:DWORD dst_unused:UNUSED_PAD src0_sel:WORD_0
	v_cvt_f32_u32_sdwa v28, v3 dst_sel:DWORD dst_unused:UNUSED_PAD src0_sel:WORD_0
	v_cvt_f32_u32_sdwa v35, v9 dst_sel:DWORD dst_unused:UNUSED_PAD src0_sel:WORD_1
	v_cvt_f32_u32_sdwa v34, v9 dst_sel:DWORD dst_unused:UNUSED_PAD src0_sel:WORD_0
	;;#ASMSTART
	v_pk_mul_f32 v[8:9], v[30:31], v[34:35]
	;;#ASMEND
	v_cvt_f32_u32_sdwa v29, v3 dst_sel:DWORD dst_unused:UNUSED_PAD src0_sel:WORD_1
	v_cvt_f32_u32_sdwa v3, v4 dst_sel:DWORD dst_unused:UNUSED_PAD src0_sel:WORD_1
	v_cvt_f32_u32_sdwa v2, v4 dst_sel:DWORD dst_unused:UNUSED_PAD src0_sel:WORD_0
	;;#ASMSTART
	v_pk_mul_f32 v[10:11], v[26:27], v[6:7]
	;;#ASMEND
	;;#ASMSTART
	v_pk_mul_f32 v[6:7], v[44:45], v[28:29]
	;;#ASMEND
	v_and_b32_e32 v26, 0x7fffffff, v24
	v_mov_b32_e32 v28, 0x2edbe6ff
	v_cvt_f32_u32_sdwa v31, v5 dst_sel:DWORD dst_unused:UNUSED_PAD src0_sel:WORD_1
	v_cvt_f32_u32_sdwa v30, v5 dst_sel:DWORD dst_unused:UNUSED_PAD src0_sel:WORD_0
	;;#ASMSTART
	v_pk_mul_f32 v[4:5], v[46:47], v[2:3]
	;;#ASMEND
	;;#ASMSTART
	v_pk_mul_f32 v[2:3], v[40:41], v[30:31]
	;;#ASMEND
	v_and_b32_e32 v27, 0x7fffffff, v25
	;;#ASMSTART
	v_max3_f32 v26, v28, v26, v27

	;;#ASMEND
	v_and_b32_e32 v28, 0x7fffffff, v23
	v_and_b32_e32 v27, 0x7fffffff, v22
	;;#ASMSTART
	v_max3_f32 v26, v26, v27, v28

	;;#ASMEND
	v_and_b32_e32 v28, 0x7fffffff, v19
	;; [unrolled: 6-line block ×11, first 2 shown]
	v_and_b32_e32 v27, 0x7fffffff, v2
	;;#ASMSTART
	v_max3_f32 v28, v26, v27, v28

	;;#ASMEND
	s_cbranch_scc0 .LBB52_10
; %bb.4:
	s_mul_hi_i32 s2, s14, 0x2aaaaaab
	s_lshr_b32 s3, s2, 31
	s_ashr_i32 s10, s2, 2
	s_add_i32 s10, s10, s3
	s_cmp_lt_i32 s10, 16
	s_cbranch_scc1 .LBB52_11
; %bb.5:
	s_cmp_lt_i32 s10, 32
	s_cbranch_scc1 .LBB52_12
; %bb.6:
	;; [unrolled: 3-line block ×3, first 2 shown]
	s_cmp_eq_u32 s10, 64
	v_mov_b32_e32 v26, v28
	s_cbranch_scc0 .LBB52_9
; %bb.8:
	s_nop 0
	v_mov_b32_dpp v26, v28 quad_perm:[1,0,3,2] row_mask:0xf bank_mask:0xf
	v_cmp_gt_f32_e32 vcc, v28, v26
	v_cndmask_b32_e32 v26, v26, v28, vcc
	v_bfrev_b32_e32 v29, 0.5
	s_nop 0
	v_mov_b32_dpp v27, v26 quad_perm:[2,3,0,1] row_mask:0xf bank_mask:0xf
	v_cmp_gt_f32_e32 vcc, v26, v27
	v_cndmask_b32_e32 v26, v27, v26, vcc
	s_nop 1
	v_mov_b32_dpp v27, v26 row_ror:4 row_mask:0xf bank_mask:0xf
	v_cmp_gt_f32_e32 vcc, v26, v27
	v_cndmask_b32_e32 v26, v27, v26, vcc
	s_nop 1
	v_mov_b32_dpp v27, v26 row_ror:8 row_mask:0xf bank_mask:0xf
	v_cmp_gt_f32_e32 vcc, v26, v27
	v_cndmask_b32_e32 v26, v27, v26, vcc
	s_nop 1
	v_mov_b32_dpp v27, v26 row_bcast:15 row_mask:0xf bank_mask:0xf
	v_cmp_gt_f32_e32 vcc, v26, v27
	v_cndmask_b32_e32 v26, v27, v26, vcc
	s_nop 1
	v_mov_b32_dpp v27, v26 row_bcast:31 row_mask:0xf bank_mask:0xf
	v_cmp_gt_f32_e32 vcc, v26, v27
	v_cndmask_b32_e32 v26, v27, v26, vcc
	v_mbcnt_lo_u32_b32 v27, -1, 0
	v_mbcnt_hi_u32_b32 v27, -1, v27
	v_lshl_or_b32 v27, v27, 2, v29
	ds_bpermute_b32 v26, v27, v26
.LBB52_9:
	s_mov_b64 s[2:3], 0
	s_branch .LBB52_14
.LBB52_10:
	s_mov_b64 s[2:3], 0
                                        ; implicit-def: $vgpr29
                                        ; implicit-def: $vgpr26_vgpr27
	s_cbranch_execnz .LBB52_43
	s_branch .LBB52_46
.LBB52_11:
                                        ; implicit-def: $vgpr26
	s_branch .LBB52_21
.LBB52_12:
                                        ; implicit-def: $vgpr26
	s_branch .LBB52_18
.LBB52_13:
	s_mov_b64 s[2:3], -1
                                        ; implicit-def: $vgpr26
.LBB52_14:
	s_andn2_b64 vcc, exec, s[2:3]
	s_cbranch_vccnz .LBB52_17
; %bb.15:
	s_cmp_eq_u32 s10, 32
	s_waitcnt lgkmcnt(0)
	v_mov_b32_e32 v26, v28
	s_cbranch_scc0 .LBB52_17
; %bb.16:
	s_nop 0
	v_mov_b32_dpp v26, v28 quad_perm:[1,0,3,2] row_mask:0xf bank_mask:0xf
	v_cmp_gt_f32_e32 vcc, v28, v26
	v_cndmask_b32_e32 v26, v26, v28, vcc
	v_mov_b32_e32 v29, 0x7c
	s_nop 0
	v_mov_b32_dpp v27, v26 quad_perm:[2,3,0,1] row_mask:0xf bank_mask:0xf
	v_cmp_gt_f32_e32 vcc, v26, v27
	v_cndmask_b32_e32 v26, v27, v26, vcc
	s_nop 1
	v_mov_b32_dpp v27, v26 row_half_mirror row_mask:0xf bank_mask:0xf
	v_cmp_gt_f32_e32 vcc, v26, v27
	v_cndmask_b32_e32 v26, v27, v26, vcc
	s_nop 1
	v_mov_b32_dpp v27, v26 row_mirror row_mask:0xf bank_mask:0xf
	v_cmp_gt_f32_e32 vcc, v26, v27
	v_cndmask_b32_e32 v26, v27, v26, vcc
	s_nop 1
	v_mov_b32_dpp v27, v26 row_bcast:15 row_mask:0xa bank_mask:0xf
	v_cmp_gt_f32_e32 vcc, v26, v27
	v_cndmask_b32_e32 v26, v27, v26, vcc
	v_mbcnt_lo_u32_b32 v27, -1, 0
	v_mbcnt_hi_u32_b32 v27, -1, v27
	v_lshl_or_b32 v27, v27, 2, v29
	ds_bpermute_b32 v26, v27, v26
.LBB52_17:
	s_cbranch_execnz .LBB52_20
.LBB52_18:
	s_cmp_eq_u32 s10, 16
	s_waitcnt lgkmcnt(0)
	v_mov_b32_e32 v26, v28
	s_cbranch_scc0 .LBB52_20
; %bb.19:
	s_nop 0
	v_mov_b32_dpp v26, v28 quad_perm:[1,0,3,2] row_mask:0xf bank_mask:0xf
	v_cmp_gt_f32_e32 vcc, v28, v26
	v_cndmask_b32_e32 v26, v26, v28, vcc
	s_nop 1
	v_mov_b32_dpp v27, v26 quad_perm:[2,3,0,1] row_mask:0xf bank_mask:0xf
	v_cmp_gt_f32_e32 vcc, v26, v27
	v_cndmask_b32_e32 v26, v27, v26, vcc
	s_nop 1
	v_mov_b32_dpp v27, v26 row_half_mirror row_mask:0xf bank_mask:0xf
	v_cmp_gt_f32_e32 vcc, v26, v27
	v_cndmask_b32_e32 v26, v27, v26, vcc
	s_nop 1
	v_mov_b32_dpp v27, v26 row_mirror row_mask:0xf bank_mask:0xf
	v_cmp_gt_f32_e32 vcc, v26, v27
	v_cndmask_b32_e32 v26, v27, v26, vcc
.LBB52_20:
	s_cbranch_execnz .LBB52_33
.LBB52_21:
	s_cmp_lt_i32 s10, 4
	s_cbranch_scc1 .LBB52_25
; %bb.22:
	s_cmp_lt_i32 s10, 8
	s_cbranch_scc1 .LBB52_26
; %bb.23:
	s_cmp_eq_u32 s10, 8
	s_waitcnt lgkmcnt(0)
	v_mov_b32_e32 v26, v28
	s_cbranch_scc0 .LBB52_27
; %bb.24:
	s_nop 0
	v_mov_b32_dpp v26, v28 quad_perm:[1,0,3,2] row_mask:0xf bank_mask:0xf
	v_cmp_gt_f32_e32 vcc, v28, v26
	v_cndmask_b32_e32 v26, v26, v28, vcc
	s_nop 1
	v_mov_b32_dpp v27, v26 quad_perm:[2,3,0,1] row_mask:0xf bank_mask:0xf
	v_cmp_gt_f32_e32 vcc, v26, v27
	v_cndmask_b32_e32 v26, v27, v26, vcc
	s_nop 1
	v_mov_b32_dpp v27, v26 row_half_mirror row_mask:0xf bank_mask:0xf
	v_cmp_gt_f32_e32 vcc, v26, v27
	v_cndmask_b32_e32 v26, v27, v26, vcc
	s_cbranch_execz .LBB52_28
	s_branch .LBB52_30
.LBB52_25:
                                        ; implicit-def: $vgpr26
	s_branch .LBB52_31
.LBB52_26:
                                        ; implicit-def: $vgpr26
	s_branch .LBB52_28
.LBB52_27:
	s_cbranch_execnz .LBB52_30
.LBB52_28:
	s_cmp_eq_u32 s10, 4
	s_waitcnt lgkmcnt(0)
	v_mov_b32_e32 v26, v28
	s_cbranch_scc0 .LBB52_30
; %bb.29:
	s_nop 0
	v_mov_b32_dpp v26, v28 quad_perm:[1,0,3,2] row_mask:0xf bank_mask:0xf
	v_cmp_gt_f32_e32 vcc, v28, v26
	v_cndmask_b32_e32 v26, v26, v28, vcc
	s_nop 1
	v_mov_b32_dpp v27, v26 quad_perm:[2,3,0,1] row_mask:0xf bank_mask:0xf
	v_cmp_gt_f32_e32 vcc, v26, v27
	v_cndmask_b32_e32 v26, v27, v26, vcc
.LBB52_30:
	s_cbranch_execnz .LBB52_33
.LBB52_31:
	s_cmp_lg_u32 s10, 2
	s_waitcnt lgkmcnt(0)
	v_mov_b32_e32 v26, v28
	s_cbranch_scc1 .LBB52_33
; %bb.32:
	s_nop 0
	v_mov_b32_dpp v26, v28 quad_perm:[1,0,3,2] row_mask:0xf bank_mask:0xf
	v_cmp_gt_f32_e32 vcc, v28, v26
	v_cndmask_b32_e32 v26, v26, v28, vcc
.LBB52_33:
	v_cvt_f32_u32_e32 v27, s10
	s_waitcnt lgkmcnt(0)
	v_mul_f32_e32 v29, 0x3c010204, v26
	s_sub_i32 s2, 0, s10
	v_cmp_gt_u32_e32 vcc, s9, v1
	v_rcp_iflag_f32_e32 v27, v27
	s_mov_b64 s[4:5], 0
	v_mul_f32_e32 v26, 0x4f7ffffe, v27
	v_cvt_u32_f32_e32 v26, v26
	v_mul_lo_u32 v27, s2, v26
	v_mul_hi_u32 v27, v26, v27
	v_add_u32_e32 v26, v26, v27
	v_mul_hi_u32 v26, v0, v26
	v_mul_lo_u32 v27, v26, s10
	v_sub_u32_e32 v27, v0, v27
	v_add_u32_e32 v30, 1, v26
	v_cmp_le_u32_e64 s[2:3], s10, v27
	v_cndmask_b32_e64 v26, v26, v30, s[2:3]
	v_subrev_u32_e32 v30, s10, v27
	v_cndmask_b32_e64 v27, v27, v30, s[2:3]
	v_add_u32_e32 v30, 1, v26
	v_cmp_le_u32_e64 s[2:3], s10, v27
	v_cndmask_b32_e64 v30, v26, v30, s[2:3]
	v_mul_lo_u32 v26, v30, s10
	v_sub_u32_e32 v26, v0, v26
	v_cmp_eq_u32_e64 s[2:3], 0, v26
	s_and_b64 s[10:11], s[2:3], vcc
	s_mov_b64 s[2:3], 0
                                        ; implicit-def: $vgpr26_vgpr27
	s_and_saveexec_b64 s[18:19], s[10:11]
	s_xor_b64 s[10:11], exec, s[18:19]
	s_cbranch_execz .LBB52_42
; %bb.34:
	s_bitcmp0_b32 s15, 0
	s_cbranch_scc0 .LBB52_39
; %bb.35:
	s_ashr_i32 s2, s9, 31
	s_mul_hi_u32 s3, s9, s6
	s_mul_i32 s2, s2, s6
	s_add_i32 s19, s3, s2
	s_mul_i32 s18, s9, s6
	s_ashr_i32 s15, s14, 31
	s_or_b64 s[2:3], s[18:19], s[14:15]
	s_mov_b32 s2, 0
	s_cmp_lg_u64 s[2:3], 0
	s_cbranch_scc0 .LBB52_50
; %bb.36:
	s_add_u32 s2, s14, s15
	s_mov_b32 s24, s15
	s_mov_b32 s25, s15
	s_addc_u32 s3, s15, s15
	s_xor_b64 s[26:27], s[2:3], s[24:25]
	v_cvt_f32_u32_e32 v26, s26
	v_cvt_f32_u32_e32 v27, s27
	s_sub_u32 s2, 0, s26
	s_subb_u32 s3, 0, s27
	v_madmk_f32 v26, v27, 0x4f800000, v26
	v_rcp_f32_e32 v26, v26
	v_mul_f32_e32 v26, 0x5f7ffffc, v26
	v_mul_f32_e32 v27, 0x2f800000, v26
	v_trunc_f32_e32 v27, v27
	v_madmk_f32 v26, v27, 0xcf800000, v26
	v_cvt_u32_f32_e32 v27, v27
	v_cvt_u32_f32_e32 v26, v26
	v_readfirstlane_b32 s12, v27
	v_readfirstlane_b32 s15, v26
	s_mul_i32 s28, s2, s12
	s_mul_hi_u32 s30, s2, s15
	s_mul_i32 s29, s3, s15
	s_add_i32 s28, s30, s28
	s_add_i32 s28, s28, s29
	s_mul_i32 s31, s2, s15
	s_mul_hi_u32 s29, s15, s28
	s_mul_i32 s30, s15, s28
	s_mul_hi_u32 s15, s15, s31
	s_add_u32 s15, s15, s30
	s_addc_u32 s29, 0, s29
	s_mul_hi_u32 s33, s12, s31
	s_mul_i32 s31, s12, s31
	s_add_u32 s15, s15, s31
	s_mul_hi_u32 s30, s12, s28
	s_addc_u32 s15, s29, s33
	s_addc_u32 s29, s30, 0
	s_mul_i32 s28, s12, s28
	s_add_u32 s15, s15, s28
	s_addc_u32 s28, 0, s29
	v_add_co_u32_e32 v26, vcc, s15, v26
	s_cmp_lg_u64 vcc, 0
	s_addc_u32 s12, s12, s28
	v_readfirstlane_b32 s28, v26
	s_mul_i32 s15, s2, s12
	s_mul_hi_u32 s29, s2, s28
	s_add_i32 s15, s29, s15
	s_mul_i32 s3, s3, s28
	s_add_i32 s15, s15, s3
	s_mul_i32 s2, s2, s28
	s_mul_hi_u32 s29, s12, s2
	s_mul_i32 s30, s12, s2
	s_mul_i32 s33, s28, s15
	s_mul_hi_u32 s2, s28, s2
	s_mul_hi_u32 s31, s28, s15
	s_add_u32 s2, s2, s33
	s_addc_u32 s28, 0, s31
	s_add_u32 s2, s2, s30
	s_mul_hi_u32 s3, s12, s15
	s_addc_u32 s2, s28, s29
	s_addc_u32 s3, s3, 0
	s_mul_i32 s15, s12, s15
	s_add_u32 s2, s2, s15
	s_addc_u32 s3, 0, s3
	v_add_co_u32_e32 v26, vcc, s2, v26
	s_cmp_lg_u64 vcc, 0
	s_addc_u32 s12, s12, s3
	s_ashr_i32 s28, s19, 31
	s_add_u32 s2, s18, s28
	s_mov_b32 s29, s28
	s_addc_u32 s3, s19, s28
	s_xor_b64 s[30:31], s[2:3], s[28:29]
	v_readfirstlane_b32 s15, v26
	s_mul_i32 s3, s30, s12
	s_mul_hi_u32 s19, s30, s15
	s_mul_hi_u32 s2, s30, s12
	s_add_u32 s3, s19, s3
	s_addc_u32 s2, 0, s2
	s_mul_hi_u32 s33, s31, s15
	s_mul_i32 s15, s31, s15
	s_add_u32 s3, s3, s15
	s_mul_hi_u32 s19, s31, s12
	s_addc_u32 s2, s2, s33
	s_addc_u32 s3, s19, 0
	s_mul_i32 s12, s31, s12
	s_add_u32 s12, s2, s12
	s_addc_u32 s15, 0, s3
	s_mul_i32 s2, s26, s15
	s_mul_hi_u32 s3, s26, s12
	s_add_i32 s2, s3, s2
	s_mul_i32 s3, s27, s12
	s_add_i32 s19, s2, s3
	s_mul_i32 s3, s26, s12
	v_mov_b32_e32 v26, s3
	s_sub_i32 s2, s31, s19
	v_sub_co_u32_e32 v26, vcc, s30, v26
	s_cmp_lg_u64 vcc, 0
	s_subb_u32 s30, s2, s27
	v_subrev_co_u32_e64 v27, s[2:3], s26, v26
	s_cmp_lg_u64 s[2:3], 0
	s_subb_u32 s30, s30, 0
	s_cmp_ge_u32 s30, s27
	s_cselect_b32 s33, -1, 0
	v_cmp_le_u32_e64 s[2:3], s26, v27
	s_cmp_eq_u32 s30, s27
	v_cndmask_b32_e64 v27, 0, -1, s[2:3]
	v_mov_b32_e32 v31, s33
	s_cselect_b64 s[2:3], -1, 0
	v_cndmask_b32_e64 v27, v31, v27, s[2:3]
	s_add_u32 s2, s12, 1
	s_addc_u32 s30, s15, 0
	s_add_u32 s3, s12, 2
	s_addc_u32 s33, s15, 0
	v_mov_b32_e32 v31, s2
	v_mov_b32_e32 v32, s3
	v_cmp_ne_u32_e64 s[2:3], 0, v27
	v_cndmask_b32_e64 v27, v31, v32, s[2:3]
	v_mov_b32_e32 v31, s30
	v_mov_b32_e32 v32, s33
	s_cmp_lg_u64 vcc, 0
	v_cndmask_b32_e64 v31, v31, v32, s[2:3]
	s_subb_u32 s2, s31, s19
	s_cmp_ge_u32 s2, s27
	s_cselect_b32 s3, -1, 0
	v_cmp_le_u32_e32 vcc, s26, v26
	s_cmp_eq_u32 s2, s27
	v_cndmask_b32_e64 v26, 0, -1, vcc
	v_mov_b32_e32 v32, s3
	s_cselect_b64 vcc, -1, 0
	v_cndmask_b32_e32 v26, v32, v26, vcc
	v_mov_b32_e32 v32, s15
	v_cmp_ne_u32_e32 vcc, 0, v26
	v_cndmask_b32_e32 v26, v32, v31, vcc
	v_mov_b32_e32 v31, s12
	v_cndmask_b32_e32 v27, v31, v27, vcc
	s_xor_b64 s[2:3], s[28:29], s[24:25]
	v_xor_b32_e32 v27, s2, v27
	v_xor_b32_e32 v31, s3, v26
	v_mov_b32_e32 v32, s3
	v_subrev_co_u32_e32 v26, vcc, s2, v27
	v_subb_co_u32_e32 v27, vcc, v31, v32, vcc
	s_cbranch_execnz .LBB52_38
.LBB52_37:
	v_cvt_f32_u32_e32 v26, s14
	s_sub_i32 s2, 0, s14
	s_mov_b32 s3, 0
	v_rcp_iflag_f32_e32 v26, v26
	v_mul_f32_e32 v26, 0x4f7ffffe, v26
	v_cvt_u32_f32_e32 v26, v26
	v_readfirstlane_b32 s12, v26
	s_mul_i32 s2, s2, s12
	s_mul_hi_u32 s2, s12, s2
	s_add_i32 s12, s12, s2
	s_mul_hi_u32 s2, s18, s12
	s_mul_i32 s15, s2, s14
	s_sub_i32 s15, s18, s15
	s_add_i32 s12, s2, 1
	s_sub_i32 s18, s15, s14
	s_cmp_ge_u32 s15, s14
	s_cselect_b32 s2, s12, s2
	s_cselect_b32 s15, s18, s15
	s_add_i32 s12, s2, 1
	s_cmp_ge_u32 s15, s14
	s_cselect_b32 s2, s12, s2
	v_pk_mov_b32 v[26:27], s[2:3], s[2:3] op_sel:[0,1]
.LBB52_38:
	v_add_co_u32_e32 v26, vcc, v26, v30
	v_addc_co_u32_e32 v27, vcc, 0, v27, vcc
	s_branch .LBB52_41
.LBB52_39:
                                        ; implicit-def: $vgpr26_vgpr27
	s_cbranch_execz .LBB52_41
; %bb.40:
	v_mul_lo_u32 v26, v30, s8
	v_ashrrev_i32_e32 v27, 31, v26
	v_mov_b32_e32 v30, s7
	v_add_co_u32_e32 v26, vcc, s6, v26
	v_addc_co_u32_e32 v27, vcc, v27, v30, vcc
.LBB52_41:
	s_mov_b64 s[2:3], exec
.LBB52_42:
	s_or_b64 exec, exec, s[10:11]
	s_and_b64 vcc, exec, s[4:5]
	s_cbranch_vccz .LBB52_46
.LBB52_43:
	v_mov_b32_dpp v26, v28 quad_perm:[1,0,3,2] row_mask:0xf bank_mask:0xf
	v_cmp_gt_f32_e32 vcc, v28, v26
	v_cndmask_b32_e32 v26, v26, v28, vcc
	s_nop 1
	v_mov_b32_dpp v27, v26 quad_perm:[2,3,0,1] row_mask:0xf bank_mask:0xf
	v_cmp_gt_f32_e32 vcc, v26, v27
	v_cndmask_b32_e32 v26, v27, v26, vcc
	s_nop 1
	v_mov_b32_dpp v27, v26 row_half_mirror row_mask:0xf bank_mask:0xf
	v_cmp_gt_f32_e32 vcc, v26, v27
	v_cndmask_b32_e32 v26, v27, v26, vcc
	s_nop 1
	v_mov_b32_dpp v27, v26 row_mirror row_mask:0xf bank_mask:0xf
	v_cmp_gt_f32_e32 vcc, v26, v27
	v_cndmask_b32_e32 v26, v27, v26, vcc
	s_nop 1
	v_mov_b32_dpp v27, v26 row_bcast:15 row_mask:0xf bank_mask:0xf
	v_cmp_gt_f32_e32 vcc, v26, v27
	v_cndmask_b32_e32 v26, v27, v26, vcc
	s_nop 1
	v_mov_b32_dpp v27, v26 row_bcast:31 row_mask:0xf bank_mask:0xf
	s_and_saveexec_b64 s[2:3], s[0:1]
	s_cbranch_execz .LBB52_45
; %bb.44:
	v_lshrrev_b32_e32 v28, 4, v0
	v_cmp_gt_f32_e32 vcc, v26, v27
	v_and_b32_e32 v28, 60, v28
	v_cndmask_b32_e32 v26, v27, v26, vcc
	ds_write_b32 v28, v26
.LBB52_45:
	s_or_b64 exec, exec, s[2:3]
	s_waitcnt lgkmcnt(0)
	s_barrier
	ds_read_b32 v26, v38
	v_cmp_eq_u32_e64 s[2:3], 0, v0
	s_waitcnt lgkmcnt(0)
	v_mov_b32_dpp v27, v26 quad_perm:[1,0,3,2] row_mask:0xf bank_mask:0xf
	v_cmp_gt_f32_e32 vcc, v26, v27
	v_cndmask_b32_e32 v26, v27, v26, vcc
	s_nop 1
	v_mov_b32_dpp v27, v26 quad_perm:[2,3,0,1] row_mask:0xf bank_mask:0xf
	v_cmp_gt_f32_e32 vcc, v26, v27
	v_cndmask_b32_e32 v26, v27, v26, vcc
	v_mul_f32_e32 v29, 0x3c010204, v26
	v_pk_mov_b32 v[26:27], s[6:7], s[6:7] op_sel:[0,1]
.LBB52_46:
	s_and_saveexec_b64 s[0:1], s[2:3]
	s_cbranch_execz .LBB52_48
; %bb.47:
	v_lshlrev_b64 v[26:27], 2, v[26:27]
	v_mov_b32_e32 v0, s21
	v_add_co_u32_e32 v26, vcc, s20, v26
	v_addc_co_u32_e32 v27, vcc, v0, v27, vcc
	global_store_dword v[26:27], v29, off
.LBB52_48:
	s_or_b64 exec, exec, s[0:1]
	s_add_i32 s0, s9, 3
	s_ashr_i32 s1, s0, 31
	s_lshr_b32 s1, s1, 30
	;;#ASMSTART
	v_rcp_f32 v26, v29
	;;#ASMEND
	v_mov_b32_e32 v27, v26
	;;#ASMSTART
	v_pk_mul_f32 v[24:25], v[24:25], v[26:27]
	;;#ASMEND
	;;#ASMSTART
	v_pk_mul_f32 v[22:23], v[22:23], v[26:27]
	;;#ASMEND
	s_add_i32 s0, s0, s1
	v_cvt_i32_f32_e32 v0, v24
	v_cvt_i32_f32_sdwa v24, v25 dst_sel:BYTE_1 dst_unused:UNUSED_PAD src0_sel:DWORD
	v_cvt_i32_f32_e32 v22, v22
	v_cvt_i32_f32_sdwa v23, v23 dst_sel:BYTE_1 dst_unused:UNUSED_PAD src0_sel:DWORD
	;;#ASMSTART
	v_pk_mul_f32 v[18:19], v[18:19], v[26:27]
	;;#ASMEND
	;;#ASMSTART
	v_pk_mul_f32 v[16:17], v[16:17], v[26:27]
	;;#ASMEND
	s_and_b32 s2, s0, -4
	s_ashr_i32 s0, s13, 31
	v_cvt_i32_f32_e32 v18, v18
	v_cvt_i32_f32_sdwa v19, v19 dst_sel:BYTE_1 dst_unused:UNUSED_PAD src0_sel:DWORD
	v_cvt_i32_f32_e32 v25, v16
	v_cvt_i32_f32_sdwa v17, v17 dst_sel:BYTE_1 dst_unused:UNUSED_PAD src0_sel:DWORD
	s_mul_hi_u32 s1, s13, s6
	s_mul_i32 s0, s0, s6
	s_add_i32 s1, s1, s0
	s_mul_i32 s0, s13, s6
	s_add_u32 s0, s16, s0
	v_or_b32_sdwa v0, v0, v24 dst_sel:DWORD dst_unused:UNUSED_PAD src0_sel:BYTE_0 src1_sel:DWORD
	v_or_b32_sdwa v16, v22, v23 dst_sel:WORD_1 dst_unused:UNUSED_PAD src0_sel:BYTE_0 src1_sel:DWORD
	s_addc_u32 s1, s17, s1
	v_or_b32_sdwa v16, v0, v16 dst_sel:DWORD dst_unused:UNUSED_PAD src0_sel:WORD_0 src1_sel:DWORD
	v_or_b32_sdwa v0, v18, v19 dst_sel:DWORD dst_unused:UNUSED_PAD src0_sel:BYTE_0 src1_sel:DWORD
	v_or_b32_sdwa v17, v25, v17 dst_sel:WORD_1 dst_unused:UNUSED_PAD src0_sel:BYTE_0 src1_sel:DWORD
	s_and_b32 s1, s1, 0xffff
	s_mov_b32 s3, 0x20000
	v_or_b32_sdwa v17, v0, v17 dst_sel:DWORD dst_unused:UNUSED_PAD src0_sel:WORD_0 src1_sel:DWORD
	buffer_store_dwordx2 v[16:17], v1, s[0:3], 0 offen
	;;#ASMSTART
	s_nop 0
	;;#ASMEND
	;;#ASMSTART
	v_pk_mul_f32 v[16:17], v[20:21], v[26:27]
	;;#ASMEND
	;;#ASMSTART
	v_pk_mul_f32 v[14:15], v[14:15], v[26:27]
	;;#ASMEND
	v_cvt_i32_f32_e32 v0, v16
	v_cvt_i32_f32_sdwa v16, v17 dst_sel:BYTE_1 dst_unused:UNUSED_PAD src0_sel:DWORD
	v_cvt_i32_f32_e32 v14, v14
	v_cvt_i32_f32_sdwa v15, v15 dst_sel:BYTE_1 dst_unused:UNUSED_PAD src0_sel:DWORD
	;;#ASMSTART
	v_pk_mul_f32 v[12:13], v[12:13], v[26:27]
	;;#ASMEND
	;;#ASMSTART
	v_pk_mul_f32 v[8:9], v[8:9], v[26:27]
	;;#ASMEND
	v_cvt_i32_f32_e32 v12, v12
	v_cvt_i32_f32_sdwa v13, v13 dst_sel:BYTE_1 dst_unused:UNUSED_PAD src0_sel:DWORD
	v_cvt_i32_f32_e32 v17, v8
	v_cvt_i32_f32_sdwa v9, v9 dst_sel:BYTE_1 dst_unused:UNUSED_PAD src0_sel:DWORD
	v_or_b32_sdwa v0, v0, v16 dst_sel:DWORD dst_unused:UNUSED_PAD src0_sel:BYTE_0 src1_sel:DWORD
	v_or_b32_sdwa v8, v14, v15 dst_sel:WORD_1 dst_unused:UNUSED_PAD src0_sel:BYTE_0 src1_sel:DWORD
	v_or_b32_sdwa v8, v0, v8 dst_sel:DWORD dst_unused:UNUSED_PAD src0_sel:WORD_0 src1_sel:DWORD
	v_or_b32_sdwa v0, v12, v13 dst_sel:DWORD dst_unused:UNUSED_PAD src0_sel:BYTE_0 src1_sel:DWORD
	v_or_b32_sdwa v9, v17, v9 dst_sel:WORD_1 dst_unused:UNUSED_PAD src0_sel:BYTE_0 src1_sel:DWORD
	v_or_b32_sdwa v9, v0, v9 dst_sel:DWORD dst_unused:UNUSED_PAD src0_sel:WORD_0 src1_sel:DWORD
	buffer_store_dwordx2 v[8:9], v1, s[0:3], 8 offen
	;;#ASMSTART
	s_nop 0
	;;#ASMEND
	;;#ASMSTART
	v_pk_mul_f32 v[8:9], v[10:11], v[26:27]
	;;#ASMEND
	;;#ASMSTART
	v_pk_mul_f32 v[6:7], v[6:7], v[26:27]
	;;#ASMEND
	v_cvt_i32_f32_e32 v0, v8
	v_cvt_i32_f32_sdwa v8, v9 dst_sel:BYTE_1 dst_unused:UNUSED_PAD src0_sel:DWORD
	v_cvt_i32_f32_e32 v6, v6
	v_cvt_i32_f32_sdwa v7, v7 dst_sel:BYTE_1 dst_unused:UNUSED_PAD src0_sel:DWORD
	;;#ASMSTART
	v_pk_mul_f32 v[4:5], v[4:5], v[26:27]
	;;#ASMEND
	;;#ASMSTART
	v_pk_mul_f32 v[2:3], v[2:3], v[26:27]
	;;#ASMEND
	v_cvt_i32_f32_e32 v4, v4
	v_cvt_i32_f32_sdwa v5, v5 dst_sel:BYTE_1 dst_unused:UNUSED_PAD src0_sel:DWORD
	v_cvt_i32_f32_e32 v9, v2
	v_cvt_i32_f32_sdwa v3, v3 dst_sel:BYTE_1 dst_unused:UNUSED_PAD src0_sel:DWORD
	v_or_b32_sdwa v0, v0, v8 dst_sel:DWORD dst_unused:UNUSED_PAD src0_sel:BYTE_0 src1_sel:DWORD
	v_or_b32_sdwa v2, v6, v7 dst_sel:WORD_1 dst_unused:UNUSED_PAD src0_sel:BYTE_0 src1_sel:DWORD
	v_or_b32_sdwa v2, v0, v2 dst_sel:DWORD dst_unused:UNUSED_PAD src0_sel:WORD_0 src1_sel:DWORD
	v_or_b32_sdwa v0, v4, v5 dst_sel:DWORD dst_unused:UNUSED_PAD src0_sel:BYTE_0 src1_sel:DWORD
	v_or_b32_sdwa v3, v9, v3 dst_sel:WORD_1 dst_unused:UNUSED_PAD src0_sel:BYTE_0 src1_sel:DWORD
	v_or_b32_sdwa v3, v0, v3 dst_sel:DWORD dst_unused:UNUSED_PAD src0_sel:WORD_0 src1_sel:DWORD
	buffer_store_dwordx2 v[2:3], v1, s[0:3], 16 offen
	;;#ASMSTART
	s_nop 0
	;;#ASMEND
.LBB52_49:
	s_endpgm
.LBB52_50:
                                        ; implicit-def: $vgpr26_vgpr27
	s_branch .LBB52_37
	.section	.rodata,"a",@progbits
	.p2align	6, 0x0
	.amdhsa_kernel _ZN5aiter24add_rmsnorm_quant_kernelItaLi256ELi24ELb1ELb1ELb0ELi1EEEvPT0_PT_PfS4_S4_S4_diiiiiiib
		.amdhsa_group_segment_fixed_size 32
		.amdhsa_private_segment_fixed_size 0
		.amdhsa_kernarg_size 88
		.amdhsa_user_sgpr_count 6
		.amdhsa_user_sgpr_private_segment_buffer 1
		.amdhsa_user_sgpr_dispatch_ptr 0
		.amdhsa_user_sgpr_queue_ptr 0
		.amdhsa_user_sgpr_kernarg_segment_ptr 1
		.amdhsa_user_sgpr_dispatch_id 0
		.amdhsa_user_sgpr_flat_scratch_init 0
		.amdhsa_user_sgpr_kernarg_preload_length 0
		.amdhsa_user_sgpr_kernarg_preload_offset 0
		.amdhsa_user_sgpr_private_segment_size 0
		.amdhsa_uses_dynamic_stack 0
		.amdhsa_system_sgpr_private_segment_wavefront_offset 0
		.amdhsa_system_sgpr_workgroup_id_x 1
		.amdhsa_system_sgpr_workgroup_id_y 0
		.amdhsa_system_sgpr_workgroup_id_z 0
		.amdhsa_system_sgpr_workgroup_info 0
		.amdhsa_system_vgpr_workitem_id 0
		.amdhsa_next_free_vgpr 66
		.amdhsa_next_free_sgpr 40
		.amdhsa_accum_offset 68
		.amdhsa_reserve_vcc 1
		.amdhsa_reserve_flat_scratch 0
		.amdhsa_float_round_mode_32 0
		.amdhsa_float_round_mode_16_64 0
		.amdhsa_float_denorm_mode_32 3
		.amdhsa_float_denorm_mode_16_64 3
		.amdhsa_dx10_clamp 1
		.amdhsa_ieee_mode 1
		.amdhsa_fp16_overflow 0
		.amdhsa_tg_split 0
		.amdhsa_exception_fp_ieee_invalid_op 0
		.amdhsa_exception_fp_denorm_src 0
		.amdhsa_exception_fp_ieee_div_zero 0
		.amdhsa_exception_fp_ieee_overflow 0
		.amdhsa_exception_fp_ieee_underflow 0
		.amdhsa_exception_fp_ieee_inexact 0
		.amdhsa_exception_int_div_zero 0
	.end_amdhsa_kernel
	.section	.text._ZN5aiter24add_rmsnorm_quant_kernelItaLi256ELi24ELb1ELb1ELb0ELi1EEEvPT0_PT_PfS4_S4_S4_diiiiiiib,"axG",@progbits,_ZN5aiter24add_rmsnorm_quant_kernelItaLi256ELi24ELb1ELb1ELb0ELi1EEEvPT0_PT_PfS4_S4_S4_diiiiiiib,comdat
.Lfunc_end52:
	.size	_ZN5aiter24add_rmsnorm_quant_kernelItaLi256ELi24ELb1ELb1ELb0ELi1EEEvPT0_PT_PfS4_S4_S4_diiiiiiib, .Lfunc_end52-_ZN5aiter24add_rmsnorm_quant_kernelItaLi256ELi24ELb1ELb1ELb0ELi1EEEvPT0_PT_PfS4_S4_S4_diiiiiiib
                                        ; -- End function
	.section	.AMDGPU.csdata,"",@progbits
; Kernel info:
; codeLenInByte = 4668
; NumSgprs: 44
; NumVgprs: 66
; NumAgprs: 0
; TotalNumVgprs: 66
; ScratchSize: 0
; MemoryBound: 0
; FloatMode: 240
; IeeeMode: 1
; LDSByteSize: 32 bytes/workgroup (compile time only)
; SGPRBlocks: 5
; VGPRBlocks: 8
; NumSGPRsForWavesPerEU: 44
; NumVGPRsForWavesPerEU: 66
; AccumOffset: 68
; Occupancy: 7
; WaveLimiterHint : 0
; COMPUTE_PGM_RSRC2:SCRATCH_EN: 0
; COMPUTE_PGM_RSRC2:USER_SGPR: 6
; COMPUTE_PGM_RSRC2:TRAP_HANDLER: 0
; COMPUTE_PGM_RSRC2:TGID_X_EN: 1
; COMPUTE_PGM_RSRC2:TGID_Y_EN: 0
; COMPUTE_PGM_RSRC2:TGID_Z_EN: 0
; COMPUTE_PGM_RSRC2:TIDIG_COMP_CNT: 0
; COMPUTE_PGM_RSRC3_GFX90A:ACCUM_OFFSET: 16
; COMPUTE_PGM_RSRC3_GFX90A:TG_SPLIT: 0
	.section	.text._ZN5aiter24add_rmsnorm_quant_kernelIDF16_aLi256ELi32ELb1ELb1ELb1ELi1EEEvPT0_PT_PfS4_S4_S4_diiiiiiib,"axG",@progbits,_ZN5aiter24add_rmsnorm_quant_kernelIDF16_aLi256ELi32ELb1ELb1ELb1ELi1EEEvPT0_PT_PfS4_S4_S4_diiiiiiib,comdat
	.protected	_ZN5aiter24add_rmsnorm_quant_kernelIDF16_aLi256ELi32ELb1ELb1ELb1ELi1EEEvPT0_PT_PfS4_S4_S4_diiiiiiib ; -- Begin function _ZN5aiter24add_rmsnorm_quant_kernelIDF16_aLi256ELi32ELb1ELb1ELb1ELi1EEEvPT0_PT_PfS4_S4_S4_diiiiiiib
	.globl	_ZN5aiter24add_rmsnorm_quant_kernelIDF16_aLi256ELi32ELb1ELb1ELb1ELi1EEEvPT0_PT_PfS4_S4_S4_diiiiiiib
	.p2align	8
	.type	_ZN5aiter24add_rmsnorm_quant_kernelIDF16_aLi256ELi32ELb1ELb1ELb1ELi1EEEvPT0_PT_PfS4_S4_S4_diiiiiiib,@function
_ZN5aiter24add_rmsnorm_quant_kernelIDF16_aLi256ELi32ELb1ELb1ELb1ELi1EEEvPT0_PT_PfS4_S4_S4_diiiiiiib: ; @_ZN5aiter24add_rmsnorm_quant_kernelIDF16_aLi256ELi32ELb1ELb1ELb1ELi1EEEvPT0_PT_PfS4_S4_S4_diiiiiiib
; %bb.0:
	s_load_dwordx8 s[8:15], s[4:5], 0x38
	s_mov_b32 s7, 0
	s_waitcnt lgkmcnt(0)
	s_ashr_i32 s0, s8, 31
	v_mov_b32_e32 v2, s8
	v_mov_b32_e32 v3, s0
	v_cmp_ge_i64_e32 vcc, s[6:7], v[2:3]
	s_cbranch_vccnz .LBB53_49
; %bb.1:
	s_load_dwordx8 s[16:23], s[4:5], 0x0
	s_load_dwordx8 s[24:31], s[4:5], 0x20
	s_ashr_i32 s0, s10, 31
	s_mul_hi_u32 s1, s10, s6
	s_mul_i32 s0, s0, s6
	s_add_i32 s1, s1, s0
	s_mul_i32 s0, s10, s6
	s_lshl_b64 s[0:1], s[0:1], 1
	s_waitcnt lgkmcnt(0)
	s_add_u32 s0, s22, s0
	s_addc_u32 s1, s23, s1
	s_add_i32 s2, s9, 1
	s_lshr_b32 s3, s2, 31
	v_lshlrev_b32_e32 v50, 5, v0
	s_add_i32 s2, s2, s3
	v_lshlrev_b32_e32 v1, 3, v0
	v_and_b32_e32 v2, 0x7800, v50
	s_movk_i32 s4, 0x1f8
	s_lshl_b32 s2, s2, 1
	v_and_or_b32 v1, v1, s4, v2
	s_and_b32 s2, s2, -4
	s_and_b32 s1, s1, 0xffff
	s_mov_b32 s3, 0x20000
	v_lshlrev_b32_e32 v51, 1, v1
	s_movk_i32 s10, 0x400
	s_movk_i32 s5, 0x800
	buffer_load_dwordx4 v[2:5], v51, s[0:3], s10 offen glc slc
	buffer_load_dwordx4 v[10:13], v51, s[0:3], 0 offen glc slc
	s_movk_i32 s4, 0xc00
	buffer_load_dwordx4 v[6:9], v51, s[0:3], s5 offen glc slc
	buffer_load_dwordx4 v[18:21], v51, s[0:3], s4 offen glc slc
	s_ashr_i32 s0, s11, 31
	s_mul_hi_u32 s1, s11, s6
	s_mul_i32 s0, s0, s6
	s_add_i32 s1, s1, s0
	s_mul_i32 s0, s11, s6
	s_and_b32 s37, s27, 0xffff
	s_lshl_b64 s[0:1], s[0:1], 1
	s_add_u32 s0, s24, s0
	s_addc_u32 s1, s25, s1
	s_and_b32 s1, s1, 0xffff
	buffer_load_dwordx4 v[26:29], v51, s[0:3], s10 offen glc slc
	buffer_load_dwordx4 v[30:33], v51, s[0:3], s5 offen glc slc
	;; [unrolled: 1-line block ×4, first 2 shown]
	s_mov_b32 s39, s3
	s_mov_b32 s36, s26
	;; [unrolled: 1-line block ×3, first 2 shown]
	s_ashr_i32 s0, s12, 31
	s_mul_hi_u32 s1, s12, s6
	s_mul_i32 s0, s0, s6
	s_add_i32 s1, s1, s0
	s_mul_i32 s0, s12, s6
	s_lshl_b64 s[0:1], s[0:1], 1
	s_add_u32 s0, s18, s0
	s_addc_u32 s1, s19, s1
	s_and_b32 s1, s1, 0xffff
	s_waitcnt vmcnt(7)
	v_cvt_f32_f16_e32 v34, v2
	v_cvt_f32_f16_sdwa v35, v2 dst_sel:DWORD dst_unused:UNUSED_PAD src0_sel:WORD_1
	v_cvt_f32_f16_e32 v36, v3
	v_cvt_f32_f16_sdwa v37, v3 dst_sel:DWORD dst_unused:UNUSED_PAD src0_sel:WORD_1
	v_cvt_f32_f16_e32 v38, v4
	v_cvt_f32_f16_sdwa v39, v4 dst_sel:DWORD dst_unused:UNUSED_PAD src0_sel:WORD_1
	v_cvt_f32_f16_e32 v40, v5
	v_cvt_f32_f16_sdwa v41, v5 dst_sel:DWORD dst_unused:UNUSED_PAD src0_sel:WORD_1
	s_waitcnt vmcnt(5)
	v_cvt_f32_f16_e32 v42, v6
	v_cvt_f32_f16_sdwa v43, v6 dst_sel:DWORD dst_unused:UNUSED_PAD src0_sel:WORD_1
	v_cvt_f32_f16_e32 v44, v7
	v_cvt_f32_f16_sdwa v45, v7 dst_sel:DWORD dst_unused:UNUSED_PAD src0_sel:WORD_1
	v_cvt_f32_f16_e32 v46, v8
	v_cvt_f32_f16_sdwa v47, v8 dst_sel:DWORD dst_unused:UNUSED_PAD src0_sel:WORD_1
	v_cvt_f32_f16_e32 v48, v9
	v_cvt_f32_f16_sdwa v49, v9 dst_sel:DWORD dst_unused:UNUSED_PAD src0_sel:WORD_1
	;; [unrolled: 9-line block ×4, first 2 shown]
	v_pk_add_f32 v[26:27], v[34:35], v[52:53]
	v_cvt_f32_f16_e32 v52, v18
	v_cvt_f32_f16_sdwa v53, v18 dst_sel:DWORD dst_unused:UNUSED_PAD src0_sel:WORD_1
	v_pk_add_f32 v[28:29], v[36:37], v[54:55]
	v_cvt_f32_f16_e32 v54, v19
	v_cvt_f32_f16_sdwa v55, v19 dst_sel:DWORD dst_unused:UNUSED_PAD src0_sel:WORD_1
	;; [unrolled: 3-line block ×3, first 2 shown]
	v_pk_add_f32 v[30:31], v[40:41], v[58:59]
	s_waitcnt vmcnt(1)
	v_cvt_f32_f16_e32 v40, v22
	v_cvt_f32_f16_sdwa v41, v22 dst_sel:DWORD dst_unused:UNUSED_PAD src0_sel:WORD_1
	v_pk_add_f32 v[32:33], v[42:43], v[60:61]
	v_cvt_f32_f16_e32 v42, v23
	v_cvt_f32_f16_sdwa v43, v23 dst_sel:DWORD dst_unused:UNUSED_PAD src0_sel:WORD_1
	v_pk_add_f32 v[36:37], v[44:45], v[62:63]
	v_pk_add_f32 v[34:35], v[46:47], v[64:65]
	;; [unrolled: 1-line block ×3, first 2 shown]
	v_cvt_f32_f16_e32 v44, v24
	v_cvt_f32_f16_sdwa v45, v24 dst_sel:DWORD dst_unused:UNUSED_PAD src0_sel:WORD_1
	v_cvt_f32_f16_e32 v46, v21
	v_cvt_f32_f16_sdwa v47, v21 dst_sel:DWORD dst_unused:UNUSED_PAD src0_sel:WORD_1
	;; [unrolled: 2-line block ×3, first 2 shown]
	v_pk_add_f32 v[24:25], v[54:55], v[42:43]
	v_pk_add_f32 v[20:21], v[38:39], v[44:45]
	v_cvt_f32_f16_e32 v42, v10
	v_pk_add_f32 v[38:39], v[46:47], v[48:49]
	v_cvt_f32_f16_sdwa v43, v10 dst_sel:DWORD dst_unused:UNUSED_PAD src0_sel:WORD_1
	s_waitcnt vmcnt(0)
	v_cvt_f32_f16_e32 v44, v14
	v_cvt_f32_f16_sdwa v45, v14 dst_sel:DWORD dst_unused:UNUSED_PAD src0_sel:WORD_1
	v_cvt_f32_f16_e32 v46, v12
	v_cvt_f32_f16_sdwa v47, v12 dst_sel:DWORD dst_unused:UNUSED_PAD src0_sel:WORD_1
	;; [unrolled: 2-line block ×5, first 2 shown]
	buffer_load_dwordx4 v[6:9], v51, s[36:39], 0 offen
	buffer_load_dwordx4 v[2:5], v51, s[36:39], s10 offen
	v_pk_add_f32 v[40:41], v[52:53], v[40:41]
	v_cvt_f32_f16_e32 v48, v11
	v_cvt_f32_f16_sdwa v49, v11 dst_sel:DWORD dst_unused:UNUSED_PAD src0_sel:WORD_1
	v_cvt_f32_f16_e32 v52, v15
	v_cvt_f32_f16_sdwa v53, v15 dst_sel:DWORD dst_unused:UNUSED_PAD src0_sel:WORD_1
	buffer_load_dwordx4 v[14:17], v51, s[36:39], s5 offen
	buffer_load_dwordx4 v[10:13], v51, s[36:39], s4 offen
	v_pk_add_f32 v[44:45], v[42:43], v[44:45]
	v_pk_add_f32 v[42:43], v[46:47], v[54:55]
	;; [unrolled: 1-line block ×3, first 2 shown]
	v_cvt_f16_f32_e32 v55, v47
	v_cvt_f16_f32_e32 v56, v46
	v_pk_add_f32 v[48:49], v[48:49], v[52:53]
	v_cvt_f16_f32_e32 v60, v45
	v_cvt_f16_f32_e32 v54, v43
	;; [unrolled: 1-line block ×4, first 2 shown]
	v_pack_b32_f16 v55, v56, v55
	v_cvt_f16_f32_e32 v53, v48
	v_cvt_f16_f32_e32 v56, v44
	v_pack_b32_f16 v54, v57, v54
	v_cvt_f16_f32_e32 v57, v26
	v_pack_b32_f16 v53, v53, v52
	v_pack_b32_f16 v52, v56, v60
	buffer_store_dwordx4 v[52:55], v51, s[0:3], 0 offen glc slc
	v_cvt_f16_f32_e32 v56, v19
	v_cvt_f16_f32_e32 v52, v18
	;; [unrolled: 1-line block ×5, first 2 shown]
	;;#ASMSTART
	s_nop 0
	;;#ASMEND
	v_pack_b32_f16 v55, v53, v54
	v_pack_b32_f16 v54, v52, v56
	v_cvt_f16_f32_e32 v52, v29
	v_cvt_f16_f32_e32 v56, v27
	v_pack_b32_f16 v53, v58, v52
	v_pack_b32_f16 v52, v57, v56
	buffer_store_dwordx4 v[52:55], v51, s[0:3], s10 offen glc slc
	v_cvt_f16_f32_e32 v52, v34
	v_cvt_f16_f32_e32 v53, v22
	;; [unrolled: 1-line block ×6, first 2 shown]
	v_pack_b32_f16 v55, v53, v54
	v_pack_b32_f16 v54, v52, v56
	v_cvt_f16_f32_e32 v52, v37
	v_cvt_f16_f32_e32 v56, v33
	;;#ASMSTART
	s_nop 0
	;;#ASMEND
	v_pack_b32_f16 v53, v58, v52
	v_pack_b32_f16 v52, v57, v56
	buffer_store_dwordx4 v[52:55], v51, s[0:3], s5 offen glc slc
	v_cvt_f16_f32_e32 v52, v20
	v_cvt_f16_f32_e32 v53, v38
	;; [unrolled: 1-line block ×6, first 2 shown]
	v_pack_b32_f16 v55, v53, v54
	v_pack_b32_f16 v54, v52, v56
	v_cvt_f16_f32_e32 v52, v25
	v_cvt_f16_f32_e32 v56, v41
	;;#ASMSTART
	s_nop 0
	;;#ASMEND
	v_pack_b32_f16 v53, v58, v52
	v_pack_b32_f16 v52, v57, v56
	buffer_store_dwordx4 v[52:55], v51, s[0:3], s4 offen glc slc
	v_pk_mul_f32 v[52:53], v[44:45], v[44:45]
	v_pk_mul_f32 v[54:55], v[48:49], v[48:49]
	v_add_f32_e32 v51, v52, v53
	v_add_f32_e32 v51, v54, v51
	v_pk_mul_f32 v[56:57], v[42:43], v[42:43]
	v_add_f32_e32 v51, v55, v51
	v_add_f32_e32 v51, v56, v51
	;; [unrolled: 3-line block ×15, first 2 shown]
	v_add_f32_e32 v51, v59, v51
	v_and_b32_e32 v53, 63, v0
	v_cmp_eq_u32_e64 s[0:1], 63, v53
	v_mov_b32_dpp v52, v51 quad_perm:[1,0,3,2] row_mask:0xf bank_mask:0xf
	v_add_f32_e32 v51, v51, v52
	;;#ASMSTART
	s_nop 0
	;;#ASMEND
	s_nop 1
	v_mov_b32_dpp v52, v51 quad_perm:[2,3,0,1] row_mask:0xf bank_mask:0xf
	v_add_f32_e32 v51, v51, v52
	s_nop 1
	v_mov_b32_dpp v52, v51 row_half_mirror row_mask:0xf bank_mask:0xf
	v_add_f32_e32 v51, v51, v52
	s_nop 1
	v_mov_b32_dpp v52, v51 row_mirror row_mask:0xf bank_mask:0xf
	v_add_f32_e32 v51, v51, v52
	s_nop 1
	v_mov_b32_dpp v52, v51 row_bcast:15 row_mask:0xf bank_mask:0xf
	v_add_f32_e32 v51, v51, v52
	s_nop 1
	v_mov_b32_dpp v52, v51 row_bcast:31 row_mask:0xf bank_mask:0xf
	s_and_saveexec_b64 s[2:3], s[0:1]
	s_cbranch_execz .LBB53_3
; %bb.2:
	v_lshrrev_b32_e32 v53, 4, v0
	v_and_b32_e32 v53, 60, v53
	v_add_f32_e32 v51, v51, v52
	ds_write_b32 v53, v51 offset:16
.LBB53_3:
	s_or_b64 exec, exec, s[2:3]
	v_and_b32_e32 v51, 3, v0
	v_lshlrev_b32_e32 v51, 2, v51
	s_waitcnt lgkmcnt(0)
	s_barrier
	ds_read_b32 v52, v51 offset:16
	v_cvt_f32_i32_e32 v53, s9
	s_cmp_lg_u32 s14, 0
	s_waitcnt lgkmcnt(0)
	v_mov_b32_dpp v54, v52 quad_perm:[1,0,3,2] row_mask:0xf bank_mask:0xf
	v_add_f32_e32 v52, v52, v54
	s_nop 1
	v_mov_b32_dpp v54, v52 quad_perm:[2,3,0,1] row_mask:0xf bank_mask:0xf
	v_add_f32_e32 v52, v52, v54
	v_div_scale_f32 v54, s[2:3], v53, v53, v52
	v_rcp_f32_e32 v55, v54
	v_div_scale_f32 v56, vcc, v52, v53, v52
	s_mov_b32 s2, 0x800000
	v_fma_f32 v57, -v54, v55, 1.0
	v_fmac_f32_e32 v55, v57, v55
	v_mul_f32_e32 v57, v56, v55
	v_fma_f32 v58, -v54, v57, v56
	v_fmac_f32_e32 v57, v58, v55
	v_fma_f32 v54, -v54, v57, v56
	v_div_fmas_f32 v54, v54, v55, v57
	v_div_fixup_f32 v52, v54, v53, v52
	v_cvt_f64_f32_e32 v[52:53], v52
	v_add_f64 v[52:53], v[52:53], s[28:29]
	v_cvt_f32_f64_e32 v52, v[52:53]
	v_mul_f32_e32 v53, 0x4b800000, v52
	v_cmp_gt_f32_e32 vcc, s2, v52
	v_cndmask_b32_e32 v52, v52, v53, vcc
	v_rsq_f32_e32 v52, v52
	v_mul_f32_e32 v53, 0x45800000, v52
	v_cndmask_b32_e32 v52, v52, v53, vcc
	v_mov_b32_e32 v53, v52
	;;#ASMSTART
	v_pk_mul_f32 v[44:45], v[44:45], v[52:53]
	;;#ASMEND
	;;#ASMSTART
	v_pk_mul_f32 v[48:49], v[48:49], v[52:53]
	;;#ASMEND
	;;#ASMSTART
	v_pk_mul_f32 v[42:43], v[42:43], v[52:53]
	;;#ASMEND
	;;#ASMSTART
	v_pk_mul_f32 v[46:47], v[46:47], v[52:53]
	;;#ASMEND
	;;#ASMSTART
	v_pk_mul_f32 v[54:55], v[26:27], v[52:53]
	;;#ASMEND
	;;#ASMSTART
	v_pk_mul_f32 v[56:57], v[28:29], v[52:53]
	;;#ASMEND
	;;#ASMSTART
	v_pk_mul_f32 v[18:19], v[18:19], v[52:53]
	;;#ASMEND
	;;#ASMSTART
	v_pk_mul_f32 v[58:59], v[30:31], v[52:53]
	;;#ASMEND
	;;#ASMSTART
	v_pk_mul_f32 v[60:61], v[32:33], v[52:53]
	;;#ASMEND
	;;#ASMSTART
	v_pk_mul_f32 v[36:37], v[36:37], v[52:53]
	;;#ASMEND
	;;#ASMSTART
	v_pk_mul_f32 v[62:63], v[34:35], v[52:53]
	;;#ASMEND
	;;#ASMSTART
	v_pk_mul_f32 v[64:65], v[22:23], v[52:53]
	;;#ASMEND
	;;#ASMSTART
	v_pk_mul_f32 v[40:41], v[40:41], v[52:53]
	;;#ASMEND
	;;#ASMSTART
	v_pk_mul_f32 v[66:67], v[24:25], v[52:53]
	;;#ASMEND
	;;#ASMSTART
	v_pk_mul_f32 v[68:69], v[20:21], v[52:53]
	;;#ASMEND
	s_waitcnt vmcnt(7)
	v_cvt_f32_f16_sdwa v21, v6 dst_sel:DWORD dst_unused:UNUSED_PAD src0_sel:WORD_1
	v_cvt_f32_f16_e32 v20, v6
	v_cvt_f32_f16_sdwa v23, v7 dst_sel:DWORD dst_unused:UNUSED_PAD src0_sel:WORD_1
	v_cvt_f32_f16_e32 v22, v7
	v_cvt_f32_f16_sdwa v7, v8 dst_sel:DWORD dst_unused:UNUSED_PAD src0_sel:WORD_1
	v_cvt_f32_f16_e32 v6, v8
	;;#ASMSTART
	v_pk_mul_f32 v[38:39], v[38:39], v[52:53]
	;;#ASMEND
	v_cvt_f32_f16_sdwa v25, v9 dst_sel:DWORD dst_unused:UNUSED_PAD src0_sel:WORD_1
	v_cvt_f32_f16_e32 v24, v9
	;;#ASMSTART
	v_pk_mul_f32 v[34:35], v[44:45], v[20:21]
	;;#ASMEND
	;;#ASMSTART
	v_pk_mul_f32 v[32:33], v[48:49], v[22:23]
	;;#ASMEND
	;; [unrolled: 3-line block ×3, first 2 shown]
	s_waitcnt vmcnt(6)
	v_cvt_f32_f16_sdwa v7, v2 dst_sel:DWORD dst_unused:UNUSED_PAD src0_sel:WORD_1
	v_cvt_f32_f16_e32 v6, v2
	v_cvt_f32_f16_sdwa v9, v3 dst_sel:DWORD dst_unused:UNUSED_PAD src0_sel:WORD_1
	v_cvt_f32_f16_e32 v8, v3
	;; [unrolled: 2-line block ×4, first 2 shown]
	s_waitcnt vmcnt(5)
	v_cvt_f32_f16_sdwa v5, v15 dst_sel:DWORD dst_unused:UNUSED_PAD src0_sel:WORD_1
	v_cvt_f32_f16_e32 v4, v15
	;;#ASMSTART
	v_pk_mul_f32 v[26:27], v[46:47], v[24:25]
	;;#ASMEND
	;;#ASMSTART
	v_pk_mul_f32 v[30:31], v[54:55], v[6:7]
	;;#ASMEND
	;; [unrolled: 3-line block ×5, first 2 shown]
	v_cvt_f32_f16_sdwa v3, v14 dst_sel:DWORD dst_unused:UNUSED_PAD src0_sel:WORD_1
	v_cvt_f32_f16_e32 v2, v14
	v_cvt_f32_f16_sdwa v7, v16 dst_sel:DWORD dst_unused:UNUSED_PAD src0_sel:WORD_1
	v_cvt_f32_f16_e32 v6, v16
	;; [unrolled: 2-line block ×3, first 2 shown]
	;;#ASMSTART
	v_pk_mul_f32 v[20:21], v[60:61], v[2:3]
	;;#ASMEND
	;;#ASMSTART
	v_pk_mul_f32 v[16:17], v[36:37], v[4:5]
	;;#ASMEND
	s_waitcnt vmcnt(4)
	v_cvt_f32_f16_sdwa v5, v11 dst_sel:DWORD dst_unused:UNUSED_PAD src0_sel:WORD_1
	v_cvt_f32_f16_e32 v4, v11
	v_cvt_f32_f16_e32 v36, v12
	;;#ASMSTART
	v_pk_mul_f32 v[14:15], v[62:63], v[6:7]
	;;#ASMEND
	;;#ASMSTART
	v_pk_mul_f32 v[8:9], v[64:65], v[8:9]
	;;#ASMEND
	v_cvt_f32_f16_sdwa v3, v10 dst_sel:DWORD dst_unused:UNUSED_PAD src0_sel:WORD_1
	v_cvt_f32_f16_e32 v2, v10
	v_cvt_f32_f16_sdwa v37, v12 dst_sel:DWORD dst_unused:UNUSED_PAD src0_sel:WORD_1
	;;#ASMSTART
	v_pk_mul_f32 v[10:11], v[40:41], v[2:3]
	;;#ASMEND
	;;#ASMSTART
	v_pk_mul_f32 v[6:7], v[66:67], v[4:5]
	;;#ASMEND
	;; [unrolled: 3-line block ×3, first 2 shown]
	v_and_b32_e32 v12, 0x7fffffff, v34
	v_mov_b32_e32 v36, 0x2edbe6ff
	v_cvt_f32_f16_sdwa v43, v13 dst_sel:DWORD dst_unused:UNUSED_PAD src0_sel:WORD_1
	v_cvt_f32_f16_e32 v42, v13
	;;#ASMSTART
	v_pk_mul_f32 v[2:3], v[38:39], v[42:43]
	;;#ASMEND
	v_and_b32_e32 v13, 0x7fffffff, v35
	;;#ASMSTART
	v_max3_f32 v12, v36, v12, v13

	;;#ASMEND
	v_and_b32_e32 v36, 0x7fffffff, v33
	v_and_b32_e32 v13, 0x7fffffff, v32
	;;#ASMSTART
	v_max3_f32 v12, v12, v13, v36

	;;#ASMEND
	v_and_b32_e32 v36, 0x7fffffff, v29
	;; [unrolled: 6-line block ×15, first 2 shown]
	v_and_b32_e32 v13, 0x7fffffff, v2
	;;#ASMSTART
	v_max3_f32 v36, v12, v13, v36

	;;#ASMEND
	s_cbranch_scc0 .LBB53_10
; %bb.4:
	s_ashr_i32 s12, s14, 31
	s_lshr_b32 s2, s12, 27
	s_add_i32 s2, s14, s2
	s_ashr_i32 s10, s2, 5
	s_cmp_lt_i32 s10, 16
	s_cbranch_scc1 .LBB53_11
; %bb.5:
	s_cmp_lt_i32 s10, 32
	s_cbranch_scc1 .LBB53_12
; %bb.6:
	;; [unrolled: 3-line block ×3, first 2 shown]
	s_cmp_eq_u32 s10, 64
	v_mov_b32_e32 v12, v36
	s_cbranch_scc0 .LBB53_9
; %bb.8:
	s_nop 0
	v_mov_b32_dpp v12, v36 quad_perm:[1,0,3,2] row_mask:0xf bank_mask:0xf
	v_cmp_gt_f32_e32 vcc, v36, v12
	v_cndmask_b32_e32 v12, v12, v36, vcc
	v_bfrev_b32_e32 v37, 0.5
	s_nop 0
	v_mov_b32_dpp v13, v12 quad_perm:[2,3,0,1] row_mask:0xf bank_mask:0xf
	v_cmp_gt_f32_e32 vcc, v12, v13
	v_cndmask_b32_e32 v12, v13, v12, vcc
	s_nop 1
	v_mov_b32_dpp v13, v12 row_ror:4 row_mask:0xf bank_mask:0xf
	v_cmp_gt_f32_e32 vcc, v12, v13
	v_cndmask_b32_e32 v12, v13, v12, vcc
	s_nop 1
	v_mov_b32_dpp v13, v12 row_ror:8 row_mask:0xf bank_mask:0xf
	v_cmp_gt_f32_e32 vcc, v12, v13
	v_cndmask_b32_e32 v12, v13, v12, vcc
	s_nop 1
	v_mov_b32_dpp v13, v12 row_bcast:15 row_mask:0xf bank_mask:0xf
	v_cmp_gt_f32_e32 vcc, v12, v13
	v_cndmask_b32_e32 v12, v13, v12, vcc
	s_nop 1
	v_mov_b32_dpp v13, v12 row_bcast:31 row_mask:0xf bank_mask:0xf
	v_cmp_gt_f32_e32 vcc, v12, v13
	v_cndmask_b32_e32 v12, v13, v12, vcc
	v_mbcnt_lo_u32_b32 v13, -1, 0
	v_mbcnt_hi_u32_b32 v13, -1, v13
	v_lshl_or_b32 v13, v13, 2, v37
	ds_bpermute_b32 v12, v13, v12
.LBB53_9:
	s_mov_b64 s[2:3], 0
	s_branch .LBB53_14
.LBB53_10:
	s_mov_b64 s[2:3], 0
                                        ; implicit-def: $vgpr37
                                        ; implicit-def: $vgpr12_vgpr13
	s_cbranch_execnz .LBB53_43
	s_branch .LBB53_46
.LBB53_11:
                                        ; implicit-def: $vgpr12
	s_branch .LBB53_21
.LBB53_12:
                                        ; implicit-def: $vgpr12
	s_branch .LBB53_18
.LBB53_13:
	s_mov_b64 s[2:3], -1
                                        ; implicit-def: $vgpr12
.LBB53_14:
	s_andn2_b64 vcc, exec, s[2:3]
	s_cbranch_vccnz .LBB53_17
; %bb.15:
	s_cmp_eq_u32 s10, 32
	s_waitcnt lgkmcnt(0)
	v_mov_b32_e32 v12, v36
	s_cbranch_scc0 .LBB53_17
; %bb.16:
	s_nop 0
	v_mov_b32_dpp v12, v36 quad_perm:[1,0,3,2] row_mask:0xf bank_mask:0xf
	v_cmp_gt_f32_e32 vcc, v36, v12
	v_cndmask_b32_e32 v12, v12, v36, vcc
	v_mov_b32_e32 v37, 0x7c
	s_nop 0
	v_mov_b32_dpp v13, v12 quad_perm:[2,3,0,1] row_mask:0xf bank_mask:0xf
	v_cmp_gt_f32_e32 vcc, v12, v13
	v_cndmask_b32_e32 v12, v13, v12, vcc
	s_nop 1
	v_mov_b32_dpp v13, v12 row_half_mirror row_mask:0xf bank_mask:0xf
	v_cmp_gt_f32_e32 vcc, v12, v13
	v_cndmask_b32_e32 v12, v13, v12, vcc
	s_nop 1
	v_mov_b32_dpp v13, v12 row_mirror row_mask:0xf bank_mask:0xf
	v_cmp_gt_f32_e32 vcc, v12, v13
	v_cndmask_b32_e32 v12, v13, v12, vcc
	s_nop 1
	v_mov_b32_dpp v13, v12 row_bcast:15 row_mask:0xa bank_mask:0xf
	v_cmp_gt_f32_e32 vcc, v12, v13
	v_cndmask_b32_e32 v12, v13, v12, vcc
	v_mbcnt_lo_u32_b32 v13, -1, 0
	v_mbcnt_hi_u32_b32 v13, -1, v13
	v_lshl_or_b32 v13, v13, 2, v37
	ds_bpermute_b32 v12, v13, v12
.LBB53_17:
	s_cbranch_execnz .LBB53_20
.LBB53_18:
	s_cmp_eq_u32 s10, 16
	s_waitcnt lgkmcnt(0)
	v_mov_b32_e32 v12, v36
	s_cbranch_scc0 .LBB53_20
; %bb.19:
	s_nop 0
	v_mov_b32_dpp v12, v36 quad_perm:[1,0,3,2] row_mask:0xf bank_mask:0xf
	v_cmp_gt_f32_e32 vcc, v36, v12
	v_cndmask_b32_e32 v12, v12, v36, vcc
	s_nop 1
	v_mov_b32_dpp v13, v12 quad_perm:[2,3,0,1] row_mask:0xf bank_mask:0xf
	v_cmp_gt_f32_e32 vcc, v12, v13
	v_cndmask_b32_e32 v12, v13, v12, vcc
	s_nop 1
	v_mov_b32_dpp v13, v12 row_half_mirror row_mask:0xf bank_mask:0xf
	v_cmp_gt_f32_e32 vcc, v12, v13
	v_cndmask_b32_e32 v12, v13, v12, vcc
	s_nop 1
	v_mov_b32_dpp v13, v12 row_mirror row_mask:0xf bank_mask:0xf
	v_cmp_gt_f32_e32 vcc, v12, v13
	v_cndmask_b32_e32 v12, v13, v12, vcc
.LBB53_20:
	s_cbranch_execnz .LBB53_33
.LBB53_21:
	s_cmp_lt_i32 s10, 4
	s_cbranch_scc1 .LBB53_25
; %bb.22:
	s_cmp_lt_i32 s10, 8
	s_cbranch_scc1 .LBB53_26
; %bb.23:
	s_cmp_eq_u32 s10, 8
	s_waitcnt lgkmcnt(0)
	v_mov_b32_e32 v12, v36
	s_cbranch_scc0 .LBB53_27
; %bb.24:
	s_nop 0
	v_mov_b32_dpp v12, v36 quad_perm:[1,0,3,2] row_mask:0xf bank_mask:0xf
	v_cmp_gt_f32_e32 vcc, v36, v12
	v_cndmask_b32_e32 v12, v12, v36, vcc
	s_nop 1
	v_mov_b32_dpp v13, v12 quad_perm:[2,3,0,1] row_mask:0xf bank_mask:0xf
	v_cmp_gt_f32_e32 vcc, v12, v13
	v_cndmask_b32_e32 v12, v13, v12, vcc
	s_nop 1
	v_mov_b32_dpp v13, v12 row_half_mirror row_mask:0xf bank_mask:0xf
	v_cmp_gt_f32_e32 vcc, v12, v13
	v_cndmask_b32_e32 v12, v13, v12, vcc
	s_cbranch_execz .LBB53_28
	s_branch .LBB53_30
.LBB53_25:
                                        ; implicit-def: $vgpr12
	s_branch .LBB53_31
.LBB53_26:
                                        ; implicit-def: $vgpr12
	s_branch .LBB53_28
.LBB53_27:
	s_cbranch_execnz .LBB53_30
.LBB53_28:
	s_cmp_eq_u32 s10, 4
	s_waitcnt lgkmcnt(0)
	v_mov_b32_e32 v12, v36
	s_cbranch_scc0 .LBB53_30
; %bb.29:
	s_nop 0
	v_mov_b32_dpp v12, v36 quad_perm:[1,0,3,2] row_mask:0xf bank_mask:0xf
	v_cmp_gt_f32_e32 vcc, v36, v12
	v_cndmask_b32_e32 v12, v12, v36, vcc
	s_nop 1
	v_mov_b32_dpp v13, v12 quad_perm:[2,3,0,1] row_mask:0xf bank_mask:0xf
	v_cmp_gt_f32_e32 vcc, v12, v13
	v_cndmask_b32_e32 v12, v13, v12, vcc
.LBB53_30:
	s_cbranch_execnz .LBB53_33
.LBB53_31:
	s_cmp_lg_u32 s10, 2
	s_waitcnt lgkmcnt(0)
	v_mov_b32_e32 v12, v36
	s_cbranch_scc1 .LBB53_33
; %bb.32:
	s_nop 0
	v_mov_b32_dpp v12, v36 quad_perm:[1,0,3,2] row_mask:0xf bank_mask:0xf
	v_cmp_gt_f32_e32 vcc, v36, v12
	v_cndmask_b32_e32 v12, v12, v36, vcc
.LBB53_33:
	v_cvt_f32_u32_e32 v13, s10
	s_waitcnt lgkmcnt(0)
	v_mul_f32_e32 v37, 0x3c010204, v12
	s_sub_i32 s2, 0, s10
	v_cmp_gt_u32_e32 vcc, s9, v50
	v_rcp_iflag_f32_e32 v13, v13
	s_mov_b64 s[4:5], 0
	v_mul_f32_e32 v12, 0x4f7ffffe, v13
	v_cvt_u32_f32_e32 v12, v12
	v_mul_lo_u32 v13, s2, v12
	v_mul_hi_u32 v13, v12, v13
	v_add_u32_e32 v12, v12, v13
	v_mul_hi_u32 v12, v0, v12
	v_mul_lo_u32 v13, v12, s10
	v_sub_u32_e32 v13, v0, v13
	v_add_u32_e32 v38, 1, v12
	v_cmp_le_u32_e64 s[2:3], s10, v13
	v_cndmask_b32_e64 v12, v12, v38, s[2:3]
	v_subrev_u32_e32 v38, s10, v13
	v_cndmask_b32_e64 v13, v13, v38, s[2:3]
	v_add_u32_e32 v38, 1, v12
	v_cmp_le_u32_e64 s[2:3], s10, v13
	v_cndmask_b32_e64 v38, v12, v38, s[2:3]
	v_mul_lo_u32 v12, v38, s10
	v_sub_u32_e32 v12, v0, v12
	v_cmp_eq_u32_e64 s[2:3], 0, v12
	s_and_b64 s[10:11], s[2:3], vcc
	s_mov_b64 s[2:3], 0
                                        ; implicit-def: $vgpr12_vgpr13
	s_and_saveexec_b64 s[18:19], s[10:11]
	s_xor_b64 s[10:11], exec, s[18:19]
	s_cbranch_execz .LBB53_42
; %bb.34:
	s_bitcmp0_b32 s15, 0
	s_cbranch_scc0 .LBB53_39
; %bb.35:
	s_ashr_i32 s2, s9, 31
	s_mul_hi_u32 s3, s9, s6
	s_mul_i32 s2, s2, s6
	s_add_i32 s19, s3, s2
	s_mul_i32 s18, s9, s6
	s_mov_b32 s15, s12
	s_or_b64 s[2:3], s[18:19], s[14:15]
	s_mov_b32 s2, 0
	s_cmp_lg_u64 s[2:3], 0
	s_cbranch_scc0 .LBB53_50
; %bb.36:
	s_add_u32 s2, s14, s15
	s_mov_b32 s24, s15
	s_mov_b32 s25, s15
	s_addc_u32 s3, s15, s15
	s_xor_b64 s[26:27], s[2:3], s[24:25]
	v_cvt_f32_u32_e32 v12, s26
	v_cvt_f32_u32_e32 v13, s27
	s_sub_u32 s2, 0, s26
	s_subb_u32 s3, 0, s27
	v_madmk_f32 v12, v13, 0x4f800000, v12
	v_rcp_f32_e32 v12, v12
	v_mul_f32_e32 v12, 0x5f7ffffc, v12
	v_mul_f32_e32 v13, 0x2f800000, v12
	v_trunc_f32_e32 v13, v13
	v_madmk_f32 v12, v13, 0xcf800000, v12
	v_cvt_u32_f32_e32 v13, v13
	v_cvt_u32_f32_e32 v12, v12
	v_readfirstlane_b32 s12, v13
	v_readfirstlane_b32 s15, v12
	s_mul_i32 s28, s2, s12
	s_mul_hi_u32 s30, s2, s15
	s_mul_i32 s29, s3, s15
	s_add_i32 s28, s30, s28
	s_add_i32 s28, s28, s29
	s_mul_i32 s31, s2, s15
	s_mul_hi_u32 s29, s15, s28
	s_mul_i32 s30, s15, s28
	s_mul_hi_u32 s15, s15, s31
	s_add_u32 s15, s15, s30
	s_addc_u32 s29, 0, s29
	s_mul_hi_u32 s33, s12, s31
	s_mul_i32 s31, s12, s31
	s_add_u32 s15, s15, s31
	s_mul_hi_u32 s30, s12, s28
	s_addc_u32 s15, s29, s33
	s_addc_u32 s29, s30, 0
	s_mul_i32 s28, s12, s28
	s_add_u32 s15, s15, s28
	s_addc_u32 s28, 0, s29
	v_add_co_u32_e32 v12, vcc, s15, v12
	s_cmp_lg_u64 vcc, 0
	s_addc_u32 s12, s12, s28
	v_readfirstlane_b32 s28, v12
	s_mul_i32 s15, s2, s12
	s_mul_hi_u32 s29, s2, s28
	s_add_i32 s15, s29, s15
	s_mul_i32 s3, s3, s28
	s_add_i32 s15, s15, s3
	s_mul_i32 s2, s2, s28
	s_mul_hi_u32 s29, s12, s2
	s_mul_i32 s30, s12, s2
	s_mul_i32 s33, s28, s15
	s_mul_hi_u32 s2, s28, s2
	s_mul_hi_u32 s31, s28, s15
	s_add_u32 s2, s2, s33
	s_addc_u32 s28, 0, s31
	s_add_u32 s2, s2, s30
	s_mul_hi_u32 s3, s12, s15
	s_addc_u32 s2, s28, s29
	s_addc_u32 s3, s3, 0
	s_mul_i32 s15, s12, s15
	s_add_u32 s2, s2, s15
	s_addc_u32 s3, 0, s3
	v_add_co_u32_e32 v12, vcc, s2, v12
	s_cmp_lg_u64 vcc, 0
	s_addc_u32 s12, s12, s3
	s_ashr_i32 s28, s19, 31
	s_add_u32 s2, s18, s28
	s_mov_b32 s29, s28
	s_addc_u32 s3, s19, s28
	s_xor_b64 s[30:31], s[2:3], s[28:29]
	v_readfirstlane_b32 s15, v12
	s_mul_i32 s3, s30, s12
	s_mul_hi_u32 s19, s30, s15
	s_mul_hi_u32 s2, s30, s12
	s_add_u32 s3, s19, s3
	s_addc_u32 s2, 0, s2
	s_mul_hi_u32 s33, s31, s15
	s_mul_i32 s15, s31, s15
	s_add_u32 s3, s3, s15
	s_mul_hi_u32 s19, s31, s12
	s_addc_u32 s2, s2, s33
	s_addc_u32 s3, s19, 0
	s_mul_i32 s12, s31, s12
	s_add_u32 s12, s2, s12
	s_addc_u32 s15, 0, s3
	s_mul_i32 s2, s26, s15
	s_mul_hi_u32 s3, s26, s12
	s_add_i32 s2, s3, s2
	s_mul_i32 s3, s27, s12
	s_add_i32 s19, s2, s3
	s_mul_i32 s3, s26, s12
	v_mov_b32_e32 v12, s3
	s_sub_i32 s2, s31, s19
	v_sub_co_u32_e32 v12, vcc, s30, v12
	s_cmp_lg_u64 vcc, 0
	s_subb_u32 s30, s2, s27
	v_subrev_co_u32_e64 v13, s[2:3], s26, v12
	s_cmp_lg_u64 s[2:3], 0
	s_subb_u32 s30, s30, 0
	s_cmp_ge_u32 s30, s27
	s_cselect_b32 s33, -1, 0
	v_cmp_le_u32_e64 s[2:3], s26, v13
	s_cmp_eq_u32 s30, s27
	v_cndmask_b32_e64 v13, 0, -1, s[2:3]
	v_mov_b32_e32 v39, s33
	s_cselect_b64 s[2:3], -1, 0
	v_cndmask_b32_e64 v13, v39, v13, s[2:3]
	s_add_u32 s2, s12, 1
	s_addc_u32 s30, s15, 0
	s_add_u32 s3, s12, 2
	s_addc_u32 s33, s15, 0
	v_mov_b32_e32 v39, s2
	v_mov_b32_e32 v40, s3
	v_cmp_ne_u32_e64 s[2:3], 0, v13
	v_cndmask_b32_e64 v13, v39, v40, s[2:3]
	v_mov_b32_e32 v39, s30
	v_mov_b32_e32 v40, s33
	s_cmp_lg_u64 vcc, 0
	v_cndmask_b32_e64 v39, v39, v40, s[2:3]
	s_subb_u32 s2, s31, s19
	s_cmp_ge_u32 s2, s27
	s_cselect_b32 s3, -1, 0
	v_cmp_le_u32_e32 vcc, s26, v12
	s_cmp_eq_u32 s2, s27
	v_cndmask_b32_e64 v12, 0, -1, vcc
	v_mov_b32_e32 v40, s3
	s_cselect_b64 vcc, -1, 0
	v_cndmask_b32_e32 v12, v40, v12, vcc
	v_mov_b32_e32 v40, s15
	v_cmp_ne_u32_e32 vcc, 0, v12
	v_cndmask_b32_e32 v12, v40, v39, vcc
	v_mov_b32_e32 v39, s12
	v_cndmask_b32_e32 v13, v39, v13, vcc
	s_xor_b64 s[2:3], s[28:29], s[24:25]
	v_xor_b32_e32 v13, s2, v13
	v_xor_b32_e32 v39, s3, v12
	v_mov_b32_e32 v40, s3
	v_subrev_co_u32_e32 v12, vcc, s2, v13
	v_subb_co_u32_e32 v13, vcc, v39, v40, vcc
	s_cbranch_execnz .LBB53_38
.LBB53_37:
	v_cvt_f32_u32_e32 v12, s14
	s_sub_i32 s2, 0, s14
	s_mov_b32 s3, 0
	v_rcp_iflag_f32_e32 v12, v12
	v_mul_f32_e32 v12, 0x4f7ffffe, v12
	v_cvt_u32_f32_e32 v12, v12
	v_readfirstlane_b32 s12, v12
	s_mul_i32 s2, s2, s12
	s_mul_hi_u32 s2, s12, s2
	s_add_i32 s12, s12, s2
	s_mul_hi_u32 s2, s18, s12
	s_mul_i32 s15, s2, s14
	s_sub_i32 s15, s18, s15
	s_add_i32 s12, s2, 1
	s_sub_i32 s18, s15, s14
	s_cmp_ge_u32 s15, s14
	s_cselect_b32 s2, s12, s2
	s_cselect_b32 s15, s18, s15
	s_add_i32 s12, s2, 1
	s_cmp_ge_u32 s15, s14
	s_cselect_b32 s2, s12, s2
	v_pk_mov_b32 v[12:13], s[2:3], s[2:3] op_sel:[0,1]
.LBB53_38:
	v_add_co_u32_e32 v12, vcc, v12, v38
	v_addc_co_u32_e32 v13, vcc, 0, v13, vcc
	s_branch .LBB53_41
.LBB53_39:
                                        ; implicit-def: $vgpr12_vgpr13
	s_cbranch_execz .LBB53_41
; %bb.40:
	v_mul_lo_u32 v12, v38, s8
	v_ashrrev_i32_e32 v13, 31, v12
	v_mov_b32_e32 v38, s7
	v_add_co_u32_e32 v12, vcc, s6, v12
	v_addc_co_u32_e32 v13, vcc, v13, v38, vcc
.LBB53_41:
	s_mov_b64 s[2:3], exec
.LBB53_42:
	s_or_b64 exec, exec, s[10:11]
	s_and_b64 vcc, exec, s[4:5]
	s_cbranch_vccz .LBB53_46
.LBB53_43:
	v_mov_b32_dpp v12, v36 quad_perm:[1,0,3,2] row_mask:0xf bank_mask:0xf
	v_cmp_gt_f32_e32 vcc, v36, v12
	v_cndmask_b32_e32 v12, v12, v36, vcc
	s_nop 1
	v_mov_b32_dpp v13, v12 quad_perm:[2,3,0,1] row_mask:0xf bank_mask:0xf
	v_cmp_gt_f32_e32 vcc, v12, v13
	v_cndmask_b32_e32 v12, v13, v12, vcc
	s_nop 1
	v_mov_b32_dpp v13, v12 row_half_mirror row_mask:0xf bank_mask:0xf
	v_cmp_gt_f32_e32 vcc, v12, v13
	v_cndmask_b32_e32 v12, v13, v12, vcc
	s_nop 1
	v_mov_b32_dpp v13, v12 row_mirror row_mask:0xf bank_mask:0xf
	v_cmp_gt_f32_e32 vcc, v12, v13
	v_cndmask_b32_e32 v12, v13, v12, vcc
	s_nop 1
	v_mov_b32_dpp v13, v12 row_bcast:15 row_mask:0xf bank_mask:0xf
	v_cmp_gt_f32_e32 vcc, v12, v13
	v_cndmask_b32_e32 v12, v13, v12, vcc
	s_nop 1
	v_mov_b32_dpp v13, v12 row_bcast:31 row_mask:0xf bank_mask:0xf
	s_and_saveexec_b64 s[2:3], s[0:1]
	s_cbranch_execz .LBB53_45
; %bb.44:
	v_lshrrev_b32_e32 v36, 4, v0
	v_cmp_gt_f32_e32 vcc, v12, v13
	v_and_b32_e32 v36, 60, v36
	v_cndmask_b32_e32 v12, v13, v12, vcc
	ds_write_b32 v36, v12
.LBB53_45:
	s_or_b64 exec, exec, s[2:3]
	s_waitcnt lgkmcnt(0)
	s_barrier
	ds_read_b32 v12, v51
	v_cmp_eq_u32_e64 s[2:3], 0, v0
	s_waitcnt lgkmcnt(0)
	v_mov_b32_dpp v13, v12 quad_perm:[1,0,3,2] row_mask:0xf bank_mask:0xf
	v_cmp_gt_f32_e32 vcc, v12, v13
	v_cndmask_b32_e32 v12, v13, v12, vcc
	s_nop 1
	v_mov_b32_dpp v13, v12 quad_perm:[2,3,0,1] row_mask:0xf bank_mask:0xf
	v_cmp_gt_f32_e32 vcc, v12, v13
	v_cndmask_b32_e32 v12, v13, v12, vcc
	v_mul_f32_e32 v37, 0x3c010204, v12
	v_pk_mov_b32 v[12:13], s[6:7], s[6:7] op_sel:[0,1]
.LBB53_46:
	s_and_saveexec_b64 s[0:1], s[2:3]
	s_cbranch_execz .LBB53_48
; %bb.47:
	v_lshlrev_b64 v[12:13], 2, v[12:13]
	v_mov_b32_e32 v0, s21
	v_add_co_u32_e32 v12, vcc, s20, v12
	v_addc_co_u32_e32 v13, vcc, v0, v13, vcc
	global_store_dword v[12:13], v37, off
.LBB53_48:
	s_or_b64 exec, exec, s[0:1]
	s_add_i32 s0, s9, 3
	s_ashr_i32 s1, s0, 31
	s_lshr_b32 s1, s1, 30
	;;#ASMSTART
	v_rcp_f32 v12, v37
	;;#ASMEND
	v_mov_b32_e32 v13, v12
	;;#ASMSTART
	v_pk_mul_f32 v[34:35], v[34:35], v[12:13]
	;;#ASMEND
	;;#ASMSTART
	v_pk_mul_f32 v[32:33], v[32:33], v[12:13]
	;;#ASMEND
	s_add_i32 s0, s0, s1
	v_cvt_i32_f32_e32 v0, v34
	v_cvt_i32_f32_sdwa v34, v35 dst_sel:BYTE_1 dst_unused:UNUSED_PAD src0_sel:DWORD
	v_cvt_i32_f32_e32 v32, v32
	v_cvt_i32_f32_sdwa v33, v33 dst_sel:BYTE_1 dst_unused:UNUSED_PAD src0_sel:DWORD
	;;#ASMSTART
	v_pk_mul_f32 v[28:29], v[28:29], v[12:13]
	;;#ASMEND
	;;#ASMSTART
	v_pk_mul_f32 v[26:27], v[26:27], v[12:13]
	;;#ASMEND
	s_and_b32 s2, s0, -4
	s_ashr_i32 s0, s13, 31
	v_cvt_i32_f32_e32 v28, v28
	v_cvt_i32_f32_sdwa v29, v29 dst_sel:BYTE_1 dst_unused:UNUSED_PAD src0_sel:DWORD
	v_cvt_i32_f32_e32 v35, v26
	v_cvt_i32_f32_sdwa v27, v27 dst_sel:BYTE_1 dst_unused:UNUSED_PAD src0_sel:DWORD
	s_mul_hi_u32 s1, s13, s6
	s_mul_i32 s0, s0, s6
	s_add_i32 s1, s1, s0
	s_mul_i32 s0, s13, s6
	s_add_u32 s0, s16, s0
	v_or_b32_sdwa v0, v0, v34 dst_sel:DWORD dst_unused:UNUSED_PAD src0_sel:BYTE_0 src1_sel:DWORD
	v_or_b32_sdwa v26, v32, v33 dst_sel:WORD_1 dst_unused:UNUSED_PAD src0_sel:BYTE_0 src1_sel:DWORD
	s_addc_u32 s1, s17, s1
	v_or_b32_sdwa v26, v0, v26 dst_sel:DWORD dst_unused:UNUSED_PAD src0_sel:WORD_0 src1_sel:DWORD
	v_or_b32_sdwa v0, v28, v29 dst_sel:DWORD dst_unused:UNUSED_PAD src0_sel:BYTE_0 src1_sel:DWORD
	v_or_b32_sdwa v27, v35, v27 dst_sel:WORD_1 dst_unused:UNUSED_PAD src0_sel:BYTE_0 src1_sel:DWORD
	s_and_b32 s1, s1, 0xffff
	s_mov_b32 s3, 0x20000
	v_or_b32_sdwa v27, v0, v27 dst_sel:DWORD dst_unused:UNUSED_PAD src0_sel:WORD_0 src1_sel:DWORD
	buffer_store_dwordx2 v[26:27], v1, s[0:3], 0 offen
	;;#ASMSTART
	s_nop 0
	;;#ASMEND
	;;#ASMSTART
	v_pk_mul_f32 v[26:27], v[30:31], v[12:13]
	;;#ASMEND
	;;#ASMSTART
	v_pk_mul_f32 v[24:25], v[24:25], v[12:13]
	;;#ASMEND
	v_cvt_i32_f32_e32 v0, v26
	v_cvt_i32_f32_sdwa v26, v27 dst_sel:BYTE_1 dst_unused:UNUSED_PAD src0_sel:DWORD
	v_cvt_i32_f32_e32 v24, v24
	v_cvt_i32_f32_sdwa v25, v25 dst_sel:BYTE_1 dst_unused:UNUSED_PAD src0_sel:DWORD
	;;#ASMSTART
	v_pk_mul_f32 v[22:23], v[22:23], v[12:13]
	;;#ASMEND
	;;#ASMSTART
	v_pk_mul_f32 v[18:19], v[18:19], v[12:13]
	;;#ASMEND
	v_cvt_i32_f32_e32 v22, v22
	v_cvt_i32_f32_sdwa v23, v23 dst_sel:BYTE_1 dst_unused:UNUSED_PAD src0_sel:DWORD
	v_cvt_i32_f32_e32 v27, v18
	v_cvt_i32_f32_sdwa v19, v19 dst_sel:BYTE_1 dst_unused:UNUSED_PAD src0_sel:DWORD
	v_or_b32_sdwa v0, v0, v26 dst_sel:DWORD dst_unused:UNUSED_PAD src0_sel:BYTE_0 src1_sel:DWORD
	v_or_b32_sdwa v18, v24, v25 dst_sel:WORD_1 dst_unused:UNUSED_PAD src0_sel:BYTE_0 src1_sel:DWORD
	v_or_b32_sdwa v18, v0, v18 dst_sel:DWORD dst_unused:UNUSED_PAD src0_sel:WORD_0 src1_sel:DWORD
	v_or_b32_sdwa v0, v22, v23 dst_sel:DWORD dst_unused:UNUSED_PAD src0_sel:BYTE_0 src1_sel:DWORD
	v_or_b32_sdwa v19, v27, v19 dst_sel:WORD_1 dst_unused:UNUSED_PAD src0_sel:BYTE_0 src1_sel:DWORD
	v_or_b32_sdwa v19, v0, v19 dst_sel:DWORD dst_unused:UNUSED_PAD src0_sel:WORD_0 src1_sel:DWORD
	s_movk_i32 s4, 0x200
	buffer_store_dwordx2 v[18:19], v1, s[0:3], s4 offen
	;;#ASMSTART
	s_nop 0
	;;#ASMEND
	;;#ASMSTART
	v_pk_mul_f32 v[18:19], v[20:21], v[12:13]
	;;#ASMEND
	;;#ASMSTART
	v_pk_mul_f32 v[16:17], v[16:17], v[12:13]
	;;#ASMEND
	v_cvt_i32_f32_e32 v0, v18
	v_cvt_i32_f32_sdwa v18, v19 dst_sel:BYTE_1 dst_unused:UNUSED_PAD src0_sel:DWORD
	v_cvt_i32_f32_e32 v16, v16
	v_cvt_i32_f32_sdwa v17, v17 dst_sel:BYTE_1 dst_unused:UNUSED_PAD src0_sel:DWORD
	;;#ASMSTART
	v_pk_mul_f32 v[14:15], v[14:15], v[12:13]
	;;#ASMEND
	;;#ASMSTART
	v_pk_mul_f32 v[8:9], v[8:9], v[12:13]
	;;#ASMEND
	v_cvt_i32_f32_e32 v14, v14
	v_cvt_i32_f32_sdwa v15, v15 dst_sel:BYTE_1 dst_unused:UNUSED_PAD src0_sel:DWORD
	v_cvt_i32_f32_e32 v19, v8
	v_cvt_i32_f32_sdwa v9, v9 dst_sel:BYTE_1 dst_unused:UNUSED_PAD src0_sel:DWORD
	v_or_b32_sdwa v0, v0, v18 dst_sel:DWORD dst_unused:UNUSED_PAD src0_sel:BYTE_0 src1_sel:DWORD
	v_or_b32_sdwa v8, v16, v17 dst_sel:WORD_1 dst_unused:UNUSED_PAD src0_sel:BYTE_0 src1_sel:DWORD
	v_or_b32_sdwa v8, v0, v8 dst_sel:DWORD dst_unused:UNUSED_PAD src0_sel:WORD_0 src1_sel:DWORD
	v_or_b32_sdwa v0, v14, v15 dst_sel:DWORD dst_unused:UNUSED_PAD src0_sel:BYTE_0 src1_sel:DWORD
	v_or_b32_sdwa v9, v19, v9 dst_sel:WORD_1 dst_unused:UNUSED_PAD src0_sel:BYTE_0 src1_sel:DWORD
	v_or_b32_sdwa v9, v0, v9 dst_sel:DWORD dst_unused:UNUSED_PAD src0_sel:WORD_0 src1_sel:DWORD
	s_movk_i32 s4, 0x400
	buffer_store_dwordx2 v[8:9], v1, s[0:3], s4 offen
	;;#ASMSTART
	s_nop 0
	;;#ASMEND
	;;#ASMSTART
	v_pk_mul_f32 v[8:9], v[10:11], v[12:13]
	;;#ASMEND
	;;#ASMSTART
	v_pk_mul_f32 v[6:7], v[6:7], v[12:13]
	;;#ASMEND
	v_cvt_i32_f32_e32 v0, v8
	v_cvt_i32_f32_sdwa v8, v9 dst_sel:BYTE_1 dst_unused:UNUSED_PAD src0_sel:DWORD
	v_cvt_i32_f32_e32 v6, v6
	v_cvt_i32_f32_sdwa v7, v7 dst_sel:BYTE_1 dst_unused:UNUSED_PAD src0_sel:DWORD
	;;#ASMSTART
	v_pk_mul_f32 v[4:5], v[4:5], v[12:13]
	;;#ASMEND
	;;#ASMSTART
	v_pk_mul_f32 v[2:3], v[2:3], v[12:13]
	;;#ASMEND
	v_cvt_i32_f32_e32 v4, v4
	v_cvt_i32_f32_sdwa v5, v5 dst_sel:BYTE_1 dst_unused:UNUSED_PAD src0_sel:DWORD
	v_cvt_i32_f32_e32 v9, v2
	v_cvt_i32_f32_sdwa v3, v3 dst_sel:BYTE_1 dst_unused:UNUSED_PAD src0_sel:DWORD
	v_or_b32_sdwa v0, v0, v8 dst_sel:DWORD dst_unused:UNUSED_PAD src0_sel:BYTE_0 src1_sel:DWORD
	v_or_b32_sdwa v2, v6, v7 dst_sel:WORD_1 dst_unused:UNUSED_PAD src0_sel:BYTE_0 src1_sel:DWORD
	v_or_b32_sdwa v2, v0, v2 dst_sel:DWORD dst_unused:UNUSED_PAD src0_sel:WORD_0 src1_sel:DWORD
	v_or_b32_sdwa v0, v4, v5 dst_sel:DWORD dst_unused:UNUSED_PAD src0_sel:BYTE_0 src1_sel:DWORD
	v_or_b32_sdwa v3, v9, v3 dst_sel:WORD_1 dst_unused:UNUSED_PAD src0_sel:BYTE_0 src1_sel:DWORD
	v_or_b32_sdwa v3, v0, v3 dst_sel:DWORD dst_unused:UNUSED_PAD src0_sel:WORD_0 src1_sel:DWORD
	s_movk_i32 s4, 0x600
	buffer_store_dwordx2 v[2:3], v1, s[0:3], s4 offen
	;;#ASMSTART
	s_nop 0
	;;#ASMEND
.LBB53_49:
	s_endpgm
.LBB53_50:
                                        ; implicit-def: $vgpr12_vgpr13
	s_branch .LBB53_37
	.section	.rodata,"a",@progbits
	.p2align	6, 0x0
	.amdhsa_kernel _ZN5aiter24add_rmsnorm_quant_kernelIDF16_aLi256ELi32ELb1ELb1ELb1ELi1EEEvPT0_PT_PfS4_S4_S4_diiiiiiib
		.amdhsa_group_segment_fixed_size 32
		.amdhsa_private_segment_fixed_size 0
		.amdhsa_kernarg_size 88
		.amdhsa_user_sgpr_count 6
		.amdhsa_user_sgpr_private_segment_buffer 1
		.amdhsa_user_sgpr_dispatch_ptr 0
		.amdhsa_user_sgpr_queue_ptr 0
		.amdhsa_user_sgpr_kernarg_segment_ptr 1
		.amdhsa_user_sgpr_dispatch_id 0
		.amdhsa_user_sgpr_flat_scratch_init 0
		.amdhsa_user_sgpr_kernarg_preload_length 0
		.amdhsa_user_sgpr_kernarg_preload_offset 0
		.amdhsa_user_sgpr_private_segment_size 0
		.amdhsa_uses_dynamic_stack 0
		.amdhsa_system_sgpr_private_segment_wavefront_offset 0
		.amdhsa_system_sgpr_workgroup_id_x 1
		.amdhsa_system_sgpr_workgroup_id_y 0
		.amdhsa_system_sgpr_workgroup_id_z 0
		.amdhsa_system_sgpr_workgroup_info 0
		.amdhsa_system_vgpr_workitem_id 0
		.amdhsa_next_free_vgpr 70
		.amdhsa_next_free_sgpr 40
		.amdhsa_accum_offset 72
		.amdhsa_reserve_vcc 1
		.amdhsa_reserve_flat_scratch 0
		.amdhsa_float_round_mode_32 0
		.amdhsa_float_round_mode_16_64 0
		.amdhsa_float_denorm_mode_32 3
		.amdhsa_float_denorm_mode_16_64 3
		.amdhsa_dx10_clamp 1
		.amdhsa_ieee_mode 1
		.amdhsa_fp16_overflow 0
		.amdhsa_tg_split 0
		.amdhsa_exception_fp_ieee_invalid_op 0
		.amdhsa_exception_fp_denorm_src 0
		.amdhsa_exception_fp_ieee_div_zero 0
		.amdhsa_exception_fp_ieee_overflow 0
		.amdhsa_exception_fp_ieee_underflow 0
		.amdhsa_exception_fp_ieee_inexact 0
		.amdhsa_exception_int_div_zero 0
	.end_amdhsa_kernel
	.section	.text._ZN5aiter24add_rmsnorm_quant_kernelIDF16_aLi256ELi32ELb1ELb1ELb1ELi1EEEvPT0_PT_PfS4_S4_S4_diiiiiiib,"axG",@progbits,_ZN5aiter24add_rmsnorm_quant_kernelIDF16_aLi256ELi32ELb1ELb1ELb1ELi1EEEvPT0_PT_PfS4_S4_S4_diiiiiiib,comdat
.Lfunc_end53:
	.size	_ZN5aiter24add_rmsnorm_quant_kernelIDF16_aLi256ELi32ELb1ELb1ELb1ELi1EEEvPT0_PT_PfS4_S4_S4_diiiiiiib, .Lfunc_end53-_ZN5aiter24add_rmsnorm_quant_kernelIDF16_aLi256ELi32ELb1ELb1ELb1ELi1EEEvPT0_PT_PfS4_S4_S4_diiiiiiib
                                        ; -- End function
	.section	.AMDGPU.csdata,"",@progbits
; Kernel info:
; codeLenInByte = 5308
; NumSgprs: 44
; NumVgprs: 70
; NumAgprs: 0
; TotalNumVgprs: 70
; ScratchSize: 0
; MemoryBound: 0
; FloatMode: 240
; IeeeMode: 1
; LDSByteSize: 32 bytes/workgroup (compile time only)
; SGPRBlocks: 5
; VGPRBlocks: 8
; NumSGPRsForWavesPerEU: 44
; NumVGPRsForWavesPerEU: 70
; AccumOffset: 72
; Occupancy: 7
; WaveLimiterHint : 0
; COMPUTE_PGM_RSRC2:SCRATCH_EN: 0
; COMPUTE_PGM_RSRC2:USER_SGPR: 6
; COMPUTE_PGM_RSRC2:TRAP_HANDLER: 0
; COMPUTE_PGM_RSRC2:TGID_X_EN: 1
; COMPUTE_PGM_RSRC2:TGID_Y_EN: 0
; COMPUTE_PGM_RSRC2:TGID_Z_EN: 0
; COMPUTE_PGM_RSRC2:TIDIG_COMP_CNT: 0
; COMPUTE_PGM_RSRC3_GFX90A:ACCUM_OFFSET: 17
; COMPUTE_PGM_RSRC3_GFX90A:TG_SPLIT: 0
	.section	.text._ZN5aiter24add_rmsnorm_quant_kernelItaLi256ELi32ELb1ELb1ELb1ELi1EEEvPT0_PT_PfS4_S4_S4_diiiiiiib,"axG",@progbits,_ZN5aiter24add_rmsnorm_quant_kernelItaLi256ELi32ELb1ELb1ELb1ELi1EEEvPT0_PT_PfS4_S4_S4_diiiiiiib,comdat
	.protected	_ZN5aiter24add_rmsnorm_quant_kernelItaLi256ELi32ELb1ELb1ELb1ELi1EEEvPT0_PT_PfS4_S4_S4_diiiiiiib ; -- Begin function _ZN5aiter24add_rmsnorm_quant_kernelItaLi256ELi32ELb1ELb1ELb1ELi1EEEvPT0_PT_PfS4_S4_S4_diiiiiiib
	.globl	_ZN5aiter24add_rmsnorm_quant_kernelItaLi256ELi32ELb1ELb1ELb1ELi1EEEvPT0_PT_PfS4_S4_S4_diiiiiiib
	.p2align	8
	.type	_ZN5aiter24add_rmsnorm_quant_kernelItaLi256ELi32ELb1ELb1ELb1ELi1EEEvPT0_PT_PfS4_S4_S4_diiiiiiib,@function
_ZN5aiter24add_rmsnorm_quant_kernelItaLi256ELi32ELb1ELb1ELb1ELi1EEEvPT0_PT_PfS4_S4_S4_diiiiiiib: ; @_ZN5aiter24add_rmsnorm_quant_kernelItaLi256ELi32ELb1ELb1ELb1ELi1EEEvPT0_PT_PfS4_S4_S4_diiiiiiib
; %bb.0:
	s_load_dwordx8 s[8:15], s[4:5], 0x38
	s_mov_b32 s7, 0
	s_waitcnt lgkmcnt(0)
	s_ashr_i32 s0, s8, 31
	v_mov_b32_e32 v2, s8
	v_mov_b32_e32 v3, s0
	v_cmp_ge_i64_e32 vcc, s[6:7], v[2:3]
	s_cbranch_vccnz .LBB54_49
; %bb.1:
	s_load_dwordx8 s[16:23], s[4:5], 0x0
	s_load_dwordx8 s[24:31], s[4:5], 0x20
	s_ashr_i32 s0, s10, 31
	s_mul_hi_u32 s1, s10, s6
	s_mul_i32 s0, s0, s6
	s_add_i32 s1, s1, s0
	s_mul_i32 s0, s10, s6
	s_lshl_b64 s[0:1], s[0:1], 1
	s_waitcnt lgkmcnt(0)
	s_add_u32 s0, s22, s0
	s_addc_u32 s1, s23, s1
	s_add_i32 s2, s9, 1
	s_lshr_b32 s3, s2, 31
	v_lshlrev_b32_e32 v50, 5, v0
	s_add_i32 s2, s2, s3
	v_lshlrev_b32_e32 v1, 3, v0
	v_and_b32_e32 v2, 0x7800, v50
	s_movk_i32 s4, 0x1f8
	s_lshl_b32 s2, s2, 1
	v_and_or_b32 v1, v1, s4, v2
	s_and_b32 s2, s2, -4
	s_and_b32 s1, s1, 0xffff
	s_mov_b32 s3, 0x20000
	v_lshlrev_b32_e32 v51, 1, v1
	s_movk_i32 s10, 0x400
	s_movk_i32 s5, 0x800
	buffer_load_dwordx4 v[2:5], v51, s[0:3], s10 offen glc slc
	buffer_load_dwordx4 v[10:13], v51, s[0:3], 0 offen glc slc
	s_movk_i32 s4, 0xc00
	buffer_load_dwordx4 v[6:9], v51, s[0:3], s5 offen glc slc
	buffer_load_dwordx4 v[18:21], v51, s[0:3], s4 offen glc slc
	s_ashr_i32 s0, s11, 31
	s_mul_hi_u32 s1, s11, s6
	s_mul_i32 s0, s0, s6
	s_add_i32 s1, s1, s0
	s_mul_i32 s0, s11, s6
	s_and_b32 s37, s27, 0xffff
	s_lshl_b64 s[0:1], s[0:1], 1
	s_add_u32 s0, s24, s0
	s_addc_u32 s1, s25, s1
	s_and_b32 s1, s1, 0xffff
	buffer_load_dwordx4 v[26:29], v51, s[0:3], s10 offen glc slc
	buffer_load_dwordx4 v[30:33], v51, s[0:3], s5 offen glc slc
	;; [unrolled: 1-line block ×4, first 2 shown]
	s_mov_b32 s39, s3
	s_mov_b32 s36, s26
	s_mov_b32 s38, s2
	s_ashr_i32 s0, s12, 31
	s_mul_hi_u32 s1, s12, s6
	s_mul_i32 s0, s0, s6
	s_add_i32 s1, s1, s0
	s_mul_i32 s0, s12, s6
	s_lshl_b64 s[0:1], s[0:1], 1
	s_add_u32 s0, s18, s0
	s_addc_u32 s1, s19, s1
	s_mov_b32 s11, 0x7060302
	s_and_b32 s1, s1, 0xffff
	s_waitcnt vmcnt(7)
	v_cvt_f32_u32_sdwa v35, v2 dst_sel:DWORD dst_unused:UNUSED_PAD src0_sel:WORD_1
	v_cvt_f32_u32_sdwa v34, v2 dst_sel:DWORD dst_unused:UNUSED_PAD src0_sel:WORD_0
	v_cvt_f32_u32_sdwa v37, v3 dst_sel:DWORD dst_unused:UNUSED_PAD src0_sel:WORD_1
	v_cvt_f32_u32_sdwa v36, v3 dst_sel:DWORD dst_unused:UNUSED_PAD src0_sel:WORD_0
	v_cvt_f32_u32_sdwa v39, v4 dst_sel:DWORD dst_unused:UNUSED_PAD src0_sel:WORD_1
	v_cvt_f32_u32_sdwa v38, v4 dst_sel:DWORD dst_unused:UNUSED_PAD src0_sel:WORD_0
	v_cvt_f32_u32_sdwa v41, v5 dst_sel:DWORD dst_unused:UNUSED_PAD src0_sel:WORD_1
	v_cvt_f32_u32_sdwa v40, v5 dst_sel:DWORD dst_unused:UNUSED_PAD src0_sel:WORD_0
	s_waitcnt vmcnt(5)
	v_cvt_f32_u32_sdwa v43, v6 dst_sel:DWORD dst_unused:UNUSED_PAD src0_sel:WORD_1
	v_cvt_f32_u32_sdwa v42, v6 dst_sel:DWORD dst_unused:UNUSED_PAD src0_sel:WORD_0
	v_cvt_f32_u32_sdwa v45, v7 dst_sel:DWORD dst_unused:UNUSED_PAD src0_sel:WORD_1
	v_cvt_f32_u32_sdwa v44, v7 dst_sel:DWORD dst_unused:UNUSED_PAD src0_sel:WORD_0
	v_cvt_f32_u32_sdwa v47, v8 dst_sel:DWORD dst_unused:UNUSED_PAD src0_sel:WORD_1
	v_cvt_f32_u32_sdwa v46, v8 dst_sel:DWORD dst_unused:UNUSED_PAD src0_sel:WORD_0
	v_cvt_f32_u32_sdwa v49, v9 dst_sel:DWORD dst_unused:UNUSED_PAD src0_sel:WORD_1
	v_cvt_f32_u32_sdwa v48, v9 dst_sel:DWORD dst_unused:UNUSED_PAD src0_sel:WORD_0
	;; [unrolled: 9-line block ×4, first 2 shown]
	v_pk_add_f32 v[26:27], v[34:35], v[52:53]
	v_cvt_f32_u32_sdwa v53, v18 dst_sel:DWORD dst_unused:UNUSED_PAD src0_sel:WORD_1
	v_cvt_f32_u32_sdwa v52, v18 dst_sel:DWORD dst_unused:UNUSED_PAD src0_sel:WORD_0
	v_pk_add_f32 v[28:29], v[36:37], v[54:55]
	v_cvt_f32_u32_sdwa v55, v19 dst_sel:DWORD dst_unused:UNUSED_PAD src0_sel:WORD_1
	v_cvt_f32_u32_sdwa v54, v19 dst_sel:DWORD dst_unused:UNUSED_PAD src0_sel:WORD_0
	;; [unrolled: 3-line block ×3, first 2 shown]
	v_pk_add_f32 v[30:31], v[40:41], v[58:59]
	s_waitcnt vmcnt(1)
	v_cvt_f32_u32_sdwa v41, v22 dst_sel:DWORD dst_unused:UNUSED_PAD src0_sel:WORD_1
	v_cvt_f32_u32_sdwa v40, v22 dst_sel:DWORD dst_unused:UNUSED_PAD src0_sel:WORD_0
	v_pk_add_f32 v[32:33], v[42:43], v[60:61]
	v_cvt_f32_u32_sdwa v43, v23 dst_sel:DWORD dst_unused:UNUSED_PAD src0_sel:WORD_1
	v_cvt_f32_u32_sdwa v42, v23 dst_sel:DWORD dst_unused:UNUSED_PAD src0_sel:WORD_0
	v_pk_add_f32 v[36:37], v[44:45], v[62:63]
	v_pk_add_f32 v[34:35], v[46:47], v[64:65]
	;; [unrolled: 1-line block ×3, first 2 shown]
	v_cvt_f32_u32_sdwa v45, v24 dst_sel:DWORD dst_unused:UNUSED_PAD src0_sel:WORD_1
	v_cvt_f32_u32_sdwa v44, v24 dst_sel:DWORD dst_unused:UNUSED_PAD src0_sel:WORD_0
	v_cvt_f32_u32_sdwa v47, v21 dst_sel:DWORD dst_unused:UNUSED_PAD src0_sel:WORD_1
	v_cvt_f32_u32_sdwa v46, v21 dst_sel:DWORD dst_unused:UNUSED_PAD src0_sel:WORD_0
	v_cvt_f32_u32_sdwa v49, v25 dst_sel:DWORD dst_unused:UNUSED_PAD src0_sel:WORD_1
	v_cvt_f32_u32_sdwa v48, v25 dst_sel:DWORD dst_unused:UNUSED_PAD src0_sel:WORD_0
	buffer_load_dwordx4 v[6:9], v51, s[36:39], 0 offen
	buffer_load_dwordx4 v[2:5], v51, s[36:39], s10 offen
	v_pk_add_f32 v[40:41], v[52:53], v[40:41]
	v_pk_add_f32 v[24:25], v[54:55], v[42:43]
	;; [unrolled: 1-line block ×4, first 2 shown]
	v_cvt_f32_u32_sdwa v43, v10 dst_sel:DWORD dst_unused:UNUSED_PAD src0_sel:WORD_1
	v_cvt_f32_u32_sdwa v42, v10 dst_sel:DWORD dst_unused:UNUSED_PAD src0_sel:WORD_0
	s_waitcnt vmcnt(2)
	v_cvt_f32_u32_sdwa v45, v14 dst_sel:DWORD dst_unused:UNUSED_PAD src0_sel:WORD_1
	v_cvt_f32_u32_sdwa v44, v14 dst_sel:DWORD dst_unused:UNUSED_PAD src0_sel:WORD_0
	v_cvt_f32_u32_sdwa v47, v11 dst_sel:DWORD dst_unused:UNUSED_PAD src0_sel:WORD_1
	v_cvt_f32_u32_sdwa v46, v11 dst_sel:DWORD dst_unused:UNUSED_PAD src0_sel:WORD_0
	;; [unrolled: 2-line block ×7, first 2 shown]
	buffer_load_dwordx4 v[14:17], v51, s[36:39], s5 offen
	buffer_load_dwordx4 v[10:13], v51, s[36:39], s4 offen
	v_pk_add_f32 v[48:49], v[42:43], v[44:45]
	v_pk_add_f32 v[44:45], v[46:47], v[52:53]
	;; [unrolled: 1-line block ×4, first 2 shown]
	v_perm_b32 v55, v47, v46, s11
	v_perm_b32 v54, v43, v42, s11
	;; [unrolled: 1-line block ×4, first 2 shown]
	buffer_store_dwordx4 v[52:55], v51, s[0:3], 0 offen glc slc
	;;#ASMSTART
	s_nop 0
	;;#ASMEND
	v_pk_mul_f32 v[56:57], v[42:43], v[42:43]
	v_perm_b32 v55, v31, v30, s11
	v_perm_b32 v54, v19, v18, s11
	;; [unrolled: 1-line block ×4, first 2 shown]
	buffer_store_dwordx4 v[52:55], v51, s[0:3], s10 offen glc slc
	v_perm_b32 v55, v23, v22, s11
	v_perm_b32 v54, v35, v34, s11
	v_perm_b32 v53, v37, v36, s11
	v_perm_b32 v52, v33, v32, s11
	;;#ASMSTART
	s_nop 0
	;;#ASMEND
	buffer_store_dwordx4 v[52:55], v51, s[0:3], s5 offen glc slc
	v_perm_b32 v55, v39, v38, s11
	v_perm_b32 v54, v21, v20, s11
	;; [unrolled: 1-line block ×4, first 2 shown]
	;;#ASMSTART
	s_nop 0
	;;#ASMEND
	buffer_store_dwordx4 v[52:55], v51, s[0:3], s4 offen glc slc
	v_pk_mul_f32 v[52:53], v[48:49], v[48:49]
	v_pk_mul_f32 v[54:55], v[44:45], v[44:45]
	v_add_f32_e32 v51, v52, v53
	v_add_f32_e32 v51, v54, v51
	;; [unrolled: 1-line block ×4, first 2 shown]
	v_pk_mul_f32 v[58:59], v[46:47], v[46:47]
	v_add_f32_e32 v51, v57, v51
	v_add_f32_e32 v51, v58, v51
	v_pk_mul_f32 v[52:53], v[26:27], v[26:27]
	v_add_f32_e32 v51, v59, v51
	v_add_f32_e32 v51, v52, v51
	;; [unrolled: 3-line block ×13, first 2 shown]
	v_add_f32_e32 v51, v59, v51
	v_and_b32_e32 v53, 63, v0
	v_cmp_eq_u32_e64 s[0:1], 63, v53
	v_mov_b32_dpp v52, v51 quad_perm:[1,0,3,2] row_mask:0xf bank_mask:0xf
	v_add_f32_e32 v51, v51, v52
	;;#ASMSTART
	s_nop 0
	;;#ASMEND
	s_nop 1
	v_mov_b32_dpp v52, v51 quad_perm:[2,3,0,1] row_mask:0xf bank_mask:0xf
	v_add_f32_e32 v51, v51, v52
	s_nop 1
	v_mov_b32_dpp v52, v51 row_half_mirror row_mask:0xf bank_mask:0xf
	v_add_f32_e32 v51, v51, v52
	s_nop 1
	v_mov_b32_dpp v52, v51 row_mirror row_mask:0xf bank_mask:0xf
	v_add_f32_e32 v51, v51, v52
	s_nop 1
	v_mov_b32_dpp v52, v51 row_bcast:15 row_mask:0xf bank_mask:0xf
	v_add_f32_e32 v51, v51, v52
	s_nop 1
	v_mov_b32_dpp v52, v51 row_bcast:31 row_mask:0xf bank_mask:0xf
	s_and_saveexec_b64 s[2:3], s[0:1]
	s_cbranch_execz .LBB54_3
; %bb.2:
	v_lshrrev_b32_e32 v53, 4, v0
	v_and_b32_e32 v53, 60, v53
	v_add_f32_e32 v51, v51, v52
	ds_write_b32 v53, v51 offset:16
.LBB54_3:
	s_or_b64 exec, exec, s[2:3]
	v_and_b32_e32 v51, 3, v0
	v_lshlrev_b32_e32 v51, 2, v51
	s_waitcnt lgkmcnt(0)
	s_barrier
	ds_read_b32 v52, v51 offset:16
	v_cvt_f32_i32_e32 v53, s9
	s_cmp_lg_u32 s14, 0
	s_waitcnt lgkmcnt(0)
	v_mov_b32_dpp v54, v52 quad_perm:[1,0,3,2] row_mask:0xf bank_mask:0xf
	v_add_f32_e32 v52, v52, v54
	s_nop 1
	v_mov_b32_dpp v54, v52 quad_perm:[2,3,0,1] row_mask:0xf bank_mask:0xf
	v_add_f32_e32 v52, v52, v54
	v_div_scale_f32 v54, s[2:3], v53, v53, v52
	v_rcp_f32_e32 v55, v54
	v_div_scale_f32 v56, vcc, v52, v53, v52
	s_mov_b32 s2, 0x800000
	v_fma_f32 v57, -v54, v55, 1.0
	v_fmac_f32_e32 v55, v57, v55
	v_mul_f32_e32 v57, v56, v55
	v_fma_f32 v58, -v54, v57, v56
	v_fmac_f32_e32 v57, v58, v55
	v_fma_f32 v54, -v54, v57, v56
	v_div_fmas_f32 v54, v54, v55, v57
	v_div_fixup_f32 v52, v54, v53, v52
	v_cvt_f64_f32_e32 v[52:53], v52
	v_add_f64 v[52:53], v[52:53], s[28:29]
	v_cvt_f32_f64_e32 v52, v[52:53]
	v_mul_f32_e32 v53, 0x4b800000, v52
	v_cmp_gt_f32_e32 vcc, s2, v52
	v_cndmask_b32_e32 v52, v52, v53, vcc
	v_rsq_f32_e32 v52, v52
	v_mul_f32_e32 v53, 0x45800000, v52
	v_cndmask_b32_e32 v52, v52, v53, vcc
	v_mov_b32_e32 v53, v52
	;;#ASMSTART
	v_pk_mul_f32 v[48:49], v[48:49], v[52:53]
	;;#ASMEND
	;;#ASMSTART
	v_pk_mul_f32 v[44:45], v[44:45], v[52:53]
	;;#ASMEND
	;; [unrolled: 3-line block ×15, first 2 shown]
	s_waitcnt vmcnt(7)
	v_cvt_f32_u32_sdwa v21, v6 dst_sel:DWORD dst_unused:UNUSED_PAD src0_sel:WORD_1
	v_cvt_f32_u32_sdwa v20, v6 dst_sel:DWORD dst_unused:UNUSED_PAD src0_sel:WORD_0
	v_cvt_f32_u32_sdwa v23, v7 dst_sel:DWORD dst_unused:UNUSED_PAD src0_sel:WORD_1
	v_cvt_f32_u32_sdwa v22, v7 dst_sel:DWORD dst_unused:UNUSED_PAD src0_sel:WORD_0
	;; [unrolled: 2-line block ×3, first 2 shown]
	;;#ASMSTART
	v_pk_mul_f32 v[38:39], v[38:39], v[52:53]
	;;#ASMEND
	v_cvt_f32_u32_sdwa v25, v9 dst_sel:DWORD dst_unused:UNUSED_PAD src0_sel:WORD_1
	v_cvt_f32_u32_sdwa v24, v9 dst_sel:DWORD dst_unused:UNUSED_PAD src0_sel:WORD_0
	;;#ASMSTART
	v_pk_mul_f32 v[34:35], v[48:49], v[20:21]
	;;#ASMEND
	;;#ASMSTART
	v_pk_mul_f32 v[32:33], v[44:45], v[22:23]
	;;#ASMEND
	;; [unrolled: 3-line block ×3, first 2 shown]
	s_waitcnt vmcnt(6)
	v_cvt_f32_u32_sdwa v7, v2 dst_sel:DWORD dst_unused:UNUSED_PAD src0_sel:WORD_1
	v_cvt_f32_u32_sdwa v6, v2 dst_sel:DWORD dst_unused:UNUSED_PAD src0_sel:WORD_0
	v_cvt_f32_u32_sdwa v9, v3 dst_sel:DWORD dst_unused:UNUSED_PAD src0_sel:WORD_1
	v_cvt_f32_u32_sdwa v8, v3 dst_sel:DWORD dst_unused:UNUSED_PAD src0_sel:WORD_0
	;; [unrolled: 2-line block ×4, first 2 shown]
	s_waitcnt vmcnt(5)
	v_cvt_f32_u32_sdwa v5, v15 dst_sel:DWORD dst_unused:UNUSED_PAD src0_sel:WORD_1
	v_cvt_f32_u32_sdwa v4, v15 dst_sel:DWORD dst_unused:UNUSED_PAD src0_sel:WORD_0
	;;#ASMSTART
	v_pk_mul_f32 v[26:27], v[46:47], v[24:25]
	;;#ASMEND
	;;#ASMSTART
	v_pk_mul_f32 v[30:31], v[54:55], v[6:7]
	;;#ASMEND
	;; [unrolled: 3-line block ×5, first 2 shown]
	v_cvt_f32_u32_sdwa v3, v14 dst_sel:DWORD dst_unused:UNUSED_PAD src0_sel:WORD_1
	v_cvt_f32_u32_sdwa v2, v14 dst_sel:DWORD dst_unused:UNUSED_PAD src0_sel:WORD_0
	v_cvt_f32_u32_sdwa v7, v16 dst_sel:DWORD dst_unused:UNUSED_PAD src0_sel:WORD_1
	v_cvt_f32_u32_sdwa v6, v16 dst_sel:DWORD dst_unused:UNUSED_PAD src0_sel:WORD_0
	;; [unrolled: 2-line block ×3, first 2 shown]
	;;#ASMSTART
	v_pk_mul_f32 v[20:21], v[60:61], v[2:3]
	;;#ASMEND
	;;#ASMSTART
	v_pk_mul_f32 v[16:17], v[36:37], v[4:5]
	;;#ASMEND
	s_waitcnt vmcnt(4)
	v_cvt_f32_u32_sdwa v5, v11 dst_sel:DWORD dst_unused:UNUSED_PAD src0_sel:WORD_1
	v_cvt_f32_u32_sdwa v4, v11 dst_sel:DWORD dst_unused:UNUSED_PAD src0_sel:WORD_0
	v_cvt_f32_u32_sdwa v36, v12 dst_sel:DWORD dst_unused:UNUSED_PAD src0_sel:WORD_0
	;;#ASMSTART
	v_pk_mul_f32 v[14:15], v[62:63], v[6:7]
	;;#ASMEND
	;;#ASMSTART
	v_pk_mul_f32 v[8:9], v[64:65], v[8:9]
	;;#ASMEND
	v_cvt_f32_u32_sdwa v3, v10 dst_sel:DWORD dst_unused:UNUSED_PAD src0_sel:WORD_1
	v_cvt_f32_u32_sdwa v2, v10 dst_sel:DWORD dst_unused:UNUSED_PAD src0_sel:WORD_0
	v_cvt_f32_u32_sdwa v37, v12 dst_sel:DWORD dst_unused:UNUSED_PAD src0_sel:WORD_1
	;;#ASMSTART
	v_pk_mul_f32 v[10:11], v[40:41], v[2:3]
	;;#ASMEND
	;;#ASMSTART
	v_pk_mul_f32 v[6:7], v[66:67], v[4:5]
	;;#ASMEND
	;; [unrolled: 3-line block ×3, first 2 shown]
	v_and_b32_e32 v12, 0x7fffffff, v34
	v_mov_b32_e32 v36, 0x2edbe6ff
	v_cvt_f32_u32_sdwa v43, v13 dst_sel:DWORD dst_unused:UNUSED_PAD src0_sel:WORD_1
	v_cvt_f32_u32_sdwa v42, v13 dst_sel:DWORD dst_unused:UNUSED_PAD src0_sel:WORD_0
	;;#ASMSTART
	v_pk_mul_f32 v[2:3], v[38:39], v[42:43]
	;;#ASMEND
	v_and_b32_e32 v13, 0x7fffffff, v35
	;;#ASMSTART
	v_max3_f32 v12, v36, v12, v13

	;;#ASMEND
	v_and_b32_e32 v36, 0x7fffffff, v33
	v_and_b32_e32 v13, 0x7fffffff, v32
	;;#ASMSTART
	v_max3_f32 v12, v12, v13, v36

	;;#ASMEND
	v_and_b32_e32 v36, 0x7fffffff, v29
	v_and_b32_e32 v13, 0x7fffffff, v28
	;;#ASMSTART
	v_max3_f32 v12, v12, v13, v36

	;;#ASMEND
	v_and_b32_e32 v36, 0x7fffffff, v27
	v_and_b32_e32 v13, 0x7fffffff, v26
	;;#ASMSTART
	v_max3_f32 v12, v12, v13, v36

	;;#ASMEND
	v_and_b32_e32 v36, 0x7fffffff, v31
	v_and_b32_e32 v13, 0x7fffffff, v30
	;;#ASMSTART
	v_max3_f32 v12, v12, v13, v36

	;;#ASMEND
	v_and_b32_e32 v36, 0x7fffffff, v25
	v_and_b32_e32 v13, 0x7fffffff, v24
	;;#ASMSTART
	v_max3_f32 v12, v12, v13, v36

	;;#ASMEND
	v_and_b32_e32 v36, 0x7fffffff, v23
	v_and_b32_e32 v13, 0x7fffffff, v22
	;;#ASMSTART
	v_max3_f32 v12, v12, v13, v36

	;;#ASMEND
	v_and_b32_e32 v36, 0x7fffffff, v19
	v_and_b32_e32 v13, 0x7fffffff, v18
	;;#ASMSTART
	v_max3_f32 v12, v12, v13, v36

	;;#ASMEND
	v_and_b32_e32 v36, 0x7fffffff, v21
	v_and_b32_e32 v13, 0x7fffffff, v20
	;;#ASMSTART
	v_max3_f32 v12, v12, v13, v36

	;;#ASMEND
	v_and_b32_e32 v36, 0x7fffffff, v17
	v_and_b32_e32 v13, 0x7fffffff, v16
	;;#ASMSTART
	v_max3_f32 v12, v12, v13, v36

	;;#ASMEND
	v_and_b32_e32 v36, 0x7fffffff, v15
	v_and_b32_e32 v13, 0x7fffffff, v14
	;;#ASMSTART
	v_max3_f32 v12, v12, v13, v36

	;;#ASMEND
	v_and_b32_e32 v36, 0x7fffffff, v9
	v_and_b32_e32 v13, 0x7fffffff, v8
	;;#ASMSTART
	v_max3_f32 v12, v12, v13, v36

	;;#ASMEND
	v_and_b32_e32 v36, 0x7fffffff, v11
	v_and_b32_e32 v13, 0x7fffffff, v10
	;;#ASMSTART
	v_max3_f32 v12, v12, v13, v36

	;;#ASMEND
	v_and_b32_e32 v36, 0x7fffffff, v7
	v_and_b32_e32 v13, 0x7fffffff, v6
	;;#ASMSTART
	v_max3_f32 v12, v12, v13, v36

	;;#ASMEND
	v_and_b32_e32 v36, 0x7fffffff, v5
	v_and_b32_e32 v13, 0x7fffffff, v4
	;;#ASMSTART
	v_max3_f32 v12, v12, v13, v36

	;;#ASMEND
	v_and_b32_e32 v36, 0x7fffffff, v3
	v_and_b32_e32 v13, 0x7fffffff, v2
	;;#ASMSTART
	v_max3_f32 v36, v12, v13, v36

	;;#ASMEND
	s_cbranch_scc0 .LBB54_10
; %bb.4:
	s_ashr_i32 s12, s14, 31
	s_lshr_b32 s2, s12, 27
	s_add_i32 s2, s14, s2
	s_ashr_i32 s10, s2, 5
	s_cmp_lt_i32 s10, 16
	s_cbranch_scc1 .LBB54_11
; %bb.5:
	s_cmp_lt_i32 s10, 32
	s_cbranch_scc1 .LBB54_12
; %bb.6:
	;; [unrolled: 3-line block ×3, first 2 shown]
	s_cmp_eq_u32 s10, 64
	v_mov_b32_e32 v12, v36
	s_cbranch_scc0 .LBB54_9
; %bb.8:
	s_nop 0
	v_mov_b32_dpp v12, v36 quad_perm:[1,0,3,2] row_mask:0xf bank_mask:0xf
	v_cmp_gt_f32_e32 vcc, v36, v12
	v_cndmask_b32_e32 v12, v12, v36, vcc
	v_bfrev_b32_e32 v37, 0.5
	s_nop 0
	v_mov_b32_dpp v13, v12 quad_perm:[2,3,0,1] row_mask:0xf bank_mask:0xf
	v_cmp_gt_f32_e32 vcc, v12, v13
	v_cndmask_b32_e32 v12, v13, v12, vcc
	s_nop 1
	v_mov_b32_dpp v13, v12 row_ror:4 row_mask:0xf bank_mask:0xf
	v_cmp_gt_f32_e32 vcc, v12, v13
	v_cndmask_b32_e32 v12, v13, v12, vcc
	s_nop 1
	v_mov_b32_dpp v13, v12 row_ror:8 row_mask:0xf bank_mask:0xf
	v_cmp_gt_f32_e32 vcc, v12, v13
	v_cndmask_b32_e32 v12, v13, v12, vcc
	s_nop 1
	v_mov_b32_dpp v13, v12 row_bcast:15 row_mask:0xf bank_mask:0xf
	v_cmp_gt_f32_e32 vcc, v12, v13
	v_cndmask_b32_e32 v12, v13, v12, vcc
	s_nop 1
	v_mov_b32_dpp v13, v12 row_bcast:31 row_mask:0xf bank_mask:0xf
	v_cmp_gt_f32_e32 vcc, v12, v13
	v_cndmask_b32_e32 v12, v13, v12, vcc
	v_mbcnt_lo_u32_b32 v13, -1, 0
	v_mbcnt_hi_u32_b32 v13, -1, v13
	v_lshl_or_b32 v13, v13, 2, v37
	ds_bpermute_b32 v12, v13, v12
.LBB54_9:
	s_mov_b64 s[2:3], 0
	s_branch .LBB54_14
.LBB54_10:
	s_mov_b64 s[2:3], 0
                                        ; implicit-def: $vgpr37
                                        ; implicit-def: $vgpr12_vgpr13
	s_cbranch_execnz .LBB54_43
	s_branch .LBB54_46
.LBB54_11:
                                        ; implicit-def: $vgpr12
	s_branch .LBB54_21
.LBB54_12:
                                        ; implicit-def: $vgpr12
	s_branch .LBB54_18
.LBB54_13:
	s_mov_b64 s[2:3], -1
                                        ; implicit-def: $vgpr12
.LBB54_14:
	s_andn2_b64 vcc, exec, s[2:3]
	s_cbranch_vccnz .LBB54_17
; %bb.15:
	s_cmp_eq_u32 s10, 32
	s_waitcnt lgkmcnt(0)
	v_mov_b32_e32 v12, v36
	s_cbranch_scc0 .LBB54_17
; %bb.16:
	s_nop 0
	v_mov_b32_dpp v12, v36 quad_perm:[1,0,3,2] row_mask:0xf bank_mask:0xf
	v_cmp_gt_f32_e32 vcc, v36, v12
	v_cndmask_b32_e32 v12, v12, v36, vcc
	v_mov_b32_e32 v37, 0x7c
	s_nop 0
	v_mov_b32_dpp v13, v12 quad_perm:[2,3,0,1] row_mask:0xf bank_mask:0xf
	v_cmp_gt_f32_e32 vcc, v12, v13
	v_cndmask_b32_e32 v12, v13, v12, vcc
	s_nop 1
	v_mov_b32_dpp v13, v12 row_half_mirror row_mask:0xf bank_mask:0xf
	v_cmp_gt_f32_e32 vcc, v12, v13
	v_cndmask_b32_e32 v12, v13, v12, vcc
	s_nop 1
	v_mov_b32_dpp v13, v12 row_mirror row_mask:0xf bank_mask:0xf
	v_cmp_gt_f32_e32 vcc, v12, v13
	v_cndmask_b32_e32 v12, v13, v12, vcc
	s_nop 1
	v_mov_b32_dpp v13, v12 row_bcast:15 row_mask:0xa bank_mask:0xf
	v_cmp_gt_f32_e32 vcc, v12, v13
	v_cndmask_b32_e32 v12, v13, v12, vcc
	v_mbcnt_lo_u32_b32 v13, -1, 0
	v_mbcnt_hi_u32_b32 v13, -1, v13
	v_lshl_or_b32 v13, v13, 2, v37
	ds_bpermute_b32 v12, v13, v12
.LBB54_17:
	s_cbranch_execnz .LBB54_20
.LBB54_18:
	s_cmp_eq_u32 s10, 16
	s_waitcnt lgkmcnt(0)
	v_mov_b32_e32 v12, v36
	s_cbranch_scc0 .LBB54_20
; %bb.19:
	s_nop 0
	v_mov_b32_dpp v12, v36 quad_perm:[1,0,3,2] row_mask:0xf bank_mask:0xf
	v_cmp_gt_f32_e32 vcc, v36, v12
	v_cndmask_b32_e32 v12, v12, v36, vcc
	s_nop 1
	v_mov_b32_dpp v13, v12 quad_perm:[2,3,0,1] row_mask:0xf bank_mask:0xf
	v_cmp_gt_f32_e32 vcc, v12, v13
	v_cndmask_b32_e32 v12, v13, v12, vcc
	s_nop 1
	v_mov_b32_dpp v13, v12 row_half_mirror row_mask:0xf bank_mask:0xf
	v_cmp_gt_f32_e32 vcc, v12, v13
	v_cndmask_b32_e32 v12, v13, v12, vcc
	s_nop 1
	v_mov_b32_dpp v13, v12 row_mirror row_mask:0xf bank_mask:0xf
	v_cmp_gt_f32_e32 vcc, v12, v13
	v_cndmask_b32_e32 v12, v13, v12, vcc
.LBB54_20:
	s_cbranch_execnz .LBB54_33
.LBB54_21:
	s_cmp_lt_i32 s10, 4
	s_cbranch_scc1 .LBB54_25
; %bb.22:
	s_cmp_lt_i32 s10, 8
	s_cbranch_scc1 .LBB54_26
; %bb.23:
	s_cmp_eq_u32 s10, 8
	s_waitcnt lgkmcnt(0)
	v_mov_b32_e32 v12, v36
	s_cbranch_scc0 .LBB54_27
; %bb.24:
	s_nop 0
	v_mov_b32_dpp v12, v36 quad_perm:[1,0,3,2] row_mask:0xf bank_mask:0xf
	v_cmp_gt_f32_e32 vcc, v36, v12
	v_cndmask_b32_e32 v12, v12, v36, vcc
	s_nop 1
	v_mov_b32_dpp v13, v12 quad_perm:[2,3,0,1] row_mask:0xf bank_mask:0xf
	v_cmp_gt_f32_e32 vcc, v12, v13
	v_cndmask_b32_e32 v12, v13, v12, vcc
	s_nop 1
	v_mov_b32_dpp v13, v12 row_half_mirror row_mask:0xf bank_mask:0xf
	v_cmp_gt_f32_e32 vcc, v12, v13
	v_cndmask_b32_e32 v12, v13, v12, vcc
	s_cbranch_execz .LBB54_28
	s_branch .LBB54_30
.LBB54_25:
                                        ; implicit-def: $vgpr12
	s_branch .LBB54_31
.LBB54_26:
                                        ; implicit-def: $vgpr12
	s_branch .LBB54_28
.LBB54_27:
	s_cbranch_execnz .LBB54_30
.LBB54_28:
	s_cmp_eq_u32 s10, 4
	s_waitcnt lgkmcnt(0)
	v_mov_b32_e32 v12, v36
	s_cbranch_scc0 .LBB54_30
; %bb.29:
	s_nop 0
	v_mov_b32_dpp v12, v36 quad_perm:[1,0,3,2] row_mask:0xf bank_mask:0xf
	v_cmp_gt_f32_e32 vcc, v36, v12
	v_cndmask_b32_e32 v12, v12, v36, vcc
	s_nop 1
	v_mov_b32_dpp v13, v12 quad_perm:[2,3,0,1] row_mask:0xf bank_mask:0xf
	v_cmp_gt_f32_e32 vcc, v12, v13
	v_cndmask_b32_e32 v12, v13, v12, vcc
.LBB54_30:
	s_cbranch_execnz .LBB54_33
.LBB54_31:
	s_cmp_lg_u32 s10, 2
	s_waitcnt lgkmcnt(0)
	v_mov_b32_e32 v12, v36
	s_cbranch_scc1 .LBB54_33
; %bb.32:
	s_nop 0
	v_mov_b32_dpp v12, v36 quad_perm:[1,0,3,2] row_mask:0xf bank_mask:0xf
	v_cmp_gt_f32_e32 vcc, v36, v12
	v_cndmask_b32_e32 v12, v12, v36, vcc
.LBB54_33:
	v_cvt_f32_u32_e32 v13, s10
	s_waitcnt lgkmcnt(0)
	v_mul_f32_e32 v37, 0x3c010204, v12
	s_sub_i32 s2, 0, s10
	v_cmp_gt_u32_e32 vcc, s9, v50
	v_rcp_iflag_f32_e32 v13, v13
	s_mov_b64 s[4:5], 0
	v_mul_f32_e32 v12, 0x4f7ffffe, v13
	v_cvt_u32_f32_e32 v12, v12
	v_mul_lo_u32 v13, s2, v12
	v_mul_hi_u32 v13, v12, v13
	v_add_u32_e32 v12, v12, v13
	v_mul_hi_u32 v12, v0, v12
	v_mul_lo_u32 v13, v12, s10
	v_sub_u32_e32 v13, v0, v13
	v_add_u32_e32 v38, 1, v12
	v_cmp_le_u32_e64 s[2:3], s10, v13
	v_cndmask_b32_e64 v12, v12, v38, s[2:3]
	v_subrev_u32_e32 v38, s10, v13
	v_cndmask_b32_e64 v13, v13, v38, s[2:3]
	v_add_u32_e32 v38, 1, v12
	v_cmp_le_u32_e64 s[2:3], s10, v13
	v_cndmask_b32_e64 v38, v12, v38, s[2:3]
	v_mul_lo_u32 v12, v38, s10
	v_sub_u32_e32 v12, v0, v12
	v_cmp_eq_u32_e64 s[2:3], 0, v12
	s_and_b64 s[10:11], s[2:3], vcc
	s_mov_b64 s[2:3], 0
                                        ; implicit-def: $vgpr12_vgpr13
	s_and_saveexec_b64 s[18:19], s[10:11]
	s_xor_b64 s[10:11], exec, s[18:19]
	s_cbranch_execz .LBB54_42
; %bb.34:
	s_bitcmp0_b32 s15, 0
	s_cbranch_scc0 .LBB54_39
; %bb.35:
	s_ashr_i32 s2, s9, 31
	s_mul_hi_u32 s3, s9, s6
	s_mul_i32 s2, s2, s6
	s_add_i32 s19, s3, s2
	s_mul_i32 s18, s9, s6
	s_mov_b32 s15, s12
	s_or_b64 s[2:3], s[18:19], s[14:15]
	s_mov_b32 s2, 0
	s_cmp_lg_u64 s[2:3], 0
	s_cbranch_scc0 .LBB54_50
; %bb.36:
	s_add_u32 s2, s14, s15
	s_mov_b32 s24, s15
	s_mov_b32 s25, s15
	s_addc_u32 s3, s15, s15
	s_xor_b64 s[26:27], s[2:3], s[24:25]
	v_cvt_f32_u32_e32 v12, s26
	v_cvt_f32_u32_e32 v13, s27
	s_sub_u32 s2, 0, s26
	s_subb_u32 s3, 0, s27
	v_madmk_f32 v12, v13, 0x4f800000, v12
	v_rcp_f32_e32 v12, v12
	v_mul_f32_e32 v12, 0x5f7ffffc, v12
	v_mul_f32_e32 v13, 0x2f800000, v12
	v_trunc_f32_e32 v13, v13
	v_madmk_f32 v12, v13, 0xcf800000, v12
	v_cvt_u32_f32_e32 v13, v13
	v_cvt_u32_f32_e32 v12, v12
	v_readfirstlane_b32 s12, v13
	v_readfirstlane_b32 s15, v12
	s_mul_i32 s28, s2, s12
	s_mul_hi_u32 s30, s2, s15
	s_mul_i32 s29, s3, s15
	s_add_i32 s28, s30, s28
	s_add_i32 s28, s28, s29
	s_mul_i32 s31, s2, s15
	s_mul_hi_u32 s29, s15, s28
	s_mul_i32 s30, s15, s28
	s_mul_hi_u32 s15, s15, s31
	s_add_u32 s15, s15, s30
	s_addc_u32 s29, 0, s29
	s_mul_hi_u32 s33, s12, s31
	s_mul_i32 s31, s12, s31
	s_add_u32 s15, s15, s31
	s_mul_hi_u32 s30, s12, s28
	s_addc_u32 s15, s29, s33
	s_addc_u32 s29, s30, 0
	s_mul_i32 s28, s12, s28
	s_add_u32 s15, s15, s28
	s_addc_u32 s28, 0, s29
	v_add_co_u32_e32 v12, vcc, s15, v12
	s_cmp_lg_u64 vcc, 0
	s_addc_u32 s12, s12, s28
	v_readfirstlane_b32 s28, v12
	s_mul_i32 s15, s2, s12
	s_mul_hi_u32 s29, s2, s28
	s_add_i32 s15, s29, s15
	s_mul_i32 s3, s3, s28
	s_add_i32 s15, s15, s3
	s_mul_i32 s2, s2, s28
	s_mul_hi_u32 s29, s12, s2
	s_mul_i32 s30, s12, s2
	s_mul_i32 s33, s28, s15
	s_mul_hi_u32 s2, s28, s2
	s_mul_hi_u32 s31, s28, s15
	s_add_u32 s2, s2, s33
	s_addc_u32 s28, 0, s31
	s_add_u32 s2, s2, s30
	s_mul_hi_u32 s3, s12, s15
	s_addc_u32 s2, s28, s29
	s_addc_u32 s3, s3, 0
	s_mul_i32 s15, s12, s15
	s_add_u32 s2, s2, s15
	s_addc_u32 s3, 0, s3
	v_add_co_u32_e32 v12, vcc, s2, v12
	s_cmp_lg_u64 vcc, 0
	s_addc_u32 s12, s12, s3
	s_ashr_i32 s28, s19, 31
	s_add_u32 s2, s18, s28
	s_mov_b32 s29, s28
	s_addc_u32 s3, s19, s28
	s_xor_b64 s[30:31], s[2:3], s[28:29]
	v_readfirstlane_b32 s15, v12
	s_mul_i32 s3, s30, s12
	s_mul_hi_u32 s19, s30, s15
	s_mul_hi_u32 s2, s30, s12
	s_add_u32 s3, s19, s3
	s_addc_u32 s2, 0, s2
	s_mul_hi_u32 s33, s31, s15
	s_mul_i32 s15, s31, s15
	s_add_u32 s3, s3, s15
	s_mul_hi_u32 s19, s31, s12
	s_addc_u32 s2, s2, s33
	s_addc_u32 s3, s19, 0
	s_mul_i32 s12, s31, s12
	s_add_u32 s12, s2, s12
	s_addc_u32 s15, 0, s3
	s_mul_i32 s2, s26, s15
	s_mul_hi_u32 s3, s26, s12
	s_add_i32 s2, s3, s2
	s_mul_i32 s3, s27, s12
	s_add_i32 s19, s2, s3
	s_mul_i32 s3, s26, s12
	v_mov_b32_e32 v12, s3
	s_sub_i32 s2, s31, s19
	v_sub_co_u32_e32 v12, vcc, s30, v12
	s_cmp_lg_u64 vcc, 0
	s_subb_u32 s30, s2, s27
	v_subrev_co_u32_e64 v13, s[2:3], s26, v12
	s_cmp_lg_u64 s[2:3], 0
	s_subb_u32 s30, s30, 0
	s_cmp_ge_u32 s30, s27
	s_cselect_b32 s33, -1, 0
	v_cmp_le_u32_e64 s[2:3], s26, v13
	s_cmp_eq_u32 s30, s27
	v_cndmask_b32_e64 v13, 0, -1, s[2:3]
	v_mov_b32_e32 v39, s33
	s_cselect_b64 s[2:3], -1, 0
	v_cndmask_b32_e64 v13, v39, v13, s[2:3]
	s_add_u32 s2, s12, 1
	s_addc_u32 s30, s15, 0
	s_add_u32 s3, s12, 2
	s_addc_u32 s33, s15, 0
	v_mov_b32_e32 v39, s2
	v_mov_b32_e32 v40, s3
	v_cmp_ne_u32_e64 s[2:3], 0, v13
	v_cndmask_b32_e64 v13, v39, v40, s[2:3]
	v_mov_b32_e32 v39, s30
	v_mov_b32_e32 v40, s33
	s_cmp_lg_u64 vcc, 0
	v_cndmask_b32_e64 v39, v39, v40, s[2:3]
	s_subb_u32 s2, s31, s19
	s_cmp_ge_u32 s2, s27
	s_cselect_b32 s3, -1, 0
	v_cmp_le_u32_e32 vcc, s26, v12
	s_cmp_eq_u32 s2, s27
	v_cndmask_b32_e64 v12, 0, -1, vcc
	v_mov_b32_e32 v40, s3
	s_cselect_b64 vcc, -1, 0
	v_cndmask_b32_e32 v12, v40, v12, vcc
	v_mov_b32_e32 v40, s15
	v_cmp_ne_u32_e32 vcc, 0, v12
	v_cndmask_b32_e32 v12, v40, v39, vcc
	v_mov_b32_e32 v39, s12
	v_cndmask_b32_e32 v13, v39, v13, vcc
	s_xor_b64 s[2:3], s[28:29], s[24:25]
	v_xor_b32_e32 v13, s2, v13
	v_xor_b32_e32 v39, s3, v12
	v_mov_b32_e32 v40, s3
	v_subrev_co_u32_e32 v12, vcc, s2, v13
	v_subb_co_u32_e32 v13, vcc, v39, v40, vcc
	s_cbranch_execnz .LBB54_38
.LBB54_37:
	v_cvt_f32_u32_e32 v12, s14
	s_sub_i32 s2, 0, s14
	s_mov_b32 s3, 0
	v_rcp_iflag_f32_e32 v12, v12
	v_mul_f32_e32 v12, 0x4f7ffffe, v12
	v_cvt_u32_f32_e32 v12, v12
	v_readfirstlane_b32 s12, v12
	s_mul_i32 s2, s2, s12
	s_mul_hi_u32 s2, s12, s2
	s_add_i32 s12, s12, s2
	s_mul_hi_u32 s2, s18, s12
	s_mul_i32 s15, s2, s14
	s_sub_i32 s15, s18, s15
	s_add_i32 s12, s2, 1
	s_sub_i32 s18, s15, s14
	s_cmp_ge_u32 s15, s14
	s_cselect_b32 s2, s12, s2
	s_cselect_b32 s15, s18, s15
	s_add_i32 s12, s2, 1
	s_cmp_ge_u32 s15, s14
	s_cselect_b32 s2, s12, s2
	v_pk_mov_b32 v[12:13], s[2:3], s[2:3] op_sel:[0,1]
.LBB54_38:
	v_add_co_u32_e32 v12, vcc, v12, v38
	v_addc_co_u32_e32 v13, vcc, 0, v13, vcc
	s_branch .LBB54_41
.LBB54_39:
                                        ; implicit-def: $vgpr12_vgpr13
	s_cbranch_execz .LBB54_41
; %bb.40:
	v_mul_lo_u32 v12, v38, s8
	v_ashrrev_i32_e32 v13, 31, v12
	v_mov_b32_e32 v38, s7
	v_add_co_u32_e32 v12, vcc, s6, v12
	v_addc_co_u32_e32 v13, vcc, v13, v38, vcc
.LBB54_41:
	s_mov_b64 s[2:3], exec
.LBB54_42:
	s_or_b64 exec, exec, s[10:11]
	s_and_b64 vcc, exec, s[4:5]
	s_cbranch_vccz .LBB54_46
.LBB54_43:
	v_mov_b32_dpp v12, v36 quad_perm:[1,0,3,2] row_mask:0xf bank_mask:0xf
	v_cmp_gt_f32_e32 vcc, v36, v12
	v_cndmask_b32_e32 v12, v12, v36, vcc
	s_nop 1
	v_mov_b32_dpp v13, v12 quad_perm:[2,3,0,1] row_mask:0xf bank_mask:0xf
	v_cmp_gt_f32_e32 vcc, v12, v13
	v_cndmask_b32_e32 v12, v13, v12, vcc
	s_nop 1
	v_mov_b32_dpp v13, v12 row_half_mirror row_mask:0xf bank_mask:0xf
	v_cmp_gt_f32_e32 vcc, v12, v13
	v_cndmask_b32_e32 v12, v13, v12, vcc
	s_nop 1
	v_mov_b32_dpp v13, v12 row_mirror row_mask:0xf bank_mask:0xf
	v_cmp_gt_f32_e32 vcc, v12, v13
	v_cndmask_b32_e32 v12, v13, v12, vcc
	s_nop 1
	v_mov_b32_dpp v13, v12 row_bcast:15 row_mask:0xf bank_mask:0xf
	v_cmp_gt_f32_e32 vcc, v12, v13
	v_cndmask_b32_e32 v12, v13, v12, vcc
	s_nop 1
	v_mov_b32_dpp v13, v12 row_bcast:31 row_mask:0xf bank_mask:0xf
	s_and_saveexec_b64 s[2:3], s[0:1]
	s_cbranch_execz .LBB54_45
; %bb.44:
	v_lshrrev_b32_e32 v36, 4, v0
	v_cmp_gt_f32_e32 vcc, v12, v13
	v_and_b32_e32 v36, 60, v36
	v_cndmask_b32_e32 v12, v13, v12, vcc
	ds_write_b32 v36, v12
.LBB54_45:
	s_or_b64 exec, exec, s[2:3]
	s_waitcnt lgkmcnt(0)
	s_barrier
	ds_read_b32 v12, v51
	v_cmp_eq_u32_e64 s[2:3], 0, v0
	s_waitcnt lgkmcnt(0)
	v_mov_b32_dpp v13, v12 quad_perm:[1,0,3,2] row_mask:0xf bank_mask:0xf
	v_cmp_gt_f32_e32 vcc, v12, v13
	v_cndmask_b32_e32 v12, v13, v12, vcc
	s_nop 1
	v_mov_b32_dpp v13, v12 quad_perm:[2,3,0,1] row_mask:0xf bank_mask:0xf
	v_cmp_gt_f32_e32 vcc, v12, v13
	v_cndmask_b32_e32 v12, v13, v12, vcc
	v_mul_f32_e32 v37, 0x3c010204, v12
	v_pk_mov_b32 v[12:13], s[6:7], s[6:7] op_sel:[0,1]
.LBB54_46:
	s_and_saveexec_b64 s[0:1], s[2:3]
	s_cbranch_execz .LBB54_48
; %bb.47:
	v_lshlrev_b64 v[12:13], 2, v[12:13]
	v_mov_b32_e32 v0, s21
	v_add_co_u32_e32 v12, vcc, s20, v12
	v_addc_co_u32_e32 v13, vcc, v0, v13, vcc
	global_store_dword v[12:13], v37, off
.LBB54_48:
	s_or_b64 exec, exec, s[0:1]
	s_add_i32 s0, s9, 3
	s_ashr_i32 s1, s0, 31
	s_lshr_b32 s1, s1, 30
	;;#ASMSTART
	v_rcp_f32 v12, v37
	;;#ASMEND
	v_mov_b32_e32 v13, v12
	;;#ASMSTART
	v_pk_mul_f32 v[34:35], v[34:35], v[12:13]
	;;#ASMEND
	;;#ASMSTART
	v_pk_mul_f32 v[32:33], v[32:33], v[12:13]
	;;#ASMEND
	s_add_i32 s0, s0, s1
	v_cvt_i32_f32_e32 v0, v34
	v_cvt_i32_f32_sdwa v34, v35 dst_sel:BYTE_1 dst_unused:UNUSED_PAD src0_sel:DWORD
	v_cvt_i32_f32_e32 v32, v32
	v_cvt_i32_f32_sdwa v33, v33 dst_sel:BYTE_1 dst_unused:UNUSED_PAD src0_sel:DWORD
	;;#ASMSTART
	v_pk_mul_f32 v[28:29], v[28:29], v[12:13]
	;;#ASMEND
	;;#ASMSTART
	v_pk_mul_f32 v[26:27], v[26:27], v[12:13]
	;;#ASMEND
	s_and_b32 s2, s0, -4
	s_ashr_i32 s0, s13, 31
	v_cvt_i32_f32_e32 v28, v28
	v_cvt_i32_f32_sdwa v29, v29 dst_sel:BYTE_1 dst_unused:UNUSED_PAD src0_sel:DWORD
	v_cvt_i32_f32_e32 v35, v26
	v_cvt_i32_f32_sdwa v27, v27 dst_sel:BYTE_1 dst_unused:UNUSED_PAD src0_sel:DWORD
	s_mul_hi_u32 s1, s13, s6
	s_mul_i32 s0, s0, s6
	s_add_i32 s1, s1, s0
	s_mul_i32 s0, s13, s6
	s_add_u32 s0, s16, s0
	v_or_b32_sdwa v0, v0, v34 dst_sel:DWORD dst_unused:UNUSED_PAD src0_sel:BYTE_0 src1_sel:DWORD
	v_or_b32_sdwa v26, v32, v33 dst_sel:WORD_1 dst_unused:UNUSED_PAD src0_sel:BYTE_0 src1_sel:DWORD
	s_addc_u32 s1, s17, s1
	v_or_b32_sdwa v26, v0, v26 dst_sel:DWORD dst_unused:UNUSED_PAD src0_sel:WORD_0 src1_sel:DWORD
	v_or_b32_sdwa v0, v28, v29 dst_sel:DWORD dst_unused:UNUSED_PAD src0_sel:BYTE_0 src1_sel:DWORD
	v_or_b32_sdwa v27, v35, v27 dst_sel:WORD_1 dst_unused:UNUSED_PAD src0_sel:BYTE_0 src1_sel:DWORD
	s_and_b32 s1, s1, 0xffff
	s_mov_b32 s3, 0x20000
	v_or_b32_sdwa v27, v0, v27 dst_sel:DWORD dst_unused:UNUSED_PAD src0_sel:WORD_0 src1_sel:DWORD
	buffer_store_dwordx2 v[26:27], v1, s[0:3], 0 offen
	;;#ASMSTART
	s_nop 0
	;;#ASMEND
	;;#ASMSTART
	v_pk_mul_f32 v[26:27], v[30:31], v[12:13]
	;;#ASMEND
	;;#ASMSTART
	v_pk_mul_f32 v[24:25], v[24:25], v[12:13]
	;;#ASMEND
	v_cvt_i32_f32_e32 v0, v26
	v_cvt_i32_f32_sdwa v26, v27 dst_sel:BYTE_1 dst_unused:UNUSED_PAD src0_sel:DWORD
	v_cvt_i32_f32_e32 v24, v24
	v_cvt_i32_f32_sdwa v25, v25 dst_sel:BYTE_1 dst_unused:UNUSED_PAD src0_sel:DWORD
	;;#ASMSTART
	v_pk_mul_f32 v[22:23], v[22:23], v[12:13]
	;;#ASMEND
	;;#ASMSTART
	v_pk_mul_f32 v[18:19], v[18:19], v[12:13]
	;;#ASMEND
	v_cvt_i32_f32_e32 v22, v22
	v_cvt_i32_f32_sdwa v23, v23 dst_sel:BYTE_1 dst_unused:UNUSED_PAD src0_sel:DWORD
	v_cvt_i32_f32_e32 v27, v18
	v_cvt_i32_f32_sdwa v19, v19 dst_sel:BYTE_1 dst_unused:UNUSED_PAD src0_sel:DWORD
	v_or_b32_sdwa v0, v0, v26 dst_sel:DWORD dst_unused:UNUSED_PAD src0_sel:BYTE_0 src1_sel:DWORD
	v_or_b32_sdwa v18, v24, v25 dst_sel:WORD_1 dst_unused:UNUSED_PAD src0_sel:BYTE_0 src1_sel:DWORD
	v_or_b32_sdwa v18, v0, v18 dst_sel:DWORD dst_unused:UNUSED_PAD src0_sel:WORD_0 src1_sel:DWORD
	v_or_b32_sdwa v0, v22, v23 dst_sel:DWORD dst_unused:UNUSED_PAD src0_sel:BYTE_0 src1_sel:DWORD
	v_or_b32_sdwa v19, v27, v19 dst_sel:WORD_1 dst_unused:UNUSED_PAD src0_sel:BYTE_0 src1_sel:DWORD
	v_or_b32_sdwa v19, v0, v19 dst_sel:DWORD dst_unused:UNUSED_PAD src0_sel:WORD_0 src1_sel:DWORD
	s_movk_i32 s4, 0x200
	buffer_store_dwordx2 v[18:19], v1, s[0:3], s4 offen
	;;#ASMSTART
	s_nop 0
	;;#ASMEND
	;;#ASMSTART
	v_pk_mul_f32 v[18:19], v[20:21], v[12:13]
	;;#ASMEND
	;;#ASMSTART
	v_pk_mul_f32 v[16:17], v[16:17], v[12:13]
	;;#ASMEND
	v_cvt_i32_f32_e32 v0, v18
	v_cvt_i32_f32_sdwa v18, v19 dst_sel:BYTE_1 dst_unused:UNUSED_PAD src0_sel:DWORD
	v_cvt_i32_f32_e32 v16, v16
	v_cvt_i32_f32_sdwa v17, v17 dst_sel:BYTE_1 dst_unused:UNUSED_PAD src0_sel:DWORD
	;;#ASMSTART
	v_pk_mul_f32 v[14:15], v[14:15], v[12:13]
	;;#ASMEND
	;;#ASMSTART
	v_pk_mul_f32 v[8:9], v[8:9], v[12:13]
	;;#ASMEND
	v_cvt_i32_f32_e32 v14, v14
	v_cvt_i32_f32_sdwa v15, v15 dst_sel:BYTE_1 dst_unused:UNUSED_PAD src0_sel:DWORD
	v_cvt_i32_f32_e32 v19, v8
	v_cvt_i32_f32_sdwa v9, v9 dst_sel:BYTE_1 dst_unused:UNUSED_PAD src0_sel:DWORD
	v_or_b32_sdwa v0, v0, v18 dst_sel:DWORD dst_unused:UNUSED_PAD src0_sel:BYTE_0 src1_sel:DWORD
	v_or_b32_sdwa v8, v16, v17 dst_sel:WORD_1 dst_unused:UNUSED_PAD src0_sel:BYTE_0 src1_sel:DWORD
	v_or_b32_sdwa v8, v0, v8 dst_sel:DWORD dst_unused:UNUSED_PAD src0_sel:WORD_0 src1_sel:DWORD
	v_or_b32_sdwa v0, v14, v15 dst_sel:DWORD dst_unused:UNUSED_PAD src0_sel:BYTE_0 src1_sel:DWORD
	v_or_b32_sdwa v9, v19, v9 dst_sel:WORD_1 dst_unused:UNUSED_PAD src0_sel:BYTE_0 src1_sel:DWORD
	v_or_b32_sdwa v9, v0, v9 dst_sel:DWORD dst_unused:UNUSED_PAD src0_sel:WORD_0 src1_sel:DWORD
	s_movk_i32 s4, 0x400
	;; [unrolled: 31-line block ×3, first 2 shown]
	buffer_store_dwordx2 v[2:3], v1, s[0:3], s4 offen
	;;#ASMSTART
	s_nop 0
	;;#ASMEND
.LBB54_49:
	s_endpgm
.LBB54_50:
                                        ; implicit-def: $vgpr12_vgpr13
	s_branch .LBB54_37
	.section	.rodata,"a",@progbits
	.p2align	6, 0x0
	.amdhsa_kernel _ZN5aiter24add_rmsnorm_quant_kernelItaLi256ELi32ELb1ELb1ELb1ELi1EEEvPT0_PT_PfS4_S4_S4_diiiiiiib
		.amdhsa_group_segment_fixed_size 32
		.amdhsa_private_segment_fixed_size 0
		.amdhsa_kernarg_size 88
		.amdhsa_user_sgpr_count 6
		.amdhsa_user_sgpr_private_segment_buffer 1
		.amdhsa_user_sgpr_dispatch_ptr 0
		.amdhsa_user_sgpr_queue_ptr 0
		.amdhsa_user_sgpr_kernarg_segment_ptr 1
		.amdhsa_user_sgpr_dispatch_id 0
		.amdhsa_user_sgpr_flat_scratch_init 0
		.amdhsa_user_sgpr_kernarg_preload_length 0
		.amdhsa_user_sgpr_kernarg_preload_offset 0
		.amdhsa_user_sgpr_private_segment_size 0
		.amdhsa_uses_dynamic_stack 0
		.amdhsa_system_sgpr_private_segment_wavefront_offset 0
		.amdhsa_system_sgpr_workgroup_id_x 1
		.amdhsa_system_sgpr_workgroup_id_y 0
		.amdhsa_system_sgpr_workgroup_id_z 0
		.amdhsa_system_sgpr_workgroup_info 0
		.amdhsa_system_vgpr_workitem_id 0
		.amdhsa_next_free_vgpr 70
		.amdhsa_next_free_sgpr 40
		.amdhsa_accum_offset 72
		.amdhsa_reserve_vcc 1
		.amdhsa_reserve_flat_scratch 0
		.amdhsa_float_round_mode_32 0
		.amdhsa_float_round_mode_16_64 0
		.amdhsa_float_denorm_mode_32 3
		.amdhsa_float_denorm_mode_16_64 3
		.amdhsa_dx10_clamp 1
		.amdhsa_ieee_mode 1
		.amdhsa_fp16_overflow 0
		.amdhsa_tg_split 0
		.amdhsa_exception_fp_ieee_invalid_op 0
		.amdhsa_exception_fp_denorm_src 0
		.amdhsa_exception_fp_ieee_div_zero 0
		.amdhsa_exception_fp_ieee_overflow 0
		.amdhsa_exception_fp_ieee_underflow 0
		.amdhsa_exception_fp_ieee_inexact 0
		.amdhsa_exception_int_div_zero 0
	.end_amdhsa_kernel
	.section	.text._ZN5aiter24add_rmsnorm_quant_kernelItaLi256ELi32ELb1ELb1ELb1ELi1EEEvPT0_PT_PfS4_S4_S4_diiiiiiib,"axG",@progbits,_ZN5aiter24add_rmsnorm_quant_kernelItaLi256ELi32ELb1ELb1ELb1ELi1EEEvPT0_PT_PfS4_S4_S4_diiiiiiib,comdat
.Lfunc_end54:
	.size	_ZN5aiter24add_rmsnorm_quant_kernelItaLi256ELi32ELb1ELb1ELb1ELi1EEEvPT0_PT_PfS4_S4_S4_diiiiiiib, .Lfunc_end54-_ZN5aiter24add_rmsnorm_quant_kernelItaLi256ELi32ELb1ELb1ELb1ELi1EEEvPT0_PT_PfS4_S4_S4_diiiiiiib
                                        ; -- End function
	.section	.AMDGPU.csdata,"",@progbits
; Kernel info:
; codeLenInByte = 5380
; NumSgprs: 44
; NumVgprs: 70
; NumAgprs: 0
; TotalNumVgprs: 70
; ScratchSize: 0
; MemoryBound: 0
; FloatMode: 240
; IeeeMode: 1
; LDSByteSize: 32 bytes/workgroup (compile time only)
; SGPRBlocks: 5
; VGPRBlocks: 8
; NumSGPRsForWavesPerEU: 44
; NumVGPRsForWavesPerEU: 70
; AccumOffset: 72
; Occupancy: 7
; WaveLimiterHint : 0
; COMPUTE_PGM_RSRC2:SCRATCH_EN: 0
; COMPUTE_PGM_RSRC2:USER_SGPR: 6
; COMPUTE_PGM_RSRC2:TRAP_HANDLER: 0
; COMPUTE_PGM_RSRC2:TGID_X_EN: 1
; COMPUTE_PGM_RSRC2:TGID_Y_EN: 0
; COMPUTE_PGM_RSRC2:TGID_Z_EN: 0
; COMPUTE_PGM_RSRC2:TIDIG_COMP_CNT: 0
; COMPUTE_PGM_RSRC3_GFX90A:ACCUM_OFFSET: 17
; COMPUTE_PGM_RSRC3_GFX90A:TG_SPLIT: 0
	.section	.text._ZN5aiter24add_rmsnorm_quant_kernelIDF16_aLi256ELi32ELb1ELb1ELb0ELi1EEEvPT0_PT_PfS4_S4_S4_diiiiiiib,"axG",@progbits,_ZN5aiter24add_rmsnorm_quant_kernelIDF16_aLi256ELi32ELb1ELb1ELb0ELi1EEEvPT0_PT_PfS4_S4_S4_diiiiiiib,comdat
	.protected	_ZN5aiter24add_rmsnorm_quant_kernelIDF16_aLi256ELi32ELb1ELb1ELb0ELi1EEEvPT0_PT_PfS4_S4_S4_diiiiiiib ; -- Begin function _ZN5aiter24add_rmsnorm_quant_kernelIDF16_aLi256ELi32ELb1ELb1ELb0ELi1EEEvPT0_PT_PfS4_S4_S4_diiiiiiib
	.globl	_ZN5aiter24add_rmsnorm_quant_kernelIDF16_aLi256ELi32ELb1ELb1ELb0ELi1EEEvPT0_PT_PfS4_S4_S4_diiiiiiib
	.p2align	8
	.type	_ZN5aiter24add_rmsnorm_quant_kernelIDF16_aLi256ELi32ELb1ELb1ELb0ELi1EEEvPT0_PT_PfS4_S4_S4_diiiiiiib,@function
_ZN5aiter24add_rmsnorm_quant_kernelIDF16_aLi256ELi32ELb1ELb1ELb0ELi1EEEvPT0_PT_PfS4_S4_S4_diiiiiiib: ; @_ZN5aiter24add_rmsnorm_quant_kernelIDF16_aLi256ELi32ELb1ELb1ELb0ELi1EEEvPT0_PT_PfS4_S4_S4_diiiiiiib
; %bb.0:
	s_load_dwordx8 s[8:15], s[4:5], 0x38
	s_mov_b32 s7, 0
	s_waitcnt lgkmcnt(0)
	s_ashr_i32 s0, s8, 31
	v_mov_b32_e32 v2, s8
	v_mov_b32_e32 v3, s0
	v_cmp_ge_i64_e32 vcc, s[6:7], v[2:3]
	s_cbranch_vccnz .LBB55_49
; %bb.1:
	s_load_dwordx8 s[16:23], s[4:5], 0x0
	s_ashr_i32 s0, s10, 31
	s_mul_hi_u32 s1, s10, s6
	s_mul_i32 s0, s0, s6
	s_add_i32 s1, s1, s0
	s_mul_i32 s0, s10, s6
	s_lshl_b64 s[0:1], s[0:1], 1
	s_waitcnt lgkmcnt(0)
	s_add_u32 s0, s22, s0
	s_addc_u32 s1, s23, s1
	s_add_i32 s2, s9, 1
	s_lshr_b32 s3, s2, 31
	s_add_i32 s2, s2, s3
	s_lshl_b32 s2, s2, 1
	s_load_dwordx8 s[24:31], s[4:5], 0x20
	s_and_b32 s2, s2, -4
	s_and_b32 s1, s1, 0xffff
	s_mov_b32 s3, 0x20000
	v_lshlrev_b32_e32 v1, 6, v0
	buffer_load_dwordx4 v[22:25], v1, s[0:3], 16 offen
	buffer_load_dwordx4 v[26:29], v1, s[0:3], 32 offen
	;; [unrolled: 1-line block ×4, first 2 shown]
	s_ashr_i32 s0, s11, 31
	s_mul_hi_u32 s5, s11, s6
	s_mul_i32 s0, s0, s6
	s_mul_i32 s4, s11, s6
	s_add_i32 s5, s5, s0
	s_waitcnt lgkmcnt(0)
	s_and_b32 s37, s27, 0xffff
	s_lshl_b64 s[0:1], s[4:5], 1
	s_add_u32 s0, s24, s0
	s_addc_u32 s1, s25, s1
	s_and_b32 s1, s1, 0xffff
	buffer_load_dwordx4 v[30:33], v1, s[0:3], 16 offen
	buffer_load_dwordx4 v[10:13], v1, s[0:3], 32 offen
	;; [unrolled: 1-line block ×4, first 2 shown]
	s_mov_b32 s39, s3
	s_mov_b32 s36, s26
	;; [unrolled: 1-line block ×3, first 2 shown]
	s_ashr_i32 s0, s12, 31
	s_mul_hi_u32 s1, s12, s6
	s_mul_i32 s0, s0, s6
	s_add_i32 s1, s1, s0
	s_mul_i32 s0, s12, s6
	s_lshl_b64 s[0:1], s[0:1], 1
	s_add_u32 s0, s18, s0
	s_addc_u32 s1, s19, s1
	s_and_b32 s1, s1, 0xffff
	s_waitcnt vmcnt(7)
	v_cvt_f32_f16_e32 v14, v22
	v_cvt_f32_f16_sdwa v15, v22 dst_sel:DWORD dst_unused:UNUSED_PAD src0_sel:WORD_1
	v_cvt_f32_f16_e32 v16, v23
	v_cvt_f32_f16_sdwa v17, v23 dst_sel:DWORD dst_unused:UNUSED_PAD src0_sel:WORD_1
	s_waitcnt vmcnt(4)
	v_cvt_f32_f16_e32 v50, v6
	v_cvt_f32_f16_sdwa v51, v6 dst_sel:DWORD dst_unused:UNUSED_PAD src0_sel:WORD_1
	v_cvt_f32_f16_e32 v52, v7
	v_cvt_f32_f16_sdwa v53, v7 dst_sel:DWORD dst_unused:UNUSED_PAD src0_sel:WORD_1
	;; [unrolled: 2-line block ×4, first 2 shown]
	s_waitcnt vmcnt(3)
	v_cvt_f32_f16_e32 v6, v30
	v_cvt_f32_f16_sdwa v7, v30 dst_sel:DWORD dst_unused:UNUSED_PAD src0_sel:WORD_1
	v_cvt_f32_f16_e32 v8, v31
	v_cvt_f32_f16_sdwa v9, v31 dst_sel:DWORD dst_unused:UNUSED_PAD src0_sel:WORD_1
	s_waitcnt vmcnt(2)
	v_cvt_f32_f16_e32 v44, v10
	v_cvt_f32_f16_sdwa v45, v10 dst_sel:DWORD dst_unused:UNUSED_PAD src0_sel:WORD_1
	v_cvt_f32_f16_e32 v58, v11
	v_cvt_f32_f16_sdwa v59, v11 dst_sel:DWORD dst_unused:UNUSED_PAD src0_sel:WORD_1
	;; [unrolled: 2-line block ×4, first 2 shown]
	s_waitcnt vmcnt(1)
	v_cvt_f32_f16_e32 v64, v2
	v_cvt_f32_f16_sdwa v65, v2 dst_sel:DWORD dst_unused:UNUSED_PAD src0_sel:WORD_1
	v_cvt_f32_f16_e32 v66, v3
	v_cvt_f32_f16_sdwa v67, v3 dst_sel:DWORD dst_unused:UNUSED_PAD src0_sel:WORD_1
	;; [unrolled: 2-line block ×4, first 2 shown]
	v_pk_add_f32 v[34:35], v[14:15], v[6:7]
	v_pk_add_f32 v[30:31], v[16:17], v[8:9]
	buffer_load_dwordx4 v[14:17], v1, s[36:39], 0 offen
	buffer_load_dwordx4 v[10:13], v1, s[36:39], 16 offen
	;; [unrolled: 1-line block ×4, first 2 shown]
	v_cvt_f32_f16_e32 v22, v24
	v_cvt_f32_f16_sdwa v23, v24 dst_sel:DWORD dst_unused:UNUSED_PAD src0_sel:WORD_1
	v_cvt_f32_f16_e32 v24, v25
	v_cvt_f32_f16_sdwa v25, v25 dst_sel:DWORD dst_unused:UNUSED_PAD src0_sel:WORD_1
	;; [unrolled: 2-line block ×8, first 2 shown]
	v_pk_add_f32 v[32:33], v[24:25], v[28:29]
	v_pk_add_f32 v[28:29], v[36:37], v[44:45]
	;; [unrolled: 1-line block ×6, first 2 shown]
	v_cvt_f32_f16_e32 v50, v18
	v_cvt_f32_f16_sdwa v51, v18 dst_sel:DWORD dst_unused:UNUSED_PAD src0_sel:WORD_1
	s_waitcnt vmcnt(4)
	v_cvt_f32_f16_e32 v52, v46
	v_cvt_f32_f16_sdwa v53, v46 dst_sel:DWORD dst_unused:UNUSED_PAD src0_sel:WORD_1
	v_pk_add_f32 v[36:37], v[54:55], v[68:69]
	v_cvt_f32_f16_e32 v54, v19
	v_cvt_f32_f16_sdwa v55, v19 dst_sel:DWORD dst_unused:UNUSED_PAD src0_sel:WORD_1
	v_cvt_f32_f16_e32 v46, v47
	v_cvt_f32_f16_sdwa v47, v47 dst_sel:DWORD dst_unused:UNUSED_PAD src0_sel:WORD_1
	v_pk_add_f32 v[18:19], v[50:51], v[52:53]
	v_cvt_f32_f16_e32 v50, v20
	v_cvt_f32_f16_sdwa v51, v20 dst_sel:DWORD dst_unused:UNUSED_PAD src0_sel:WORD_1
	v_cvt_f32_f16_e32 v52, v21
	v_cvt_f32_f16_sdwa v53, v21 dst_sel:DWORD dst_unused:UNUSED_PAD src0_sel:WORD_1
	;; [unrolled: 2-line block ×4, first 2 shown]
	v_pk_add_f32 v[46:47], v[54:55], v[46:47]
	v_pk_add_f32 v[20:21], v[50:51], v[20:21]
	;; [unrolled: 1-line block ×6, first 2 shown]
	v_cvt_f16_f32_e32 v56, v19
	v_cvt_f16_f32_e32 v54, v47
	;; [unrolled: 1-line block ×8, first 2 shown]
	v_pack_b32_f16 v53, v52, v51
	v_pack_b32_f16 v52, v55, v50
	;; [unrolled: 1-line block ×4, first 2 shown]
	buffer_store_dwordx4 v[50:53], v1, s[0:3], 0 offen
	v_cvt_f16_f32_e32 v54, v33
	v_cvt_f16_f32_e32 v50, v34
	v_cvt_f16_f32_e32 v51, v30
	v_cvt_f16_f32_e32 v52, v26
	v_cvt_f16_f32_e32 v53, v32
	v_cvt_f16_f32_e32 v55, v27
	v_cvt_f16_f32_e32 v56, v31
	v_cvt_f16_f32_e32 v57, v35
	v_pack_b32_f16 v53, v53, v54
	v_pack_b32_f16 v52, v52, v55
	v_pack_b32_f16 v51, v51, v56
	v_pack_b32_f16 v50, v50, v57
	;;#ASMSTART
	s_nop 0
	;;#ASMEND
	buffer_store_dwordx4 v[50:53], v1, s[0:3], 16 offen
	v_cvt_f16_f32_e32 v54, v45
	v_cvt_f16_f32_e32 v50, v28
	v_cvt_f16_f32_e32 v51, v24
	v_cvt_f16_f32_e32 v52, v22
	v_cvt_f16_f32_e32 v53, v44
	v_cvt_f16_f32_e32 v55, v23
	v_cvt_f16_f32_e32 v56, v25
	v_cvt_f16_f32_e32 v57, v29
	v_pack_b32_f16 v53, v53, v54
	v_pack_b32_f16 v52, v52, v55
	v_pack_b32_f16 v51, v51, v56
	v_pack_b32_f16 v50, v50, v57
	;;#ASMSTART
	s_nop 0
	;;#ASMEND
	;; [unrolled: 16-line block ×3, first 2 shown]
	buffer_store_dwordx4 v[50:53], v1, s[0:3], 48 offen
	v_pk_mul_f32 v[54:55], v[20:21], v[20:21]
	v_pk_mul_f32 v[50:51], v[18:19], v[18:19]
	;; [unrolled: 1-line block ×3, first 2 shown]
	v_add_f32_e32 v1, v50, v51
	v_add_f32_e32 v1, v52, v1
	;; [unrolled: 1-line block ×4, first 2 shown]
	v_pk_mul_f32 v[56:57], v[48:49], v[48:49]
	v_add_f32_e32 v1, v55, v1
	v_add_f32_e32 v1, v56, v1
	v_pk_mul_f32 v[58:59], v[34:35], v[34:35]
	v_add_f32_e32 v1, v57, v1
	v_add_f32_e32 v1, v58, v1
	v_pk_mul_f32 v[50:51], v[30:31], v[30:31]
	v_add_f32_e32 v1, v59, v1
	v_add_f32_e32 v1, v50, v1
	v_pk_mul_f32 v[52:53], v[26:27], v[26:27]
	v_add_f32_e32 v1, v51, v1
	v_add_f32_e32 v1, v52, v1
	v_pk_mul_f32 v[54:55], v[32:33], v[32:33]
	v_add_f32_e32 v1, v53, v1
	v_add_f32_e32 v1, v54, v1
	v_pk_mul_f32 v[56:57], v[28:29], v[28:29]
	v_add_f32_e32 v1, v55, v1
	v_add_f32_e32 v1, v56, v1
	v_pk_mul_f32 v[58:59], v[24:25], v[24:25]
	v_add_f32_e32 v1, v57, v1
	v_add_f32_e32 v1, v58, v1
	v_pk_mul_f32 v[50:51], v[22:23], v[22:23]
	v_add_f32_e32 v1, v59, v1
	v_add_f32_e32 v1, v50, v1
	v_pk_mul_f32 v[52:53], v[44:45], v[44:45]
	v_add_f32_e32 v1, v51, v1
	v_add_f32_e32 v1, v52, v1
	v_pk_mul_f32 v[54:55], v[42:43], v[42:43]
	v_add_f32_e32 v1, v53, v1
	v_add_f32_e32 v1, v54, v1
	v_pk_mul_f32 v[56:57], v[38:39], v[38:39]
	v_add_f32_e32 v1, v55, v1
	v_add_f32_e32 v1, v56, v1
	v_pk_mul_f32 v[58:59], v[36:37], v[36:37]
	v_add_f32_e32 v1, v57, v1
	v_add_f32_e32 v1, v58, v1
	v_pk_mul_f32 v[50:51], v[40:41], v[40:41]
	v_add_f32_e32 v1, v59, v1
	v_add_f32_e32 v1, v50, v1
	v_add_f32_e32 v1, v51, v1
	v_and_b32_e32 v51, 63, v0
	v_cmp_eq_u32_e64 s[0:1], 63, v51
	v_mov_b32_dpp v50, v1 quad_perm:[1,0,3,2] row_mask:0xf bank_mask:0xf
	v_add_f32_e32 v1, v1, v50
	;;#ASMSTART
	s_nop 0
	;;#ASMEND
	s_nop 1
	v_mov_b32_dpp v50, v1 quad_perm:[2,3,0,1] row_mask:0xf bank_mask:0xf
	v_add_f32_e32 v1, v1, v50
	s_nop 1
	v_mov_b32_dpp v50, v1 row_half_mirror row_mask:0xf bank_mask:0xf
	v_add_f32_e32 v1, v1, v50
	s_nop 1
	v_mov_b32_dpp v50, v1 row_mirror row_mask:0xf bank_mask:0xf
	v_add_f32_e32 v1, v1, v50
	s_nop 1
	v_mov_b32_dpp v50, v1 row_bcast:15 row_mask:0xf bank_mask:0xf
	v_add_f32_e32 v1, v1, v50
	s_nop 1
	v_mov_b32_dpp v50, v1 row_bcast:31 row_mask:0xf bank_mask:0xf
	s_and_saveexec_b64 s[2:3], s[0:1]
	s_cbranch_execz .LBB55_3
; %bb.2:
	v_lshrrev_b32_e32 v51, 4, v0
	v_and_b32_e32 v51, 60, v51
	v_add_f32_e32 v1, v1, v50
	ds_write_b32 v51, v1 offset:16
.LBB55_3:
	s_or_b64 exec, exec, s[2:3]
	v_and_b32_e32 v1, 3, v0
	v_lshlrev_b32_e32 v50, 2, v1
	s_waitcnt lgkmcnt(0)
	s_barrier
	ds_read_b32 v1, v50 offset:16
	v_cvt_f32_i32_e32 v51, s9
	s_cmp_lg_u32 s14, 0
	s_waitcnt lgkmcnt(0)
	v_mov_b32_dpp v52, v1 quad_perm:[1,0,3,2] row_mask:0xf bank_mask:0xf
	v_add_f32_e32 v1, v1, v52
	s_nop 1
	v_mov_b32_dpp v52, v1 quad_perm:[2,3,0,1] row_mask:0xf bank_mask:0xf
	v_add_f32_e32 v1, v1, v52
	v_div_scale_f32 v52, s[2:3], v51, v51, v1
	v_rcp_f32_e32 v53, v52
	v_div_scale_f32 v54, vcc, v1, v51, v1
	s_mov_b32 s2, 0x800000
	v_fma_f32 v55, -v52, v53, 1.0
	v_fmac_f32_e32 v53, v55, v53
	v_mul_f32_e32 v55, v54, v53
	v_fma_f32 v56, -v52, v55, v54
	v_fmac_f32_e32 v55, v56, v53
	v_fma_f32 v52, -v52, v55, v54
	v_div_fmas_f32 v52, v52, v53, v55
	v_div_fixup_f32 v1, v52, v51, v1
	v_cvt_f64_f32_e32 v[52:53], v1
	v_add_f64 v[52:53], v[52:53], s[28:29]
	v_cvt_f32_f64_e32 v1, v[52:53]
	v_mul_f32_e32 v51, 0x4b800000, v1
	v_cmp_gt_f32_e32 vcc, s2, v1
	v_cndmask_b32_e32 v1, v1, v51, vcc
	v_rsq_f32_e32 v51, v1
	v_lshlrev_b32_e32 v1, 5, v0
	v_mul_f32_e32 v52, 0x45800000, v51
	v_cndmask_b32_e32 v52, v51, v52, vcc
	v_mov_b32_e32 v53, v52
	;;#ASMSTART
	v_pk_mul_f32 v[18:19], v[18:19], v[52:53]
	;;#ASMEND
	;;#ASMSTART
	v_pk_mul_f32 v[46:47], v[46:47], v[52:53]
	;;#ASMEND
	;; [unrolled: 3-line block ×11, first 2 shown]
	s_waitcnt vmcnt(7)
	v_cvt_f32_f16_sdwa v23, v14 dst_sel:DWORD dst_unused:UNUSED_PAD src0_sel:WORD_1
	v_cvt_f32_f16_e32 v22, v14
	;;#ASMSTART
	v_pk_mul_f32 v[44:45], v[44:45], v[52:53]
	;;#ASMEND
	;;#ASMSTART
	v_pk_mul_f32 v[42:43], v[42:43], v[52:53]
	;;#ASMEND
	;; [unrolled: 3-line block ×5, first 2 shown]
	v_cvt_f32_f16_sdwa v29, v15 dst_sel:DWORD dst_unused:UNUSED_PAD src0_sel:WORD_1
	v_cvt_f32_f16_e32 v28, v15
	v_cvt_f32_f16_sdwa v15, v16 dst_sel:DWORD dst_unused:UNUSED_PAD src0_sel:WORD_1
	v_cvt_f32_f16_e32 v14, v16
	v_cvt_f32_f16_sdwa v33, v17 dst_sel:DWORD dst_unused:UNUSED_PAD src0_sel:WORD_1
	v_cvt_f32_f16_e32 v32, v17
	;;#ASMSTART
	v_pk_mul_f32 v[24:25], v[18:19], v[22:23]
	;;#ASMEND
	;;#ASMSTART
	v_pk_mul_f32 v[22:23], v[46:47], v[28:29]
	;;#ASMEND
	;;#ASMSTART
	v_pk_mul_f32 v[18:19], v[20:21], v[14:15]
	;;#ASMEND
	s_waitcnt vmcnt(6)
	v_cvt_f32_f16_sdwa v17, v10 dst_sel:DWORD dst_unused:UNUSED_PAD src0_sel:WORD_1
	v_cvt_f32_f16_e32 v16, v10
	v_cvt_f32_f16_sdwa v21, v11 dst_sel:DWORD dst_unused:UNUSED_PAD src0_sel:WORD_1
	v_cvt_f32_f16_e32 v20, v11
	;; [unrolled: 2-line block ×3, first 2 shown]
	;;#ASMSTART
	v_pk_mul_f32 v[14:15], v[48:49], v[32:33]
	;;#ASMEND
	;;#ASMSTART
	v_pk_mul_f32 v[32:33], v[34:35], v[16:17]
	;;#ASMEND
	;; [unrolled: 3-line block ×4, first 2 shown]
	s_waitcnt vmcnt(5)
	v_cvt_f32_f16_sdwa v11, v6 dst_sel:DWORD dst_unused:UNUSED_PAD src0_sel:WORD_1
	v_cvt_f32_f16_e32 v10, v6
	v_cvt_f32_f16_sdwa v47, v13 dst_sel:DWORD dst_unused:UNUSED_PAD src0_sel:WORD_1
	v_cvt_f32_f16_e32 v46, v13
	;;#ASMSTART
	v_pk_mul_f32 v[26:27], v[54:55], v[46:47]
	;;#ASMEND
	v_cvt_f32_f16_sdwa v13, v7 dst_sel:DWORD dst_unused:UNUSED_PAD src0_sel:WORD_1
	v_cvt_f32_f16_e32 v12, v7
	v_cvt_f32_f16_sdwa v7, v8 dst_sel:DWORD dst_unused:UNUSED_PAD src0_sel:WORD_1
	v_cvt_f32_f16_e32 v6, v8
	;; [unrolled: 2-line block ×3, first 2 shown]
	;;#ASMSTART
	v_pk_mul_f32 v[20:21], v[56:57], v[10:11]
	;;#ASMEND
	s_waitcnt vmcnt(4)
	v_cvt_f32_f16_sdwa v11, v2 dst_sel:DWORD dst_unused:UNUSED_PAD src0_sel:WORD_1
	v_cvt_f32_f16_e32 v10, v2
	v_cvt_f32_f16_e32 v34, v3
	;;#ASMSTART
	v_pk_mul_f32 v[12:13], v[58:59], v[12:13]
	;;#ASMEND
	;;#ASMSTART
	v_pk_mul_f32 v[8:9], v[60:61], v[6:7]
	;;#ASMEND
	;;#ASMSTART
	v_pk_mul_f32 v[6:7], v[44:45], v[16:17]
	;;#ASMEND
	v_cvt_f32_f16_sdwa v35, v3 dst_sel:DWORD dst_unused:UNUSED_PAD src0_sel:WORD_1
	v_cvt_f32_f16_sdwa v3, v4 dst_sel:DWORD dst_unused:UNUSED_PAD src0_sel:WORD_1
	v_cvt_f32_f16_e32 v2, v4
	v_cvt_f32_f16_sdwa v45, v5 dst_sel:DWORD dst_unused:UNUSED_PAD src0_sel:WORD_1
	v_cvt_f32_f16_e32 v44, v5
	;;#ASMSTART
	v_pk_mul_f32 v[16:17], v[42:43], v[10:11]
	;;#ASMEND
	;;#ASMSTART
	v_pk_mul_f32 v[10:11], v[38:39], v[34:35]
	;;#ASMEND
	;; [unrolled: 3-line block ×3, first 2 shown]
	v_and_b32_e32 v34, 0x7fffffff, v24
	v_mov_b32_e32 v36, 0x2edbe6ff
	;;#ASMSTART
	v_pk_mul_f32 v[2:3], v[40:41], v[44:45]
	;;#ASMEND
	v_and_b32_e32 v35, 0x7fffffff, v25
	;;#ASMSTART
	v_max3_f32 v34, v36, v34, v35

	;;#ASMEND
	v_and_b32_e32 v36, 0x7fffffff, v23
	v_and_b32_e32 v35, 0x7fffffff, v22
	;;#ASMSTART
	v_max3_f32 v34, v34, v35, v36

	;;#ASMEND
	v_and_b32_e32 v36, 0x7fffffff, v19
	;; [unrolled: 6-line block ×15, first 2 shown]
	v_and_b32_e32 v35, 0x7fffffff, v2
	;;#ASMSTART
	v_max3_f32 v36, v34, v35, v36

	;;#ASMEND
	s_cbranch_scc0 .LBB55_10
; %bb.4:
	s_ashr_i32 s12, s14, 31
	s_lshr_b32 s2, s12, 27
	s_add_i32 s2, s14, s2
	s_ashr_i32 s10, s2, 5
	s_cmp_lt_i32 s10, 16
	s_cbranch_scc1 .LBB55_11
; %bb.5:
	s_cmp_lt_i32 s10, 32
	s_cbranch_scc1 .LBB55_12
; %bb.6:
	;; [unrolled: 3-line block ×3, first 2 shown]
	s_cmp_eq_u32 s10, 64
	v_mov_b32_e32 v34, v36
	s_cbranch_scc0 .LBB55_9
; %bb.8:
	s_nop 0
	v_mov_b32_dpp v34, v36 quad_perm:[1,0,3,2] row_mask:0xf bank_mask:0xf
	v_cmp_gt_f32_e32 vcc, v36, v34
	v_cndmask_b32_e32 v34, v34, v36, vcc
	v_bfrev_b32_e32 v37, 0.5
	s_nop 0
	v_mov_b32_dpp v35, v34 quad_perm:[2,3,0,1] row_mask:0xf bank_mask:0xf
	v_cmp_gt_f32_e32 vcc, v34, v35
	v_cndmask_b32_e32 v34, v35, v34, vcc
	s_nop 1
	v_mov_b32_dpp v35, v34 row_ror:4 row_mask:0xf bank_mask:0xf
	v_cmp_gt_f32_e32 vcc, v34, v35
	v_cndmask_b32_e32 v34, v35, v34, vcc
	s_nop 1
	v_mov_b32_dpp v35, v34 row_ror:8 row_mask:0xf bank_mask:0xf
	v_cmp_gt_f32_e32 vcc, v34, v35
	v_cndmask_b32_e32 v34, v35, v34, vcc
	s_nop 1
	v_mov_b32_dpp v35, v34 row_bcast:15 row_mask:0xf bank_mask:0xf
	v_cmp_gt_f32_e32 vcc, v34, v35
	v_cndmask_b32_e32 v34, v35, v34, vcc
	s_nop 1
	v_mov_b32_dpp v35, v34 row_bcast:31 row_mask:0xf bank_mask:0xf
	v_cmp_gt_f32_e32 vcc, v34, v35
	v_cndmask_b32_e32 v34, v35, v34, vcc
	v_mbcnt_lo_u32_b32 v35, -1, 0
	v_mbcnt_hi_u32_b32 v35, -1, v35
	v_lshl_or_b32 v35, v35, 2, v37
	ds_bpermute_b32 v34, v35, v34
.LBB55_9:
	s_mov_b64 s[2:3], 0
	s_branch .LBB55_14
.LBB55_10:
	s_mov_b64 s[2:3], 0
                                        ; implicit-def: $vgpr37
                                        ; implicit-def: $vgpr34_vgpr35
	s_cbranch_execnz .LBB55_43
	s_branch .LBB55_46
.LBB55_11:
                                        ; implicit-def: $vgpr34
	s_branch .LBB55_21
.LBB55_12:
                                        ; implicit-def: $vgpr34
	s_branch .LBB55_18
.LBB55_13:
	s_mov_b64 s[2:3], -1
                                        ; implicit-def: $vgpr34
.LBB55_14:
	s_andn2_b64 vcc, exec, s[2:3]
	s_cbranch_vccnz .LBB55_17
; %bb.15:
	s_cmp_eq_u32 s10, 32
	s_waitcnt lgkmcnt(0)
	v_mov_b32_e32 v34, v36
	s_cbranch_scc0 .LBB55_17
; %bb.16:
	s_nop 0
	v_mov_b32_dpp v34, v36 quad_perm:[1,0,3,2] row_mask:0xf bank_mask:0xf
	v_cmp_gt_f32_e32 vcc, v36, v34
	v_cndmask_b32_e32 v34, v34, v36, vcc
	v_mov_b32_e32 v37, 0x7c
	s_nop 0
	v_mov_b32_dpp v35, v34 quad_perm:[2,3,0,1] row_mask:0xf bank_mask:0xf
	v_cmp_gt_f32_e32 vcc, v34, v35
	v_cndmask_b32_e32 v34, v35, v34, vcc
	s_nop 1
	v_mov_b32_dpp v35, v34 row_half_mirror row_mask:0xf bank_mask:0xf
	v_cmp_gt_f32_e32 vcc, v34, v35
	v_cndmask_b32_e32 v34, v35, v34, vcc
	s_nop 1
	v_mov_b32_dpp v35, v34 row_mirror row_mask:0xf bank_mask:0xf
	v_cmp_gt_f32_e32 vcc, v34, v35
	v_cndmask_b32_e32 v34, v35, v34, vcc
	s_nop 1
	v_mov_b32_dpp v35, v34 row_bcast:15 row_mask:0xa bank_mask:0xf
	v_cmp_gt_f32_e32 vcc, v34, v35
	v_cndmask_b32_e32 v34, v35, v34, vcc
	v_mbcnt_lo_u32_b32 v35, -1, 0
	v_mbcnt_hi_u32_b32 v35, -1, v35
	v_lshl_or_b32 v35, v35, 2, v37
	ds_bpermute_b32 v34, v35, v34
.LBB55_17:
	s_cbranch_execnz .LBB55_20
.LBB55_18:
	s_cmp_eq_u32 s10, 16
	s_waitcnt lgkmcnt(0)
	v_mov_b32_e32 v34, v36
	s_cbranch_scc0 .LBB55_20
; %bb.19:
	s_nop 0
	v_mov_b32_dpp v34, v36 quad_perm:[1,0,3,2] row_mask:0xf bank_mask:0xf
	v_cmp_gt_f32_e32 vcc, v36, v34
	v_cndmask_b32_e32 v34, v34, v36, vcc
	s_nop 1
	v_mov_b32_dpp v35, v34 quad_perm:[2,3,0,1] row_mask:0xf bank_mask:0xf
	v_cmp_gt_f32_e32 vcc, v34, v35
	v_cndmask_b32_e32 v34, v35, v34, vcc
	s_nop 1
	v_mov_b32_dpp v35, v34 row_half_mirror row_mask:0xf bank_mask:0xf
	v_cmp_gt_f32_e32 vcc, v34, v35
	v_cndmask_b32_e32 v34, v35, v34, vcc
	s_nop 1
	v_mov_b32_dpp v35, v34 row_mirror row_mask:0xf bank_mask:0xf
	v_cmp_gt_f32_e32 vcc, v34, v35
	v_cndmask_b32_e32 v34, v35, v34, vcc
.LBB55_20:
	s_cbranch_execnz .LBB55_33
.LBB55_21:
	s_cmp_lt_i32 s10, 4
	s_cbranch_scc1 .LBB55_25
; %bb.22:
	s_cmp_lt_i32 s10, 8
	s_cbranch_scc1 .LBB55_26
; %bb.23:
	s_cmp_eq_u32 s10, 8
	s_waitcnt lgkmcnt(0)
	v_mov_b32_e32 v34, v36
	s_cbranch_scc0 .LBB55_27
; %bb.24:
	s_nop 0
	v_mov_b32_dpp v34, v36 quad_perm:[1,0,3,2] row_mask:0xf bank_mask:0xf
	v_cmp_gt_f32_e32 vcc, v36, v34
	v_cndmask_b32_e32 v34, v34, v36, vcc
	s_nop 1
	v_mov_b32_dpp v35, v34 quad_perm:[2,3,0,1] row_mask:0xf bank_mask:0xf
	v_cmp_gt_f32_e32 vcc, v34, v35
	v_cndmask_b32_e32 v34, v35, v34, vcc
	s_nop 1
	v_mov_b32_dpp v35, v34 row_half_mirror row_mask:0xf bank_mask:0xf
	v_cmp_gt_f32_e32 vcc, v34, v35
	v_cndmask_b32_e32 v34, v35, v34, vcc
	s_cbranch_execz .LBB55_28
	s_branch .LBB55_30
.LBB55_25:
                                        ; implicit-def: $vgpr34
	s_branch .LBB55_31
.LBB55_26:
                                        ; implicit-def: $vgpr34
	s_branch .LBB55_28
.LBB55_27:
	s_cbranch_execnz .LBB55_30
.LBB55_28:
	s_cmp_eq_u32 s10, 4
	s_waitcnt lgkmcnt(0)
	v_mov_b32_e32 v34, v36
	s_cbranch_scc0 .LBB55_30
; %bb.29:
	s_nop 0
	v_mov_b32_dpp v34, v36 quad_perm:[1,0,3,2] row_mask:0xf bank_mask:0xf
	v_cmp_gt_f32_e32 vcc, v36, v34
	v_cndmask_b32_e32 v34, v34, v36, vcc
	s_nop 1
	v_mov_b32_dpp v35, v34 quad_perm:[2,3,0,1] row_mask:0xf bank_mask:0xf
	v_cmp_gt_f32_e32 vcc, v34, v35
	v_cndmask_b32_e32 v34, v35, v34, vcc
.LBB55_30:
	s_cbranch_execnz .LBB55_33
.LBB55_31:
	s_cmp_lg_u32 s10, 2
	s_waitcnt lgkmcnt(0)
	v_mov_b32_e32 v34, v36
	s_cbranch_scc1 .LBB55_33
; %bb.32:
	s_nop 0
	v_mov_b32_dpp v34, v36 quad_perm:[1,0,3,2] row_mask:0xf bank_mask:0xf
	v_cmp_gt_f32_e32 vcc, v36, v34
	v_cndmask_b32_e32 v34, v34, v36, vcc
.LBB55_33:
	v_cvt_f32_u32_e32 v35, s10
	s_waitcnt lgkmcnt(0)
	v_mul_f32_e32 v37, 0x3c010204, v34
	s_sub_i32 s2, 0, s10
	v_cmp_gt_u32_e32 vcc, s9, v1
	v_rcp_iflag_f32_e32 v35, v35
	s_mov_b64 s[4:5], 0
	v_mul_f32_e32 v34, 0x4f7ffffe, v35
	v_cvt_u32_f32_e32 v34, v34
	v_mul_lo_u32 v35, s2, v34
	v_mul_hi_u32 v35, v34, v35
	v_add_u32_e32 v34, v34, v35
	v_mul_hi_u32 v34, v0, v34
	v_mul_lo_u32 v35, v34, s10
	v_sub_u32_e32 v35, v0, v35
	v_add_u32_e32 v38, 1, v34
	v_cmp_le_u32_e64 s[2:3], s10, v35
	v_cndmask_b32_e64 v34, v34, v38, s[2:3]
	v_subrev_u32_e32 v38, s10, v35
	v_cndmask_b32_e64 v35, v35, v38, s[2:3]
	v_add_u32_e32 v38, 1, v34
	v_cmp_le_u32_e64 s[2:3], s10, v35
	v_cndmask_b32_e64 v38, v34, v38, s[2:3]
	v_mul_lo_u32 v34, v38, s10
	v_sub_u32_e32 v34, v0, v34
	v_cmp_eq_u32_e64 s[2:3], 0, v34
	s_and_b64 s[10:11], s[2:3], vcc
	s_mov_b64 s[2:3], 0
                                        ; implicit-def: $vgpr34_vgpr35
	s_and_saveexec_b64 s[18:19], s[10:11]
	s_xor_b64 s[10:11], exec, s[18:19]
	s_cbranch_execz .LBB55_42
; %bb.34:
	s_bitcmp0_b32 s15, 0
	s_cbranch_scc0 .LBB55_39
; %bb.35:
	s_ashr_i32 s2, s9, 31
	s_mul_hi_u32 s3, s9, s6
	s_mul_i32 s2, s2, s6
	s_add_i32 s19, s3, s2
	s_mul_i32 s18, s9, s6
	s_mov_b32 s15, s12
	s_or_b64 s[2:3], s[18:19], s[14:15]
	s_mov_b32 s2, 0
	s_cmp_lg_u64 s[2:3], 0
	s_cbranch_scc0 .LBB55_50
; %bb.36:
	s_add_u32 s2, s14, s15
	s_mov_b32 s24, s15
	s_mov_b32 s25, s15
	s_addc_u32 s3, s15, s15
	s_xor_b64 s[26:27], s[2:3], s[24:25]
	v_cvt_f32_u32_e32 v34, s26
	v_cvt_f32_u32_e32 v35, s27
	s_sub_u32 s2, 0, s26
	s_subb_u32 s3, 0, s27
	v_madmk_f32 v34, v35, 0x4f800000, v34
	v_rcp_f32_e32 v34, v34
	v_mul_f32_e32 v34, 0x5f7ffffc, v34
	v_mul_f32_e32 v35, 0x2f800000, v34
	v_trunc_f32_e32 v35, v35
	v_madmk_f32 v34, v35, 0xcf800000, v34
	v_cvt_u32_f32_e32 v35, v35
	v_cvt_u32_f32_e32 v34, v34
	v_readfirstlane_b32 s12, v35
	v_readfirstlane_b32 s15, v34
	s_mul_i32 s28, s2, s12
	s_mul_hi_u32 s30, s2, s15
	s_mul_i32 s29, s3, s15
	s_add_i32 s28, s30, s28
	s_add_i32 s28, s28, s29
	s_mul_i32 s31, s2, s15
	s_mul_hi_u32 s29, s15, s28
	s_mul_i32 s30, s15, s28
	s_mul_hi_u32 s15, s15, s31
	s_add_u32 s15, s15, s30
	s_addc_u32 s29, 0, s29
	s_mul_hi_u32 s33, s12, s31
	s_mul_i32 s31, s12, s31
	s_add_u32 s15, s15, s31
	s_mul_hi_u32 s30, s12, s28
	s_addc_u32 s15, s29, s33
	s_addc_u32 s29, s30, 0
	s_mul_i32 s28, s12, s28
	s_add_u32 s15, s15, s28
	s_addc_u32 s28, 0, s29
	v_add_co_u32_e32 v34, vcc, s15, v34
	s_cmp_lg_u64 vcc, 0
	s_addc_u32 s12, s12, s28
	v_readfirstlane_b32 s28, v34
	s_mul_i32 s15, s2, s12
	s_mul_hi_u32 s29, s2, s28
	s_add_i32 s15, s29, s15
	s_mul_i32 s3, s3, s28
	s_add_i32 s15, s15, s3
	s_mul_i32 s2, s2, s28
	s_mul_hi_u32 s29, s12, s2
	s_mul_i32 s30, s12, s2
	s_mul_i32 s33, s28, s15
	s_mul_hi_u32 s2, s28, s2
	s_mul_hi_u32 s31, s28, s15
	s_add_u32 s2, s2, s33
	s_addc_u32 s28, 0, s31
	s_add_u32 s2, s2, s30
	s_mul_hi_u32 s3, s12, s15
	s_addc_u32 s2, s28, s29
	s_addc_u32 s3, s3, 0
	s_mul_i32 s15, s12, s15
	s_add_u32 s2, s2, s15
	s_addc_u32 s3, 0, s3
	v_add_co_u32_e32 v34, vcc, s2, v34
	s_cmp_lg_u64 vcc, 0
	s_addc_u32 s12, s12, s3
	s_ashr_i32 s28, s19, 31
	s_add_u32 s2, s18, s28
	s_mov_b32 s29, s28
	s_addc_u32 s3, s19, s28
	s_xor_b64 s[30:31], s[2:3], s[28:29]
	v_readfirstlane_b32 s15, v34
	s_mul_i32 s3, s30, s12
	s_mul_hi_u32 s19, s30, s15
	s_mul_hi_u32 s2, s30, s12
	s_add_u32 s3, s19, s3
	s_addc_u32 s2, 0, s2
	s_mul_hi_u32 s33, s31, s15
	s_mul_i32 s15, s31, s15
	s_add_u32 s3, s3, s15
	s_mul_hi_u32 s19, s31, s12
	s_addc_u32 s2, s2, s33
	s_addc_u32 s3, s19, 0
	s_mul_i32 s12, s31, s12
	s_add_u32 s12, s2, s12
	s_addc_u32 s15, 0, s3
	s_mul_i32 s2, s26, s15
	s_mul_hi_u32 s3, s26, s12
	s_add_i32 s2, s3, s2
	s_mul_i32 s3, s27, s12
	s_add_i32 s19, s2, s3
	s_mul_i32 s3, s26, s12
	v_mov_b32_e32 v34, s3
	s_sub_i32 s2, s31, s19
	v_sub_co_u32_e32 v34, vcc, s30, v34
	s_cmp_lg_u64 vcc, 0
	s_subb_u32 s30, s2, s27
	v_subrev_co_u32_e64 v35, s[2:3], s26, v34
	s_cmp_lg_u64 s[2:3], 0
	s_subb_u32 s30, s30, 0
	s_cmp_ge_u32 s30, s27
	s_cselect_b32 s33, -1, 0
	v_cmp_le_u32_e64 s[2:3], s26, v35
	s_cmp_eq_u32 s30, s27
	v_cndmask_b32_e64 v35, 0, -1, s[2:3]
	v_mov_b32_e32 v39, s33
	s_cselect_b64 s[2:3], -1, 0
	v_cndmask_b32_e64 v35, v39, v35, s[2:3]
	s_add_u32 s2, s12, 1
	s_addc_u32 s30, s15, 0
	s_add_u32 s3, s12, 2
	s_addc_u32 s33, s15, 0
	v_mov_b32_e32 v39, s2
	v_mov_b32_e32 v40, s3
	v_cmp_ne_u32_e64 s[2:3], 0, v35
	v_cndmask_b32_e64 v35, v39, v40, s[2:3]
	v_mov_b32_e32 v39, s30
	v_mov_b32_e32 v40, s33
	s_cmp_lg_u64 vcc, 0
	v_cndmask_b32_e64 v39, v39, v40, s[2:3]
	s_subb_u32 s2, s31, s19
	s_cmp_ge_u32 s2, s27
	s_cselect_b32 s3, -1, 0
	v_cmp_le_u32_e32 vcc, s26, v34
	s_cmp_eq_u32 s2, s27
	v_cndmask_b32_e64 v34, 0, -1, vcc
	v_mov_b32_e32 v40, s3
	s_cselect_b64 vcc, -1, 0
	v_cndmask_b32_e32 v34, v40, v34, vcc
	v_mov_b32_e32 v40, s15
	v_cmp_ne_u32_e32 vcc, 0, v34
	v_cndmask_b32_e32 v34, v40, v39, vcc
	v_mov_b32_e32 v39, s12
	v_cndmask_b32_e32 v35, v39, v35, vcc
	s_xor_b64 s[2:3], s[28:29], s[24:25]
	v_xor_b32_e32 v35, s2, v35
	v_xor_b32_e32 v39, s3, v34
	v_mov_b32_e32 v40, s3
	v_subrev_co_u32_e32 v34, vcc, s2, v35
	v_subb_co_u32_e32 v35, vcc, v39, v40, vcc
	s_cbranch_execnz .LBB55_38
.LBB55_37:
	v_cvt_f32_u32_e32 v34, s14
	s_sub_i32 s2, 0, s14
	s_mov_b32 s3, 0
	v_rcp_iflag_f32_e32 v34, v34
	v_mul_f32_e32 v34, 0x4f7ffffe, v34
	v_cvt_u32_f32_e32 v34, v34
	v_readfirstlane_b32 s12, v34
	s_mul_i32 s2, s2, s12
	s_mul_hi_u32 s2, s12, s2
	s_add_i32 s12, s12, s2
	s_mul_hi_u32 s2, s18, s12
	s_mul_i32 s15, s2, s14
	s_sub_i32 s15, s18, s15
	s_add_i32 s12, s2, 1
	s_sub_i32 s18, s15, s14
	s_cmp_ge_u32 s15, s14
	s_cselect_b32 s2, s12, s2
	s_cselect_b32 s15, s18, s15
	s_add_i32 s12, s2, 1
	s_cmp_ge_u32 s15, s14
	s_cselect_b32 s2, s12, s2
	v_pk_mov_b32 v[34:35], s[2:3], s[2:3] op_sel:[0,1]
.LBB55_38:
	v_add_co_u32_e32 v34, vcc, v34, v38
	v_addc_co_u32_e32 v35, vcc, 0, v35, vcc
	s_branch .LBB55_41
.LBB55_39:
                                        ; implicit-def: $vgpr34_vgpr35
	s_cbranch_execz .LBB55_41
; %bb.40:
	v_mul_lo_u32 v34, v38, s8
	v_ashrrev_i32_e32 v35, 31, v34
	v_mov_b32_e32 v38, s7
	v_add_co_u32_e32 v34, vcc, s6, v34
	v_addc_co_u32_e32 v35, vcc, v35, v38, vcc
.LBB55_41:
	s_mov_b64 s[2:3], exec
.LBB55_42:
	s_or_b64 exec, exec, s[10:11]
	s_and_b64 vcc, exec, s[4:5]
	s_cbranch_vccz .LBB55_46
.LBB55_43:
	v_mov_b32_dpp v34, v36 quad_perm:[1,0,3,2] row_mask:0xf bank_mask:0xf
	v_cmp_gt_f32_e32 vcc, v36, v34
	v_cndmask_b32_e32 v34, v34, v36, vcc
	s_nop 1
	v_mov_b32_dpp v35, v34 quad_perm:[2,3,0,1] row_mask:0xf bank_mask:0xf
	v_cmp_gt_f32_e32 vcc, v34, v35
	v_cndmask_b32_e32 v34, v35, v34, vcc
	s_nop 1
	v_mov_b32_dpp v35, v34 row_half_mirror row_mask:0xf bank_mask:0xf
	v_cmp_gt_f32_e32 vcc, v34, v35
	v_cndmask_b32_e32 v34, v35, v34, vcc
	s_nop 1
	v_mov_b32_dpp v35, v34 row_mirror row_mask:0xf bank_mask:0xf
	v_cmp_gt_f32_e32 vcc, v34, v35
	v_cndmask_b32_e32 v34, v35, v34, vcc
	s_nop 1
	v_mov_b32_dpp v35, v34 row_bcast:15 row_mask:0xf bank_mask:0xf
	v_cmp_gt_f32_e32 vcc, v34, v35
	v_cndmask_b32_e32 v34, v35, v34, vcc
	s_nop 1
	v_mov_b32_dpp v35, v34 row_bcast:31 row_mask:0xf bank_mask:0xf
	s_and_saveexec_b64 s[2:3], s[0:1]
	s_cbranch_execz .LBB55_45
; %bb.44:
	v_lshrrev_b32_e32 v36, 4, v0
	v_cmp_gt_f32_e32 vcc, v34, v35
	v_and_b32_e32 v36, 60, v36
	v_cndmask_b32_e32 v34, v35, v34, vcc
	ds_write_b32 v36, v34
.LBB55_45:
	s_or_b64 exec, exec, s[2:3]
	s_waitcnt lgkmcnt(0)
	s_barrier
	ds_read_b32 v34, v50
	v_cmp_eq_u32_e64 s[2:3], 0, v0
	s_waitcnt lgkmcnt(0)
	v_mov_b32_dpp v35, v34 quad_perm:[1,0,3,2] row_mask:0xf bank_mask:0xf
	v_cmp_gt_f32_e32 vcc, v34, v35
	v_cndmask_b32_e32 v34, v35, v34, vcc
	s_nop 1
	v_mov_b32_dpp v35, v34 quad_perm:[2,3,0,1] row_mask:0xf bank_mask:0xf
	v_cmp_gt_f32_e32 vcc, v34, v35
	v_cndmask_b32_e32 v34, v35, v34, vcc
	v_mul_f32_e32 v37, 0x3c010204, v34
	v_pk_mov_b32 v[34:35], s[6:7], s[6:7] op_sel:[0,1]
.LBB55_46:
	s_and_saveexec_b64 s[0:1], s[2:3]
	s_cbranch_execz .LBB55_48
; %bb.47:
	v_lshlrev_b64 v[34:35], 2, v[34:35]
	v_mov_b32_e32 v0, s21
	v_add_co_u32_e32 v34, vcc, s20, v34
	v_addc_co_u32_e32 v35, vcc, v0, v35, vcc
	global_store_dword v[34:35], v37, off
.LBB55_48:
	s_or_b64 exec, exec, s[0:1]
	;;#ASMSTART
	v_rcp_f32 v34, v37
	;;#ASMEND
	v_mov_b32_e32 v35, v34
	;;#ASMSTART
	v_pk_mul_f32 v[24:25], v[24:25], v[34:35]
	;;#ASMEND
	;;#ASMSTART
	v_pk_mul_f32 v[22:23], v[22:23], v[34:35]
	;;#ASMEND
	;; [unrolled: 3-line block ×4, first 2 shown]
	s_add_i32 s0, s9, 3
	v_cvt_i32_f32_e32 v0, v24
	v_cvt_i32_f32_sdwa v24, v25 dst_sel:BYTE_1 dst_unused:UNUSED_PAD src0_sel:DWORD
	v_cvt_i32_f32_e32 v25, v14
	v_cvt_i32_f32_sdwa v36, v15 dst_sel:BYTE_1 dst_unused:UNUSED_PAD src0_sel:DWORD
	;;#ASMSTART
	v_pk_mul_f32 v[14:15], v[32:33], v[34:35]
	;;#ASMEND
	s_ashr_i32 s1, s0, 31
	v_cvt_i32_f32_e32 v22, v22
	v_cvt_i32_f32_sdwa v23, v23 dst_sel:BYTE_1 dst_unused:UNUSED_PAD src0_sel:DWORD
	v_cvt_i32_f32_e32 v32, v14
	v_cvt_i32_f32_sdwa v33, v15 dst_sel:BYTE_1 dst_unused:UNUSED_PAD src0_sel:DWORD
	;;#ASMSTART
	v_pk_mul_f32 v[14:15], v[30:31], v[34:35]
	;;#ASMEND
	s_lshr_b32 s1, s1, 30
	v_cvt_i32_f32_e32 v18, v18
	v_cvt_i32_f32_sdwa v19, v19 dst_sel:BYTE_1 dst_unused:UNUSED_PAD src0_sel:DWORD
	v_cvt_i32_f32_e32 v30, v14
	v_cvt_i32_f32_sdwa v31, v15 dst_sel:BYTE_1 dst_unused:UNUSED_PAD src0_sel:DWORD
	;;#ASMSTART
	v_pk_mul_f32 v[14:15], v[28:29], v[34:35]
	;;#ASMEND
	s_add_i32 s0, s0, s1
	v_cvt_i32_f32_e32 v28, v14
	v_cvt_i32_f32_sdwa v29, v15 dst_sel:BYTE_1 dst_unused:UNUSED_PAD src0_sel:DWORD
	;;#ASMSTART
	v_pk_mul_f32 v[14:15], v[26:27], v[34:35]
	;;#ASMEND
	s_and_b32 s2, s0, -4
	s_ashr_i32 s0, s13, 31
	v_cvt_i32_f32_e32 v14, v14
	v_cvt_i32_f32_sdwa v15, v15 dst_sel:BYTE_1 dst_unused:UNUSED_PAD src0_sel:DWORD
	s_mul_hi_u32 s1, s13, s6
	s_mul_i32 s0, s0, s6
	v_or_b32_sdwa v0, v0, v24 dst_sel:DWORD dst_unused:UNUSED_PAD src0_sel:BYTE_0 src1_sel:DWORD
	v_or_b32_sdwa v22, v22, v23 dst_sel:WORD_1 dst_unused:UNUSED_PAD src0_sel:BYTE_0 src1_sel:DWORD
	s_add_i32 s1, s1, s0
	s_mul_i32 s0, s13, s6
	v_or_b32_sdwa v22, v0, v22 dst_sel:DWORD dst_unused:UNUSED_PAD src0_sel:WORD_0 src1_sel:DWORD
	v_or_b32_sdwa v0, v18, v19 dst_sel:DWORD dst_unused:UNUSED_PAD src0_sel:BYTE_0 src1_sel:DWORD
	v_or_b32_sdwa v18, v25, v36 dst_sel:WORD_1 dst_unused:UNUSED_PAD src0_sel:BYTE_0 src1_sel:DWORD
	s_add_u32 s0, s16, s0
	v_or_b32_sdwa v23, v0, v18 dst_sel:DWORD dst_unused:UNUSED_PAD src0_sel:WORD_0 src1_sel:DWORD
	v_or_b32_sdwa v0, v32, v33 dst_sel:DWORD dst_unused:UNUSED_PAD src0_sel:BYTE_0 src1_sel:DWORD
	v_or_b32_sdwa v18, v30, v31 dst_sel:WORD_1 dst_unused:UNUSED_PAD src0_sel:BYTE_0 src1_sel:DWORD
	s_addc_u32 s1, s17, s1
	v_or_b32_sdwa v24, v0, v18 dst_sel:DWORD dst_unused:UNUSED_PAD src0_sel:WORD_0 src1_sel:DWORD
	v_or_b32_sdwa v0, v28, v29 dst_sel:DWORD dst_unused:UNUSED_PAD src0_sel:BYTE_0 src1_sel:DWORD
	v_or_b32_sdwa v14, v14, v15 dst_sel:WORD_1 dst_unused:UNUSED_PAD src0_sel:BYTE_0 src1_sel:DWORD
	s_and_b32 s1, s1, 0xffff
	s_mov_b32 s3, 0x20000
	v_or_b32_sdwa v25, v0, v14 dst_sel:DWORD dst_unused:UNUSED_PAD src0_sel:WORD_0 src1_sel:DWORD
	buffer_store_dwordx4 v[22:25], v1, s[0:3], 0 offen
	;;#ASMSTART
	s_nop 0
	;;#ASMEND
	;;#ASMSTART
	v_pk_mul_f32 v[14:15], v[20:21], v[34:35]
	;;#ASMEND
	;;#ASMSTART
	v_pk_mul_f32 v[12:13], v[12:13], v[34:35]
	;; [unrolled: 3-line block ×4, first 2 shown]
	;;#ASMEND
	v_cvt_i32_f32_e32 v0, v14
	v_cvt_i32_f32_sdwa v14, v15 dst_sel:BYTE_1 dst_unused:UNUSED_PAD src0_sel:DWORD
	v_cvt_i32_f32_e32 v12, v12
	v_cvt_i32_f32_sdwa v13, v13 dst_sel:BYTE_1 dst_unused:UNUSED_PAD src0_sel:DWORD
	;; [unrolled: 2-line block ×3, first 2 shown]
	;;#ASMSTART
	v_pk_mul_f32 v[6:7], v[16:17], v[34:35]
	;;#ASMEND
	v_cvt_i32_f32_e32 v8, v8
	v_cvt_i32_f32_sdwa v9, v9 dst_sel:BYTE_1 dst_unused:UNUSED_PAD src0_sel:DWORD
	v_cvt_i32_f32_e32 v16, v6
	v_cvt_i32_f32_sdwa v17, v7 dst_sel:BYTE_1 dst_unused:UNUSED_PAD src0_sel:DWORD
	;;#ASMSTART
	v_pk_mul_f32 v[6:7], v[10:11], v[34:35]
	;;#ASMEND
	v_cvt_i32_f32_e32 v6, v6
	v_cvt_i32_f32_sdwa v7, v7 dst_sel:BYTE_1 dst_unused:UNUSED_PAD src0_sel:DWORD
	;;#ASMSTART
	v_pk_mul_f32 v[4:5], v[4:5], v[34:35]
	;;#ASMEND
	;; [unrolled: 5-line block ×3, first 2 shown]
	v_cvt_i32_f32_e32 v11, v2
	v_cvt_i32_f32_sdwa v19, v3 dst_sel:BYTE_1 dst_unused:UNUSED_PAD src0_sel:DWORD
	v_or_b32_sdwa v0, v0, v14 dst_sel:DWORD dst_unused:UNUSED_PAD src0_sel:BYTE_0 src1_sel:DWORD
	v_or_b32_sdwa v2, v12, v13 dst_sel:WORD_1 dst_unused:UNUSED_PAD src0_sel:BYTE_0 src1_sel:DWORD
	v_or_b32_sdwa v2, v0, v2 dst_sel:DWORD dst_unused:UNUSED_PAD src0_sel:WORD_0 src1_sel:DWORD
	v_or_b32_sdwa v0, v8, v9 dst_sel:DWORD dst_unused:UNUSED_PAD src0_sel:BYTE_0 src1_sel:DWORD
	v_or_b32_sdwa v3, v15, v18 dst_sel:WORD_1 dst_unused:UNUSED_PAD src0_sel:BYTE_0 src1_sel:DWORD
	v_or_b32_sdwa v3, v0, v3 dst_sel:DWORD dst_unused:UNUSED_PAD src0_sel:WORD_0 src1_sel:DWORD
	;; [unrolled: 3-line block ×4, first 2 shown]
	buffer_store_dwordx4 v[2:5], v1, s[0:3], 16 offen
	;;#ASMSTART
	s_nop 0
	;;#ASMEND
.LBB55_49:
	s_endpgm
.LBB55_50:
                                        ; implicit-def: $vgpr34_vgpr35
	s_branch .LBB55_37
	.section	.rodata,"a",@progbits
	.p2align	6, 0x0
	.amdhsa_kernel _ZN5aiter24add_rmsnorm_quant_kernelIDF16_aLi256ELi32ELb1ELb1ELb0ELi1EEEvPT0_PT_PfS4_S4_S4_diiiiiiib
		.amdhsa_group_segment_fixed_size 32
		.amdhsa_private_segment_fixed_size 0
		.amdhsa_kernarg_size 88
		.amdhsa_user_sgpr_count 6
		.amdhsa_user_sgpr_private_segment_buffer 1
		.amdhsa_user_sgpr_dispatch_ptr 0
		.amdhsa_user_sgpr_queue_ptr 0
		.amdhsa_user_sgpr_kernarg_segment_ptr 1
		.amdhsa_user_sgpr_dispatch_id 0
		.amdhsa_user_sgpr_flat_scratch_init 0
		.amdhsa_user_sgpr_kernarg_preload_length 0
		.amdhsa_user_sgpr_kernarg_preload_offset 0
		.amdhsa_user_sgpr_private_segment_size 0
		.amdhsa_uses_dynamic_stack 0
		.amdhsa_system_sgpr_private_segment_wavefront_offset 0
		.amdhsa_system_sgpr_workgroup_id_x 1
		.amdhsa_system_sgpr_workgroup_id_y 0
		.amdhsa_system_sgpr_workgroup_id_z 0
		.amdhsa_system_sgpr_workgroup_info 0
		.amdhsa_system_vgpr_workitem_id 0
		.amdhsa_next_free_vgpr 72
		.amdhsa_next_free_sgpr 40
		.amdhsa_accum_offset 72
		.amdhsa_reserve_vcc 1
		.amdhsa_reserve_flat_scratch 0
		.amdhsa_float_round_mode_32 0
		.amdhsa_float_round_mode_16_64 0
		.amdhsa_float_denorm_mode_32 3
		.amdhsa_float_denorm_mode_16_64 3
		.amdhsa_dx10_clamp 1
		.amdhsa_ieee_mode 1
		.amdhsa_fp16_overflow 0
		.amdhsa_tg_split 0
		.amdhsa_exception_fp_ieee_invalid_op 0
		.amdhsa_exception_fp_denorm_src 0
		.amdhsa_exception_fp_ieee_div_zero 0
		.amdhsa_exception_fp_ieee_overflow 0
		.amdhsa_exception_fp_ieee_underflow 0
		.amdhsa_exception_fp_ieee_inexact 0
		.amdhsa_exception_int_div_zero 0
	.end_amdhsa_kernel
	.section	.text._ZN5aiter24add_rmsnorm_quant_kernelIDF16_aLi256ELi32ELb1ELb1ELb0ELi1EEEvPT0_PT_PfS4_S4_S4_diiiiiiib,"axG",@progbits,_ZN5aiter24add_rmsnorm_quant_kernelIDF16_aLi256ELi32ELb1ELb1ELb0ELi1EEEvPT0_PT_PfS4_S4_S4_diiiiiiib,comdat
.Lfunc_end55:
	.size	_ZN5aiter24add_rmsnorm_quant_kernelIDF16_aLi256ELi32ELb1ELb1ELb0ELi1EEEvPT0_PT_PfS4_S4_S4_diiiiiiib, .Lfunc_end55-_ZN5aiter24add_rmsnorm_quant_kernelIDF16_aLi256ELi32ELb1ELb1ELb0ELi1EEEvPT0_PT_PfS4_S4_S4_diiiiiiib
                                        ; -- End function
	.section	.AMDGPU.csdata,"",@progbits
; Kernel info:
; codeLenInByte = 5232
; NumSgprs: 44
; NumVgprs: 72
; NumAgprs: 0
; TotalNumVgprs: 72
; ScratchSize: 0
; MemoryBound: 0
; FloatMode: 240
; IeeeMode: 1
; LDSByteSize: 32 bytes/workgroup (compile time only)
; SGPRBlocks: 5
; VGPRBlocks: 8
; NumSGPRsForWavesPerEU: 44
; NumVGPRsForWavesPerEU: 72
; AccumOffset: 72
; Occupancy: 7
; WaveLimiterHint : 0
; COMPUTE_PGM_RSRC2:SCRATCH_EN: 0
; COMPUTE_PGM_RSRC2:USER_SGPR: 6
; COMPUTE_PGM_RSRC2:TRAP_HANDLER: 0
; COMPUTE_PGM_RSRC2:TGID_X_EN: 1
; COMPUTE_PGM_RSRC2:TGID_Y_EN: 0
; COMPUTE_PGM_RSRC2:TGID_Z_EN: 0
; COMPUTE_PGM_RSRC2:TIDIG_COMP_CNT: 0
; COMPUTE_PGM_RSRC3_GFX90A:ACCUM_OFFSET: 17
; COMPUTE_PGM_RSRC3_GFX90A:TG_SPLIT: 0
	.section	.text._ZN5aiter24add_rmsnorm_quant_kernelItaLi256ELi32ELb1ELb1ELb0ELi1EEEvPT0_PT_PfS4_S4_S4_diiiiiiib,"axG",@progbits,_ZN5aiter24add_rmsnorm_quant_kernelItaLi256ELi32ELb1ELb1ELb0ELi1EEEvPT0_PT_PfS4_S4_S4_diiiiiiib,comdat
	.protected	_ZN5aiter24add_rmsnorm_quant_kernelItaLi256ELi32ELb1ELb1ELb0ELi1EEEvPT0_PT_PfS4_S4_S4_diiiiiiib ; -- Begin function _ZN5aiter24add_rmsnorm_quant_kernelItaLi256ELi32ELb1ELb1ELb0ELi1EEEvPT0_PT_PfS4_S4_S4_diiiiiiib
	.globl	_ZN5aiter24add_rmsnorm_quant_kernelItaLi256ELi32ELb1ELb1ELb0ELi1EEEvPT0_PT_PfS4_S4_S4_diiiiiiib
	.p2align	8
	.type	_ZN5aiter24add_rmsnorm_quant_kernelItaLi256ELi32ELb1ELb1ELb0ELi1EEEvPT0_PT_PfS4_S4_S4_diiiiiiib,@function
_ZN5aiter24add_rmsnorm_quant_kernelItaLi256ELi32ELb1ELb1ELb0ELi1EEEvPT0_PT_PfS4_S4_S4_diiiiiiib: ; @_ZN5aiter24add_rmsnorm_quant_kernelItaLi256ELi32ELb1ELb1ELb0ELi1EEEvPT0_PT_PfS4_S4_S4_diiiiiiib
; %bb.0:
	s_load_dwordx8 s[8:15], s[4:5], 0x38
	s_mov_b32 s7, 0
	s_waitcnt lgkmcnt(0)
	s_ashr_i32 s0, s8, 31
	v_mov_b32_e32 v2, s8
	v_mov_b32_e32 v3, s0
	v_cmp_ge_i64_e32 vcc, s[6:7], v[2:3]
	s_cbranch_vccnz .LBB56_49
; %bb.1:
	s_load_dwordx8 s[16:23], s[4:5], 0x0
	s_ashr_i32 s0, s10, 31
	s_mul_hi_u32 s1, s10, s6
	s_mul_i32 s0, s0, s6
	s_add_i32 s1, s1, s0
	s_mul_i32 s0, s10, s6
	s_lshl_b64 s[0:1], s[0:1], 1
	s_waitcnt lgkmcnt(0)
	s_add_u32 s0, s22, s0
	s_addc_u32 s1, s23, s1
	s_add_i32 s2, s9, 1
	s_lshr_b32 s3, s2, 31
	s_add_i32 s2, s2, s3
	s_lshl_b32 s2, s2, 1
	s_load_dwordx8 s[24:31], s[4:5], 0x20
	s_and_b32 s2, s2, -4
	s_and_b32 s1, s1, 0xffff
	s_mov_b32 s3, 0x20000
	v_lshlrev_b32_e32 v1, 6, v0
	buffer_load_dwordx4 v[26:29], v1, s[0:3], 16 offen
	buffer_load_dwordx4 v[30:33], v1, s[0:3], 32 offen
	;; [unrolled: 1-line block ×4, first 2 shown]
	s_ashr_i32 s0, s11, 31
	s_mul_hi_u32 s5, s11, s6
	s_mul_i32 s0, s0, s6
	s_mul_i32 s4, s11, s6
	s_add_i32 s5, s5, s0
	s_waitcnt lgkmcnt(0)
	s_and_b32 s37, s27, 0xffff
	s_lshl_b64 s[0:1], s[4:5], 1
	s_add_u32 s0, s24, s0
	s_addc_u32 s1, s25, s1
	s_and_b32 s1, s1, 0xffff
	buffer_load_dwordx4 v[22:25], v1, s[0:3], 16 offen
	buffer_load_dwordx4 v[10:13], v1, s[0:3], 32 offen
	;; [unrolled: 1-line block ×4, first 2 shown]
	s_mov_b32 s39, s3
	s_mov_b32 s36, s26
	;; [unrolled: 1-line block ×3, first 2 shown]
	s_ashr_i32 s0, s12, 31
	s_mul_hi_u32 s1, s12, s6
	s_mul_i32 s0, s0, s6
	s_add_i32 s1, s1, s0
	s_mul_i32 s0, s12, s6
	s_lshl_b64 s[0:1], s[0:1], 1
	s_add_u32 s0, s18, s0
	s_addc_u32 s1, s19, s1
	s_mov_b32 s4, 0x7060302
	s_and_b32 s1, s1, 0xffff
	s_waitcnt vmcnt(7)
	v_cvt_f32_u32_sdwa v35, v26 dst_sel:DWORD dst_unused:UNUSED_PAD src0_sel:WORD_1
	v_cvt_f32_u32_sdwa v34, v26 dst_sel:DWORD dst_unused:UNUSED_PAD src0_sel:WORD_0
	v_cvt_f32_u32_sdwa v37, v27 dst_sel:DWORD dst_unused:UNUSED_PAD src0_sel:WORD_1
	v_cvt_f32_u32_sdwa v36, v27 dst_sel:DWORD dst_unused:UNUSED_PAD src0_sel:WORD_0
	;; [unrolled: 2-line block ×4, first 2 shown]
	s_waitcnt vmcnt(6)
	v_cvt_f32_u32_sdwa v29, v30 dst_sel:DWORD dst_unused:UNUSED_PAD src0_sel:WORD_1
	v_cvt_f32_u32_sdwa v28, v30 dst_sel:DWORD dst_unused:UNUSED_PAD src0_sel:WORD_0
	v_cvt_f32_u32_sdwa v41, v31 dst_sel:DWORD dst_unused:UNUSED_PAD src0_sel:WORD_1
	s_waitcnt vmcnt(3)
	v_cvt_f32_u32_sdwa v53, v24 dst_sel:DWORD dst_unused:UNUSED_PAD src0_sel:WORD_1
	v_cvt_f32_u32_sdwa v52, v24 dst_sel:DWORD dst_unused:UNUSED_PAD src0_sel:WORD_0
	v_cvt_f32_u32_sdwa v40, v31 dst_sel:DWORD dst_unused:UNUSED_PAD src0_sel:WORD_0
	v_cvt_f32_u32_sdwa v43, v32 dst_sel:DWORD dst_unused:UNUSED_PAD src0_sel:WORD_1
	v_cvt_f32_u32_sdwa v42, v32 dst_sel:DWORD dst_unused:UNUSED_PAD src0_sel:WORD_0
	v_cvt_f32_u32_sdwa v45, v33 dst_sel:DWORD dst_unused:UNUSED_PAD src0_sel:WORD_1
	;; [unrolled: 2-line block ×7, first 2 shown]
	v_cvt_f32_u32_sdwa v54, v25 dst_sel:DWORD dst_unused:UNUSED_PAD src0_sel:WORD_0
	s_waitcnt vmcnt(2)
	v_cvt_f32_u32_sdwa v57, v10 dst_sel:DWORD dst_unused:UNUSED_PAD src0_sel:WORD_1
	v_cvt_f32_u32_sdwa v56, v10 dst_sel:DWORD dst_unused:UNUSED_PAD src0_sel:WORD_0
	v_cvt_f32_u32_sdwa v59, v11 dst_sel:DWORD dst_unused:UNUSED_PAD src0_sel:WORD_1
	v_cvt_f32_u32_sdwa v58, v11 dst_sel:DWORD dst_unused:UNUSED_PAD src0_sel:WORD_0
	;; [unrolled: 2-line block ×4, first 2 shown]
	v_pk_add_f32 v[26:27], v[26:27], v[52:53]
	s_waitcnt vmcnt(1)
	v_cvt_f32_u32_sdwa v53, v19 dst_sel:DWORD dst_unused:UNUSED_PAD src0_sel:WORD_1
	v_cvt_f32_u32_sdwa v52, v19 dst_sel:DWORD dst_unused:UNUSED_PAD src0_sel:WORD_0
	v_cvt_f32_u32_sdwa v49, v4 dst_sel:DWORD dst_unused:UNUSED_PAD src0_sel:WORD_1
	v_cvt_f32_u32_sdwa v48, v4 dst_sel:DWORD dst_unused:UNUSED_PAD src0_sel:WORD_0
	;; [unrolled: 2-line block ×3, first 2 shown]
	v_pk_add_f32 v[22:23], v[34:35], v[2:3]
	buffer_load_dwordx4 v[10:13], v1, s[36:39], 0 offen
	buffer_load_dwordx4 v[2:5], v1, s[36:39], 16 offen
	v_pk_add_f32 v[24:25], v[36:37], v[30:31]
	v_pk_add_f32 v[30:31], v[38:39], v[54:55]
	;; [unrolled: 1-line block ×7, first 2 shown]
	v_cvt_f32_u32_sdwa v43, v6 dst_sel:DWORD dst_unused:UNUSED_PAD src0_sel:WORD_1
	v_cvt_f32_u32_sdwa v42, v6 dst_sel:DWORD dst_unused:UNUSED_PAD src0_sel:WORD_0
	s_waitcnt vmcnt(2)
	v_cvt_f32_u32_sdwa v45, v14 dst_sel:DWORD dst_unused:UNUSED_PAD src0_sel:WORD_1
	v_cvt_f32_u32_sdwa v44, v14 dst_sel:DWORD dst_unused:UNUSED_PAD src0_sel:WORD_0
	v_cvt_f32_u32_sdwa v47, v7 dst_sel:DWORD dst_unused:UNUSED_PAD src0_sel:WORD_1
	v_cvt_f32_u32_sdwa v46, v7 dst_sel:DWORD dst_unused:UNUSED_PAD src0_sel:WORD_0
	;; [unrolled: 2-line block ×7, first 2 shown]
	buffer_load_dwordx4 v[14:17], v1, s[36:39], 32 offen
	buffer_load_dwordx4 v[6:9], v1, s[36:39], 48 offen
	v_cvt_f32_u32_sdwa v65, v18 dst_sel:DWORD dst_unused:UNUSED_PAD src0_sel:WORD_1
	v_cvt_f32_u32_sdwa v64, v18 dst_sel:DWORD dst_unused:UNUSED_PAD src0_sel:WORD_0
	v_cvt_f32_u32_sdwa v19, v20 dst_sel:DWORD dst_unused:UNUSED_PAD src0_sel:WORD_1
	v_cvt_f32_u32_sdwa v18, v20 dst_sel:DWORD dst_unused:UNUSED_PAD src0_sel:WORD_0
	;; [unrolled: 2-line block ×3, first 2 shown]
	v_pk_add_f32 v[32:33], v[32:33], v[64:65]
	v_pk_add_f32 v[18:19], v[48:49], v[18:19]
	;; [unrolled: 1-line block ×7, first 2 shown]
	v_perm_b32 v53, v47, v46, s4
	v_perm_b32 v52, v43, v42, s4
	v_perm_b32 v51, v45, v44, s4
	v_perm_b32 v50, v49, v48, s4
	buffer_store_dwordx4 v[50:53], v1, s[0:3], 0 offen
	;;#ASMSTART
	s_nop 0
	;;#ASMEND
	v_pk_mul_f32 v[54:55], v[42:43], v[42:43]
	v_perm_b32 v53, v31, v30, s4
	v_perm_b32 v52, v27, v26, s4
	v_perm_b32 v51, v25, v24, s4
	v_perm_b32 v50, v23, v22, s4
	buffer_store_dwordx4 v[50:53], v1, s[0:3], 16 offen
	;;#ASMSTART
	s_nop 0
	;;#ASMEND
	v_pk_mul_f32 v[56:57], v[46:47], v[46:47]
	v_perm_b32 v53, v37, v36, s4
	v_perm_b32 v52, v39, v38, s4
	v_perm_b32 v51, v41, v40, s4
	v_perm_b32 v50, v35, v34, s4
	buffer_store_dwordx4 v[50:53], v1, s[0:3], 32 offen
	;;#ASMSTART
	s_nop 0
	;;#ASMEND
	v_pk_mul_f32 v[58:59], v[22:23], v[22:23]
	v_perm_b32 v53, v21, v20, s4
	v_perm_b32 v52, v19, v18, s4
	;; [unrolled: 1-line block ×4, first 2 shown]
	buffer_store_dwordx4 v[50:53], v1, s[0:3], 48 offen
	;;#ASMSTART
	s_nop 0
	;;#ASMEND
	s_nop 0
	v_pk_mul_f32 v[50:51], v[48:49], v[48:49]
	v_pk_mul_f32 v[52:53], v[44:45], v[44:45]
	v_add_f32_e32 v1, v50, v51
	v_add_f32_e32 v1, v52, v1
	v_add_f32_e32 v1, v53, v1
	v_add_f32_e32 v1, v54, v1
	v_add_f32_e32 v1, v55, v1
	v_add_f32_e32 v1, v56, v1
	v_add_f32_e32 v1, v57, v1
	v_add_f32_e32 v1, v58, v1
	v_pk_mul_f32 v[50:51], v[24:25], v[24:25]
	v_add_f32_e32 v1, v59, v1
	v_add_f32_e32 v1, v50, v1
	v_pk_mul_f32 v[52:53], v[26:27], v[26:27]
	v_add_f32_e32 v1, v51, v1
	v_add_f32_e32 v1, v52, v1
	;; [unrolled: 3-line block ×11, first 2 shown]
	v_add_f32_e32 v1, v51, v1
	v_and_b32_e32 v51, 63, v0
	v_cmp_eq_u32_e64 s[0:1], 63, v51
	v_mov_b32_dpp v50, v1 quad_perm:[1,0,3,2] row_mask:0xf bank_mask:0xf
	v_add_f32_e32 v1, v1, v50
	s_nop 1
	v_mov_b32_dpp v50, v1 quad_perm:[2,3,0,1] row_mask:0xf bank_mask:0xf
	v_add_f32_e32 v1, v1, v50
	s_nop 1
	v_mov_b32_dpp v50, v1 row_half_mirror row_mask:0xf bank_mask:0xf
	v_add_f32_e32 v1, v1, v50
	s_nop 1
	v_mov_b32_dpp v50, v1 row_mirror row_mask:0xf bank_mask:0xf
	v_add_f32_e32 v1, v1, v50
	s_nop 1
	v_mov_b32_dpp v50, v1 row_bcast:15 row_mask:0xf bank_mask:0xf
	v_add_f32_e32 v1, v1, v50
	s_nop 1
	v_mov_b32_dpp v50, v1 row_bcast:31 row_mask:0xf bank_mask:0xf
	s_and_saveexec_b64 s[2:3], s[0:1]
	s_cbranch_execz .LBB56_3
; %bb.2:
	v_lshrrev_b32_e32 v51, 4, v0
	v_and_b32_e32 v51, 60, v51
	v_add_f32_e32 v1, v1, v50
	ds_write_b32 v51, v1 offset:16
.LBB56_3:
	s_or_b64 exec, exec, s[2:3]
	v_and_b32_e32 v1, 3, v0
	v_lshlrev_b32_e32 v50, 2, v1
	s_waitcnt lgkmcnt(0)
	s_barrier
	ds_read_b32 v1, v50 offset:16
	v_cvt_f32_i32_e32 v51, s9
	s_cmp_lg_u32 s14, 0
	s_waitcnt lgkmcnt(0)
	v_mov_b32_dpp v52, v1 quad_perm:[1,0,3,2] row_mask:0xf bank_mask:0xf
	v_add_f32_e32 v1, v1, v52
	s_nop 1
	v_mov_b32_dpp v52, v1 quad_perm:[2,3,0,1] row_mask:0xf bank_mask:0xf
	v_add_f32_e32 v1, v1, v52
	v_div_scale_f32 v52, s[2:3], v51, v51, v1
	v_rcp_f32_e32 v53, v52
	v_div_scale_f32 v54, vcc, v1, v51, v1
	s_mov_b32 s2, 0x800000
	v_fma_f32 v55, -v52, v53, 1.0
	v_fmac_f32_e32 v53, v55, v53
	v_mul_f32_e32 v55, v54, v53
	v_fma_f32 v56, -v52, v55, v54
	v_fmac_f32_e32 v55, v56, v53
	v_fma_f32 v52, -v52, v55, v54
	v_div_fmas_f32 v52, v52, v53, v55
	v_div_fixup_f32 v1, v52, v51, v1
	v_cvt_f64_f32_e32 v[52:53], v1
	v_add_f64 v[52:53], v[52:53], s[28:29]
	v_cvt_f32_f64_e32 v1, v[52:53]
	v_mul_f32_e32 v51, 0x4b800000, v1
	v_cmp_gt_f32_e32 vcc, s2, v1
	v_cndmask_b32_e32 v1, v1, v51, vcc
	v_rsq_f32_e32 v51, v1
	v_lshlrev_b32_e32 v1, 5, v0
	v_mul_f32_e32 v52, 0x45800000, v51
	v_cndmask_b32_e32 v52, v51, v52, vcc
	v_mov_b32_e32 v53, v52
	;;#ASMSTART
	v_pk_mul_f32 v[48:49], v[48:49], v[52:53]
	;;#ASMEND
	;;#ASMSTART
	v_pk_mul_f32 v[44:45], v[44:45], v[52:53]
	;;#ASMEND
	;; [unrolled: 3-line block ×16, first 2 shown]
	s_waitcnt vmcnt(7)
	v_cvt_f32_u32_sdwa v19, v10 dst_sel:DWORD dst_unused:UNUSED_PAD src0_sel:WORD_1
	v_cvt_f32_u32_sdwa v18, v10 dst_sel:DWORD dst_unused:UNUSED_PAD src0_sel:WORD_0
	v_cvt_f32_u32_sdwa v21, v11 dst_sel:DWORD dst_unused:UNUSED_PAD src0_sel:WORD_1
	v_cvt_f32_u32_sdwa v20, v11 dst_sel:DWORD dst_unused:UNUSED_PAD src0_sel:WORD_0
	;; [unrolled: 2-line block ×4, first 2 shown]
	;;#ASMSTART
	v_pk_mul_f32 v[24:25], v[48:49], v[18:19]
	;;#ASMEND
	;;#ASMSTART
	v_pk_mul_f32 v[22:23], v[44:45], v[20:21]
	;;#ASMEND
	;; [unrolled: 3-line block ×3, first 2 shown]
	s_waitcnt vmcnt(6)
	v_cvt_f32_u32_sdwa v11, v2 dst_sel:DWORD dst_unused:UNUSED_PAD src0_sel:WORD_1
	v_cvt_f32_u32_sdwa v10, v2 dst_sel:DWORD dst_unused:UNUSED_PAD src0_sel:WORD_0
	v_cvt_f32_u32_sdwa v13, v3 dst_sel:DWORD dst_unused:UNUSED_PAD src0_sel:WORD_1
	v_cvt_f32_u32_sdwa v12, v3 dst_sel:DWORD dst_unused:UNUSED_PAD src0_sel:WORD_0
	;; [unrolled: 2-line block ×3, first 2 shown]
	;;#ASMSTART
	v_pk_mul_f32 v[18:19], v[46:47], v[28:29]
	;;#ASMEND
	v_cvt_f32_u32_sdwa v43, v5 dst_sel:DWORD dst_unused:UNUSED_PAD src0_sel:WORD_1
	v_cvt_f32_u32_sdwa v42, v5 dst_sel:DWORD dst_unused:UNUSED_PAD src0_sel:WORD_0
	;;#ASMSTART
	v_pk_mul_f32 v[32:33], v[54:55], v[10:11]
	;;#ASMEND
	;;#ASMSTART
	v_pk_mul_f32 v[30:31], v[56:57], v[12:13]
	;;#ASMEND
	;; [unrolled: 3-line block ×3, first 2 shown]
	s_waitcnt vmcnt(5)
	v_cvt_f32_u32_sdwa v3, v14 dst_sel:DWORD dst_unused:UNUSED_PAD src0_sel:WORD_1
	v_cvt_f32_u32_sdwa v2, v14 dst_sel:DWORD dst_unused:UNUSED_PAD src0_sel:WORD_0
	v_cvt_f32_u32_sdwa v5, v15 dst_sel:DWORD dst_unused:UNUSED_PAD src0_sel:WORD_1
	v_cvt_f32_u32_sdwa v4, v15 dst_sel:DWORD dst_unused:UNUSED_PAD src0_sel:WORD_0
	;; [unrolled: 2-line block ×3, first 2 shown]
	;;#ASMSTART
	v_pk_mul_f32 v[26:27], v[58:59], v[42:43]
	;;#ASMEND
	v_cvt_f32_u32_sdwa v15, v17 dst_sel:DWORD dst_unused:UNUSED_PAD src0_sel:WORD_1
	v_cvt_f32_u32_sdwa v14, v17 dst_sel:DWORD dst_unused:UNUSED_PAD src0_sel:WORD_0
	;;#ASMSTART
	v_pk_mul_f32 v[16:17], v[34:35], v[2:3]
	;;#ASMEND
	;;#ASMSTART
	v_pk_mul_f32 v[12:13], v[40:41], v[4:5]
	;;#ASMEND
	;; [unrolled: 3-line block ×4, first 2 shown]
	s_waitcnt vmcnt(4)
	v_cvt_f32_u32_sdwa v3, v6 dst_sel:DWORD dst_unused:UNUSED_PAD src0_sel:WORD_1
	v_cvt_f32_u32_sdwa v2, v6 dst_sel:DWORD dst_unused:UNUSED_PAD src0_sel:WORD_0
	v_cvt_f32_u32_sdwa v35, v7 dst_sel:DWORD dst_unused:UNUSED_PAD src0_sel:WORD_1
	v_cvt_f32_u32_sdwa v34, v7 dst_sel:DWORD dst_unused:UNUSED_PAD src0_sel:WORD_0
	;; [unrolled: 2-line block ×3, first 2 shown]
	v_cvt_f32_u32_sdwa v36, v9 dst_sel:DWORD dst_unused:UNUSED_PAD src0_sel:WORD_0
	v_cvt_f32_u32_sdwa v37, v9 dst_sel:DWORD dst_unused:UNUSED_PAD src0_sel:WORD_1
	;;#ASMSTART
	v_pk_mul_f32 v[14:15], v[60:61], v[2:3]
	;;#ASMEND
	;;#ASMSTART
	v_pk_mul_f32 v[8:9], v[62:63], v[34:35]
	;;#ASMEND
	;; [unrolled: 3-line block ×4, first 2 shown]
	v_and_b32_e32 v34, 0x7fffffff, v24
	v_mov_b32_e32 v36, 0x2edbe6ff
	v_and_b32_e32 v35, 0x7fffffff, v25
	;;#ASMSTART
	v_max3_f32 v34, v36, v34, v35

	;;#ASMEND
	v_and_b32_e32 v36, 0x7fffffff, v23
	v_and_b32_e32 v35, 0x7fffffff, v22
	;;#ASMSTART
	v_max3_f32 v34, v34, v35, v36

	;;#ASMEND
	v_and_b32_e32 v36, 0x7fffffff, v21
	v_and_b32_e32 v35, 0x7fffffff, v20
	;;#ASMSTART
	v_max3_f32 v34, v34, v35, v36

	;;#ASMEND
	v_and_b32_e32 v36, 0x7fffffff, v19
	v_and_b32_e32 v35, 0x7fffffff, v18
	;;#ASMSTART
	v_max3_f32 v34, v34, v35, v36

	;;#ASMEND
	v_and_b32_e32 v36, 0x7fffffff, v33
	v_and_b32_e32 v35, 0x7fffffff, v32
	;;#ASMSTART
	v_max3_f32 v34, v34, v35, v36

	;;#ASMEND
	v_and_b32_e32 v36, 0x7fffffff, v31
	v_and_b32_e32 v35, 0x7fffffff, v30
	;;#ASMSTART
	v_max3_f32 v34, v34, v35, v36

	;;#ASMEND
	v_and_b32_e32 v36, 0x7fffffff, v29
	v_and_b32_e32 v35, 0x7fffffff, v28
	;;#ASMSTART
	v_max3_f32 v34, v34, v35, v36

	;;#ASMEND
	v_and_b32_e32 v36, 0x7fffffff, v27
	v_and_b32_e32 v35, 0x7fffffff, v26
	;;#ASMSTART
	v_max3_f32 v34, v34, v35, v36

	;;#ASMEND
	v_and_b32_e32 v36, 0x7fffffff, v17
	v_and_b32_e32 v35, 0x7fffffff, v16
	;;#ASMSTART
	v_max3_f32 v34, v34, v35, v36

	;;#ASMEND
	v_and_b32_e32 v36, 0x7fffffff, v13
	v_and_b32_e32 v35, 0x7fffffff, v12
	;;#ASMSTART
	v_max3_f32 v34, v34, v35, v36

	;;#ASMEND
	v_and_b32_e32 v36, 0x7fffffff, v11
	v_and_b32_e32 v35, 0x7fffffff, v10
	;;#ASMSTART
	v_max3_f32 v34, v34, v35, v36

	;;#ASMEND
	v_and_b32_e32 v36, 0x7fffffff, v5
	v_and_b32_e32 v35, 0x7fffffff, v4
	;;#ASMSTART
	v_max3_f32 v34, v34, v35, v36

	;;#ASMEND
	v_and_b32_e32 v36, 0x7fffffff, v15
	v_and_b32_e32 v35, 0x7fffffff, v14
	;;#ASMSTART
	v_max3_f32 v34, v34, v35, v36

	;;#ASMEND
	v_and_b32_e32 v36, 0x7fffffff, v9
	v_and_b32_e32 v35, 0x7fffffff, v8
	;;#ASMSTART
	v_max3_f32 v34, v34, v35, v36

	;;#ASMEND
	v_and_b32_e32 v36, 0x7fffffff, v7
	v_and_b32_e32 v35, 0x7fffffff, v6
	;;#ASMSTART
	v_max3_f32 v34, v34, v35, v36

	;;#ASMEND
	v_and_b32_e32 v36, 0x7fffffff, v3
	v_and_b32_e32 v35, 0x7fffffff, v2
	;;#ASMSTART
	v_max3_f32 v36, v34, v35, v36

	;;#ASMEND
	s_cbranch_scc0 .LBB56_10
; %bb.4:
	s_ashr_i32 s12, s14, 31
	s_lshr_b32 s2, s12, 27
	s_add_i32 s2, s14, s2
	s_ashr_i32 s10, s2, 5
	s_cmp_lt_i32 s10, 16
	s_cbranch_scc1 .LBB56_11
; %bb.5:
	s_cmp_lt_i32 s10, 32
	s_cbranch_scc1 .LBB56_12
; %bb.6:
	;; [unrolled: 3-line block ×3, first 2 shown]
	s_cmp_eq_u32 s10, 64
	v_mov_b32_e32 v34, v36
	s_cbranch_scc0 .LBB56_9
; %bb.8:
	s_nop 0
	v_mov_b32_dpp v34, v36 quad_perm:[1,0,3,2] row_mask:0xf bank_mask:0xf
	v_cmp_gt_f32_e32 vcc, v36, v34
	v_cndmask_b32_e32 v34, v34, v36, vcc
	v_bfrev_b32_e32 v37, 0.5
	s_nop 0
	v_mov_b32_dpp v35, v34 quad_perm:[2,3,0,1] row_mask:0xf bank_mask:0xf
	v_cmp_gt_f32_e32 vcc, v34, v35
	v_cndmask_b32_e32 v34, v35, v34, vcc
	s_nop 1
	v_mov_b32_dpp v35, v34 row_ror:4 row_mask:0xf bank_mask:0xf
	v_cmp_gt_f32_e32 vcc, v34, v35
	v_cndmask_b32_e32 v34, v35, v34, vcc
	s_nop 1
	v_mov_b32_dpp v35, v34 row_ror:8 row_mask:0xf bank_mask:0xf
	v_cmp_gt_f32_e32 vcc, v34, v35
	v_cndmask_b32_e32 v34, v35, v34, vcc
	s_nop 1
	v_mov_b32_dpp v35, v34 row_bcast:15 row_mask:0xf bank_mask:0xf
	v_cmp_gt_f32_e32 vcc, v34, v35
	v_cndmask_b32_e32 v34, v35, v34, vcc
	s_nop 1
	v_mov_b32_dpp v35, v34 row_bcast:31 row_mask:0xf bank_mask:0xf
	v_cmp_gt_f32_e32 vcc, v34, v35
	v_cndmask_b32_e32 v34, v35, v34, vcc
	v_mbcnt_lo_u32_b32 v35, -1, 0
	v_mbcnt_hi_u32_b32 v35, -1, v35
	v_lshl_or_b32 v35, v35, 2, v37
	ds_bpermute_b32 v34, v35, v34
.LBB56_9:
	s_mov_b64 s[2:3], 0
	s_branch .LBB56_14
.LBB56_10:
	s_mov_b64 s[2:3], 0
                                        ; implicit-def: $vgpr37
                                        ; implicit-def: $vgpr34_vgpr35
	s_cbranch_execnz .LBB56_43
	s_branch .LBB56_46
.LBB56_11:
                                        ; implicit-def: $vgpr34
	s_branch .LBB56_21
.LBB56_12:
                                        ; implicit-def: $vgpr34
	s_branch .LBB56_18
.LBB56_13:
	s_mov_b64 s[2:3], -1
                                        ; implicit-def: $vgpr34
.LBB56_14:
	s_andn2_b64 vcc, exec, s[2:3]
	s_cbranch_vccnz .LBB56_17
; %bb.15:
	s_cmp_eq_u32 s10, 32
	s_waitcnt lgkmcnt(0)
	v_mov_b32_e32 v34, v36
	s_cbranch_scc0 .LBB56_17
; %bb.16:
	s_nop 0
	v_mov_b32_dpp v34, v36 quad_perm:[1,0,3,2] row_mask:0xf bank_mask:0xf
	v_cmp_gt_f32_e32 vcc, v36, v34
	v_cndmask_b32_e32 v34, v34, v36, vcc
	v_mov_b32_e32 v37, 0x7c
	s_nop 0
	v_mov_b32_dpp v35, v34 quad_perm:[2,3,0,1] row_mask:0xf bank_mask:0xf
	v_cmp_gt_f32_e32 vcc, v34, v35
	v_cndmask_b32_e32 v34, v35, v34, vcc
	s_nop 1
	v_mov_b32_dpp v35, v34 row_half_mirror row_mask:0xf bank_mask:0xf
	v_cmp_gt_f32_e32 vcc, v34, v35
	v_cndmask_b32_e32 v34, v35, v34, vcc
	s_nop 1
	v_mov_b32_dpp v35, v34 row_mirror row_mask:0xf bank_mask:0xf
	v_cmp_gt_f32_e32 vcc, v34, v35
	v_cndmask_b32_e32 v34, v35, v34, vcc
	s_nop 1
	v_mov_b32_dpp v35, v34 row_bcast:15 row_mask:0xa bank_mask:0xf
	v_cmp_gt_f32_e32 vcc, v34, v35
	v_cndmask_b32_e32 v34, v35, v34, vcc
	v_mbcnt_lo_u32_b32 v35, -1, 0
	v_mbcnt_hi_u32_b32 v35, -1, v35
	v_lshl_or_b32 v35, v35, 2, v37
	ds_bpermute_b32 v34, v35, v34
.LBB56_17:
	s_cbranch_execnz .LBB56_20
.LBB56_18:
	s_cmp_eq_u32 s10, 16
	s_waitcnt lgkmcnt(0)
	v_mov_b32_e32 v34, v36
	s_cbranch_scc0 .LBB56_20
; %bb.19:
	s_nop 0
	v_mov_b32_dpp v34, v36 quad_perm:[1,0,3,2] row_mask:0xf bank_mask:0xf
	v_cmp_gt_f32_e32 vcc, v36, v34
	v_cndmask_b32_e32 v34, v34, v36, vcc
	s_nop 1
	v_mov_b32_dpp v35, v34 quad_perm:[2,3,0,1] row_mask:0xf bank_mask:0xf
	v_cmp_gt_f32_e32 vcc, v34, v35
	v_cndmask_b32_e32 v34, v35, v34, vcc
	s_nop 1
	v_mov_b32_dpp v35, v34 row_half_mirror row_mask:0xf bank_mask:0xf
	v_cmp_gt_f32_e32 vcc, v34, v35
	v_cndmask_b32_e32 v34, v35, v34, vcc
	s_nop 1
	v_mov_b32_dpp v35, v34 row_mirror row_mask:0xf bank_mask:0xf
	v_cmp_gt_f32_e32 vcc, v34, v35
	v_cndmask_b32_e32 v34, v35, v34, vcc
.LBB56_20:
	s_cbranch_execnz .LBB56_33
.LBB56_21:
	s_cmp_lt_i32 s10, 4
	s_cbranch_scc1 .LBB56_25
; %bb.22:
	s_cmp_lt_i32 s10, 8
	s_cbranch_scc1 .LBB56_26
; %bb.23:
	s_cmp_eq_u32 s10, 8
	s_waitcnt lgkmcnt(0)
	v_mov_b32_e32 v34, v36
	s_cbranch_scc0 .LBB56_27
; %bb.24:
	s_nop 0
	v_mov_b32_dpp v34, v36 quad_perm:[1,0,3,2] row_mask:0xf bank_mask:0xf
	v_cmp_gt_f32_e32 vcc, v36, v34
	v_cndmask_b32_e32 v34, v34, v36, vcc
	s_nop 1
	v_mov_b32_dpp v35, v34 quad_perm:[2,3,0,1] row_mask:0xf bank_mask:0xf
	v_cmp_gt_f32_e32 vcc, v34, v35
	v_cndmask_b32_e32 v34, v35, v34, vcc
	s_nop 1
	v_mov_b32_dpp v35, v34 row_half_mirror row_mask:0xf bank_mask:0xf
	v_cmp_gt_f32_e32 vcc, v34, v35
	v_cndmask_b32_e32 v34, v35, v34, vcc
	s_cbranch_execz .LBB56_28
	s_branch .LBB56_30
.LBB56_25:
                                        ; implicit-def: $vgpr34
	s_branch .LBB56_31
.LBB56_26:
                                        ; implicit-def: $vgpr34
	s_branch .LBB56_28
.LBB56_27:
	s_cbranch_execnz .LBB56_30
.LBB56_28:
	s_cmp_eq_u32 s10, 4
	s_waitcnt lgkmcnt(0)
	v_mov_b32_e32 v34, v36
	s_cbranch_scc0 .LBB56_30
; %bb.29:
	s_nop 0
	v_mov_b32_dpp v34, v36 quad_perm:[1,0,3,2] row_mask:0xf bank_mask:0xf
	v_cmp_gt_f32_e32 vcc, v36, v34
	v_cndmask_b32_e32 v34, v34, v36, vcc
	s_nop 1
	v_mov_b32_dpp v35, v34 quad_perm:[2,3,0,1] row_mask:0xf bank_mask:0xf
	v_cmp_gt_f32_e32 vcc, v34, v35
	v_cndmask_b32_e32 v34, v35, v34, vcc
.LBB56_30:
	s_cbranch_execnz .LBB56_33
.LBB56_31:
	s_cmp_lg_u32 s10, 2
	s_waitcnt lgkmcnt(0)
	v_mov_b32_e32 v34, v36
	s_cbranch_scc1 .LBB56_33
; %bb.32:
	s_nop 0
	v_mov_b32_dpp v34, v36 quad_perm:[1,0,3,2] row_mask:0xf bank_mask:0xf
	v_cmp_gt_f32_e32 vcc, v36, v34
	v_cndmask_b32_e32 v34, v34, v36, vcc
.LBB56_33:
	v_cvt_f32_u32_e32 v35, s10
	s_waitcnt lgkmcnt(0)
	v_mul_f32_e32 v37, 0x3c010204, v34
	s_sub_i32 s2, 0, s10
	v_cmp_gt_u32_e32 vcc, s9, v1
	v_rcp_iflag_f32_e32 v35, v35
	s_mov_b64 s[4:5], 0
	v_mul_f32_e32 v34, 0x4f7ffffe, v35
	v_cvt_u32_f32_e32 v34, v34
	v_mul_lo_u32 v35, s2, v34
	v_mul_hi_u32 v35, v34, v35
	v_add_u32_e32 v34, v34, v35
	v_mul_hi_u32 v34, v0, v34
	v_mul_lo_u32 v35, v34, s10
	v_sub_u32_e32 v35, v0, v35
	v_add_u32_e32 v38, 1, v34
	v_cmp_le_u32_e64 s[2:3], s10, v35
	v_cndmask_b32_e64 v34, v34, v38, s[2:3]
	v_subrev_u32_e32 v38, s10, v35
	v_cndmask_b32_e64 v35, v35, v38, s[2:3]
	v_add_u32_e32 v38, 1, v34
	v_cmp_le_u32_e64 s[2:3], s10, v35
	v_cndmask_b32_e64 v38, v34, v38, s[2:3]
	v_mul_lo_u32 v34, v38, s10
	v_sub_u32_e32 v34, v0, v34
	v_cmp_eq_u32_e64 s[2:3], 0, v34
	s_and_b64 s[10:11], s[2:3], vcc
	s_mov_b64 s[2:3], 0
                                        ; implicit-def: $vgpr34_vgpr35
	s_and_saveexec_b64 s[18:19], s[10:11]
	s_xor_b64 s[10:11], exec, s[18:19]
	s_cbranch_execz .LBB56_42
; %bb.34:
	s_bitcmp0_b32 s15, 0
	s_cbranch_scc0 .LBB56_39
; %bb.35:
	s_ashr_i32 s2, s9, 31
	s_mul_hi_u32 s3, s9, s6
	s_mul_i32 s2, s2, s6
	s_add_i32 s19, s3, s2
	s_mul_i32 s18, s9, s6
	s_mov_b32 s15, s12
	s_or_b64 s[2:3], s[18:19], s[14:15]
	s_mov_b32 s2, 0
	s_cmp_lg_u64 s[2:3], 0
	s_cbranch_scc0 .LBB56_50
; %bb.36:
	s_add_u32 s2, s14, s15
	s_mov_b32 s24, s15
	s_mov_b32 s25, s15
	s_addc_u32 s3, s15, s15
	s_xor_b64 s[26:27], s[2:3], s[24:25]
	v_cvt_f32_u32_e32 v34, s26
	v_cvt_f32_u32_e32 v35, s27
	s_sub_u32 s2, 0, s26
	s_subb_u32 s3, 0, s27
	v_madmk_f32 v34, v35, 0x4f800000, v34
	v_rcp_f32_e32 v34, v34
	v_mul_f32_e32 v34, 0x5f7ffffc, v34
	v_mul_f32_e32 v35, 0x2f800000, v34
	v_trunc_f32_e32 v35, v35
	v_madmk_f32 v34, v35, 0xcf800000, v34
	v_cvt_u32_f32_e32 v35, v35
	v_cvt_u32_f32_e32 v34, v34
	v_readfirstlane_b32 s12, v35
	v_readfirstlane_b32 s15, v34
	s_mul_i32 s28, s2, s12
	s_mul_hi_u32 s30, s2, s15
	s_mul_i32 s29, s3, s15
	s_add_i32 s28, s30, s28
	s_add_i32 s28, s28, s29
	s_mul_i32 s31, s2, s15
	s_mul_hi_u32 s29, s15, s28
	s_mul_i32 s30, s15, s28
	s_mul_hi_u32 s15, s15, s31
	s_add_u32 s15, s15, s30
	s_addc_u32 s29, 0, s29
	s_mul_hi_u32 s33, s12, s31
	s_mul_i32 s31, s12, s31
	s_add_u32 s15, s15, s31
	s_mul_hi_u32 s30, s12, s28
	s_addc_u32 s15, s29, s33
	s_addc_u32 s29, s30, 0
	s_mul_i32 s28, s12, s28
	s_add_u32 s15, s15, s28
	s_addc_u32 s28, 0, s29
	v_add_co_u32_e32 v34, vcc, s15, v34
	s_cmp_lg_u64 vcc, 0
	s_addc_u32 s12, s12, s28
	v_readfirstlane_b32 s28, v34
	s_mul_i32 s15, s2, s12
	s_mul_hi_u32 s29, s2, s28
	s_add_i32 s15, s29, s15
	s_mul_i32 s3, s3, s28
	s_add_i32 s15, s15, s3
	s_mul_i32 s2, s2, s28
	s_mul_hi_u32 s29, s12, s2
	s_mul_i32 s30, s12, s2
	s_mul_i32 s33, s28, s15
	s_mul_hi_u32 s2, s28, s2
	s_mul_hi_u32 s31, s28, s15
	s_add_u32 s2, s2, s33
	s_addc_u32 s28, 0, s31
	s_add_u32 s2, s2, s30
	s_mul_hi_u32 s3, s12, s15
	s_addc_u32 s2, s28, s29
	s_addc_u32 s3, s3, 0
	s_mul_i32 s15, s12, s15
	s_add_u32 s2, s2, s15
	s_addc_u32 s3, 0, s3
	v_add_co_u32_e32 v34, vcc, s2, v34
	s_cmp_lg_u64 vcc, 0
	s_addc_u32 s12, s12, s3
	s_ashr_i32 s28, s19, 31
	s_add_u32 s2, s18, s28
	s_mov_b32 s29, s28
	s_addc_u32 s3, s19, s28
	s_xor_b64 s[30:31], s[2:3], s[28:29]
	v_readfirstlane_b32 s15, v34
	s_mul_i32 s3, s30, s12
	s_mul_hi_u32 s19, s30, s15
	s_mul_hi_u32 s2, s30, s12
	s_add_u32 s3, s19, s3
	s_addc_u32 s2, 0, s2
	s_mul_hi_u32 s33, s31, s15
	s_mul_i32 s15, s31, s15
	s_add_u32 s3, s3, s15
	s_mul_hi_u32 s19, s31, s12
	s_addc_u32 s2, s2, s33
	s_addc_u32 s3, s19, 0
	s_mul_i32 s12, s31, s12
	s_add_u32 s12, s2, s12
	s_addc_u32 s15, 0, s3
	s_mul_i32 s2, s26, s15
	s_mul_hi_u32 s3, s26, s12
	s_add_i32 s2, s3, s2
	s_mul_i32 s3, s27, s12
	s_add_i32 s19, s2, s3
	s_mul_i32 s3, s26, s12
	v_mov_b32_e32 v34, s3
	s_sub_i32 s2, s31, s19
	v_sub_co_u32_e32 v34, vcc, s30, v34
	s_cmp_lg_u64 vcc, 0
	s_subb_u32 s30, s2, s27
	v_subrev_co_u32_e64 v35, s[2:3], s26, v34
	s_cmp_lg_u64 s[2:3], 0
	s_subb_u32 s30, s30, 0
	s_cmp_ge_u32 s30, s27
	s_cselect_b32 s33, -1, 0
	v_cmp_le_u32_e64 s[2:3], s26, v35
	s_cmp_eq_u32 s30, s27
	v_cndmask_b32_e64 v35, 0, -1, s[2:3]
	v_mov_b32_e32 v39, s33
	s_cselect_b64 s[2:3], -1, 0
	v_cndmask_b32_e64 v35, v39, v35, s[2:3]
	s_add_u32 s2, s12, 1
	s_addc_u32 s30, s15, 0
	s_add_u32 s3, s12, 2
	s_addc_u32 s33, s15, 0
	v_mov_b32_e32 v39, s2
	v_mov_b32_e32 v40, s3
	v_cmp_ne_u32_e64 s[2:3], 0, v35
	v_cndmask_b32_e64 v35, v39, v40, s[2:3]
	v_mov_b32_e32 v39, s30
	v_mov_b32_e32 v40, s33
	s_cmp_lg_u64 vcc, 0
	v_cndmask_b32_e64 v39, v39, v40, s[2:3]
	s_subb_u32 s2, s31, s19
	s_cmp_ge_u32 s2, s27
	s_cselect_b32 s3, -1, 0
	v_cmp_le_u32_e32 vcc, s26, v34
	s_cmp_eq_u32 s2, s27
	v_cndmask_b32_e64 v34, 0, -1, vcc
	v_mov_b32_e32 v40, s3
	s_cselect_b64 vcc, -1, 0
	v_cndmask_b32_e32 v34, v40, v34, vcc
	v_mov_b32_e32 v40, s15
	v_cmp_ne_u32_e32 vcc, 0, v34
	v_cndmask_b32_e32 v34, v40, v39, vcc
	v_mov_b32_e32 v39, s12
	v_cndmask_b32_e32 v35, v39, v35, vcc
	s_xor_b64 s[2:3], s[28:29], s[24:25]
	v_xor_b32_e32 v35, s2, v35
	v_xor_b32_e32 v39, s3, v34
	v_mov_b32_e32 v40, s3
	v_subrev_co_u32_e32 v34, vcc, s2, v35
	v_subb_co_u32_e32 v35, vcc, v39, v40, vcc
	s_cbranch_execnz .LBB56_38
.LBB56_37:
	v_cvt_f32_u32_e32 v34, s14
	s_sub_i32 s2, 0, s14
	s_mov_b32 s3, 0
	v_rcp_iflag_f32_e32 v34, v34
	v_mul_f32_e32 v34, 0x4f7ffffe, v34
	v_cvt_u32_f32_e32 v34, v34
	v_readfirstlane_b32 s12, v34
	s_mul_i32 s2, s2, s12
	s_mul_hi_u32 s2, s12, s2
	s_add_i32 s12, s12, s2
	s_mul_hi_u32 s2, s18, s12
	s_mul_i32 s15, s2, s14
	s_sub_i32 s15, s18, s15
	s_add_i32 s12, s2, 1
	s_sub_i32 s18, s15, s14
	s_cmp_ge_u32 s15, s14
	s_cselect_b32 s2, s12, s2
	s_cselect_b32 s15, s18, s15
	s_add_i32 s12, s2, 1
	s_cmp_ge_u32 s15, s14
	s_cselect_b32 s2, s12, s2
	v_pk_mov_b32 v[34:35], s[2:3], s[2:3] op_sel:[0,1]
.LBB56_38:
	v_add_co_u32_e32 v34, vcc, v34, v38
	v_addc_co_u32_e32 v35, vcc, 0, v35, vcc
	s_branch .LBB56_41
.LBB56_39:
                                        ; implicit-def: $vgpr34_vgpr35
	s_cbranch_execz .LBB56_41
; %bb.40:
	v_mul_lo_u32 v34, v38, s8
	v_ashrrev_i32_e32 v35, 31, v34
	v_mov_b32_e32 v38, s7
	v_add_co_u32_e32 v34, vcc, s6, v34
	v_addc_co_u32_e32 v35, vcc, v35, v38, vcc
.LBB56_41:
	s_mov_b64 s[2:3], exec
.LBB56_42:
	s_or_b64 exec, exec, s[10:11]
	s_and_b64 vcc, exec, s[4:5]
	s_cbranch_vccz .LBB56_46
.LBB56_43:
	v_mov_b32_dpp v34, v36 quad_perm:[1,0,3,2] row_mask:0xf bank_mask:0xf
	v_cmp_gt_f32_e32 vcc, v36, v34
	v_cndmask_b32_e32 v34, v34, v36, vcc
	s_nop 1
	v_mov_b32_dpp v35, v34 quad_perm:[2,3,0,1] row_mask:0xf bank_mask:0xf
	v_cmp_gt_f32_e32 vcc, v34, v35
	v_cndmask_b32_e32 v34, v35, v34, vcc
	s_nop 1
	v_mov_b32_dpp v35, v34 row_half_mirror row_mask:0xf bank_mask:0xf
	v_cmp_gt_f32_e32 vcc, v34, v35
	v_cndmask_b32_e32 v34, v35, v34, vcc
	s_nop 1
	v_mov_b32_dpp v35, v34 row_mirror row_mask:0xf bank_mask:0xf
	v_cmp_gt_f32_e32 vcc, v34, v35
	v_cndmask_b32_e32 v34, v35, v34, vcc
	s_nop 1
	v_mov_b32_dpp v35, v34 row_bcast:15 row_mask:0xf bank_mask:0xf
	v_cmp_gt_f32_e32 vcc, v34, v35
	v_cndmask_b32_e32 v34, v35, v34, vcc
	s_nop 1
	v_mov_b32_dpp v35, v34 row_bcast:31 row_mask:0xf bank_mask:0xf
	s_and_saveexec_b64 s[2:3], s[0:1]
	s_cbranch_execz .LBB56_45
; %bb.44:
	v_lshrrev_b32_e32 v36, 4, v0
	v_cmp_gt_f32_e32 vcc, v34, v35
	v_and_b32_e32 v36, 60, v36
	v_cndmask_b32_e32 v34, v35, v34, vcc
	ds_write_b32 v36, v34
.LBB56_45:
	s_or_b64 exec, exec, s[2:3]
	s_waitcnt lgkmcnt(0)
	s_barrier
	ds_read_b32 v34, v50
	v_cmp_eq_u32_e64 s[2:3], 0, v0
	s_waitcnt lgkmcnt(0)
	v_mov_b32_dpp v35, v34 quad_perm:[1,0,3,2] row_mask:0xf bank_mask:0xf
	v_cmp_gt_f32_e32 vcc, v34, v35
	v_cndmask_b32_e32 v34, v35, v34, vcc
	s_nop 1
	v_mov_b32_dpp v35, v34 quad_perm:[2,3,0,1] row_mask:0xf bank_mask:0xf
	v_cmp_gt_f32_e32 vcc, v34, v35
	v_cndmask_b32_e32 v34, v35, v34, vcc
	v_mul_f32_e32 v37, 0x3c010204, v34
	v_pk_mov_b32 v[34:35], s[6:7], s[6:7] op_sel:[0,1]
.LBB56_46:
	s_and_saveexec_b64 s[0:1], s[2:3]
	s_cbranch_execz .LBB56_48
; %bb.47:
	v_lshlrev_b64 v[34:35], 2, v[34:35]
	v_mov_b32_e32 v0, s21
	v_add_co_u32_e32 v34, vcc, s20, v34
	v_addc_co_u32_e32 v35, vcc, v0, v35, vcc
	global_store_dword v[34:35], v37, off
.LBB56_48:
	s_or_b64 exec, exec, s[0:1]
	s_add_i32 s0, s9, 3
	;;#ASMSTART
	v_rcp_f32 v34, v37
	;;#ASMEND
	v_mov_b32_e32 v35, v34
	;;#ASMSTART
	v_pk_mul_f32 v[24:25], v[24:25], v[34:35]
	;;#ASMEND
	;;#ASMSTART
	v_pk_mul_f32 v[22:23], v[22:23], v[34:35]
	;;#ASMEND
	;; [unrolled: 3-line block ×4, first 2 shown]
	s_ashr_i32 s1, s0, 31
	v_cvt_i32_f32_e32 v0, v24
	v_cvt_i32_f32_sdwa v24, v25 dst_sel:BYTE_1 dst_unused:UNUSED_PAD src0_sel:DWORD
	v_cvt_i32_f32_e32 v22, v22
	v_cvt_i32_f32_sdwa v23, v23 dst_sel:BYTE_1 dst_unused:UNUSED_PAD src0_sel:DWORD
	;; [unrolled: 2-line block ×3, first 2 shown]
	;;#ASMSTART
	v_pk_mul_f32 v[18:19], v[32:33], v[34:35]
	;;#ASMEND
	s_lshr_b32 s1, s1, 30
	v_cvt_i32_f32_e32 v20, v20
	v_cvt_i32_f32_sdwa v21, v21 dst_sel:BYTE_1 dst_unused:UNUSED_PAD src0_sel:DWORD
	v_cvt_i32_f32_e32 v32, v18
	v_cvt_i32_f32_sdwa v33, v19 dst_sel:BYTE_1 dst_unused:UNUSED_PAD src0_sel:DWORD
	;;#ASMSTART
	v_pk_mul_f32 v[18:19], v[30:31], v[34:35]
	;;#ASMEND
	s_add_i32 s0, s0, s1
	v_cvt_i32_f32_e32 v30, v18
	v_cvt_i32_f32_sdwa v31, v19 dst_sel:BYTE_1 dst_unused:UNUSED_PAD src0_sel:DWORD
	;;#ASMSTART
	v_pk_mul_f32 v[18:19], v[28:29], v[34:35]
	;;#ASMEND
	s_and_b32 s2, s0, -4
	s_ashr_i32 s0, s13, 31
	v_cvt_i32_f32_e32 v28, v18
	v_cvt_i32_f32_sdwa v29, v19 dst_sel:BYTE_1 dst_unused:UNUSED_PAD src0_sel:DWORD
	;;#ASMSTART
	v_pk_mul_f32 v[18:19], v[26:27], v[34:35]
	;;#ASMEND
	v_cvt_i32_f32_e32 v26, v18
	v_cvt_i32_f32_sdwa v27, v19 dst_sel:BYTE_1 dst_unused:UNUSED_PAD src0_sel:DWORD
	s_mul_hi_u32 s1, s13, s6
	s_mul_i32 s0, s0, s6
	v_or_b32_sdwa v0, v0, v24 dst_sel:DWORD dst_unused:UNUSED_PAD src0_sel:BYTE_0 src1_sel:DWORD
	v_or_b32_sdwa v18, v22, v23 dst_sel:WORD_1 dst_unused:UNUSED_PAD src0_sel:BYTE_0 src1_sel:DWORD
	s_add_i32 s1, s1, s0
	s_mul_i32 s0, s13, s6
	v_or_b32_sdwa v18, v0, v18 dst_sel:DWORD dst_unused:UNUSED_PAD src0_sel:WORD_0 src1_sel:DWORD
	v_or_b32_sdwa v0, v20, v21 dst_sel:DWORD dst_unused:UNUSED_PAD src0_sel:BYTE_0 src1_sel:DWORD
	v_or_b32_sdwa v19, v25, v36 dst_sel:WORD_1 dst_unused:UNUSED_PAD src0_sel:BYTE_0 src1_sel:DWORD
	s_add_u32 s0, s16, s0
	v_or_b32_sdwa v19, v0, v19 dst_sel:DWORD dst_unused:UNUSED_PAD src0_sel:WORD_0 src1_sel:DWORD
	v_or_b32_sdwa v0, v32, v33 dst_sel:DWORD dst_unused:UNUSED_PAD src0_sel:BYTE_0 src1_sel:DWORD
	v_or_b32_sdwa v20, v30, v31 dst_sel:WORD_1 dst_unused:UNUSED_PAD src0_sel:BYTE_0 src1_sel:DWORD
	s_addc_u32 s1, s17, s1
	v_or_b32_sdwa v20, v0, v20 dst_sel:DWORD dst_unused:UNUSED_PAD src0_sel:WORD_0 src1_sel:DWORD
	v_or_b32_sdwa v0, v28, v29 dst_sel:DWORD dst_unused:UNUSED_PAD src0_sel:BYTE_0 src1_sel:DWORD
	v_or_b32_sdwa v21, v26, v27 dst_sel:WORD_1 dst_unused:UNUSED_PAD src0_sel:BYTE_0 src1_sel:DWORD
	s_and_b32 s1, s1, 0xffff
	s_mov_b32 s3, 0x20000
	v_or_b32_sdwa v21, v0, v21 dst_sel:DWORD dst_unused:UNUSED_PAD src0_sel:WORD_0 src1_sel:DWORD
	buffer_store_dwordx4 v[18:21], v1, s[0:3], 0 offen
	;;#ASMSTART
	s_nop 0
	;;#ASMEND
	;;#ASMSTART
	v_pk_mul_f32 v[16:17], v[16:17], v[34:35]
	;;#ASMEND
	;;#ASMSTART
	v_pk_mul_f32 v[12:13], v[12:13], v[34:35]
	;; [unrolled: 3-line block ×4, first 2 shown]
	;;#ASMEND
	v_cvt_i32_f32_e32 v0, v16
	v_cvt_i32_f32_sdwa v16, v17 dst_sel:BYTE_1 dst_unused:UNUSED_PAD src0_sel:DWORD
	v_cvt_i32_f32_e32 v12, v12
	v_cvt_i32_f32_sdwa v13, v13 dst_sel:BYTE_1 dst_unused:UNUSED_PAD src0_sel:DWORD
	;; [unrolled: 2-line block ×3, first 2 shown]
	;;#ASMSTART
	v_pk_mul_f32 v[4:5], v[14:15], v[34:35]
	;;#ASMEND
	v_cvt_i32_f32_e32 v10, v10
	v_cvt_i32_f32_sdwa v11, v11 dst_sel:BYTE_1 dst_unused:UNUSED_PAD src0_sel:DWORD
	v_cvt_i32_f32_e32 v14, v4
	v_cvt_i32_f32_sdwa v15, v5 dst_sel:BYTE_1 dst_unused:UNUSED_PAD src0_sel:DWORD
	;;#ASMSTART
	v_pk_mul_f32 v[4:5], v[8:9], v[34:35]
	;;#ASMEND
	v_cvt_i32_f32_e32 v8, v4
	v_cvt_i32_f32_sdwa v9, v5 dst_sel:BYTE_1 dst_unused:UNUSED_PAD src0_sel:DWORD
	;;#ASMSTART
	v_pk_mul_f32 v[4:5], v[6:7], v[34:35]
	;;#ASMEND
	;; [unrolled: 5-line block ×3, first 2 shown]
	v_cvt_i32_f32_e32 v7, v2
	v_cvt_i32_f32_sdwa v19, v3 dst_sel:BYTE_1 dst_unused:UNUSED_PAD src0_sel:DWORD
	v_or_b32_sdwa v0, v0, v16 dst_sel:DWORD dst_unused:UNUSED_PAD src0_sel:BYTE_0 src1_sel:DWORD
	v_or_b32_sdwa v2, v12, v13 dst_sel:WORD_1 dst_unused:UNUSED_PAD src0_sel:BYTE_0 src1_sel:DWORD
	v_or_b32_sdwa v2, v0, v2 dst_sel:DWORD dst_unused:UNUSED_PAD src0_sel:WORD_0 src1_sel:DWORD
	v_or_b32_sdwa v0, v10, v11 dst_sel:DWORD dst_unused:UNUSED_PAD src0_sel:BYTE_0 src1_sel:DWORD
	v_or_b32_sdwa v3, v17, v18 dst_sel:WORD_1 dst_unused:UNUSED_PAD src0_sel:BYTE_0 src1_sel:DWORD
	v_or_b32_sdwa v3, v0, v3 dst_sel:DWORD dst_unused:UNUSED_PAD src0_sel:WORD_0 src1_sel:DWORD
	;; [unrolled: 3-line block ×4, first 2 shown]
	buffer_store_dwordx4 v[2:5], v1, s[0:3], 16 offen
	;;#ASMSTART
	s_nop 0
	;;#ASMEND
.LBB56_49:
	s_endpgm
.LBB56_50:
                                        ; implicit-def: $vgpr34_vgpr35
	s_branch .LBB56_37
	.section	.rodata,"a",@progbits
	.p2align	6, 0x0
	.amdhsa_kernel _ZN5aiter24add_rmsnorm_quant_kernelItaLi256ELi32ELb1ELb1ELb0ELi1EEEvPT0_PT_PfS4_S4_S4_diiiiiiib
		.amdhsa_group_segment_fixed_size 32
		.amdhsa_private_segment_fixed_size 0
		.amdhsa_kernarg_size 88
		.amdhsa_user_sgpr_count 6
		.amdhsa_user_sgpr_private_segment_buffer 1
		.amdhsa_user_sgpr_dispatch_ptr 0
		.amdhsa_user_sgpr_queue_ptr 0
		.amdhsa_user_sgpr_kernarg_segment_ptr 1
		.amdhsa_user_sgpr_dispatch_id 0
		.amdhsa_user_sgpr_flat_scratch_init 0
		.amdhsa_user_sgpr_kernarg_preload_length 0
		.amdhsa_user_sgpr_kernarg_preload_offset 0
		.amdhsa_user_sgpr_private_segment_size 0
		.amdhsa_uses_dynamic_stack 0
		.amdhsa_system_sgpr_private_segment_wavefront_offset 0
		.amdhsa_system_sgpr_workgroup_id_x 1
		.amdhsa_system_sgpr_workgroup_id_y 0
		.amdhsa_system_sgpr_workgroup_id_z 0
		.amdhsa_system_sgpr_workgroup_info 0
		.amdhsa_system_vgpr_workitem_id 0
		.amdhsa_next_free_vgpr 66
		.amdhsa_next_free_sgpr 40
		.amdhsa_accum_offset 68
		.amdhsa_reserve_vcc 1
		.amdhsa_reserve_flat_scratch 0
		.amdhsa_float_round_mode_32 0
		.amdhsa_float_round_mode_16_64 0
		.amdhsa_float_denorm_mode_32 3
		.amdhsa_float_denorm_mode_16_64 3
		.amdhsa_dx10_clamp 1
		.amdhsa_ieee_mode 1
		.amdhsa_fp16_overflow 0
		.amdhsa_tg_split 0
		.amdhsa_exception_fp_ieee_invalid_op 0
		.amdhsa_exception_fp_denorm_src 0
		.amdhsa_exception_fp_ieee_div_zero 0
		.amdhsa_exception_fp_ieee_overflow 0
		.amdhsa_exception_fp_ieee_underflow 0
		.amdhsa_exception_fp_ieee_inexact 0
		.amdhsa_exception_int_div_zero 0
	.end_amdhsa_kernel
	.section	.text._ZN5aiter24add_rmsnorm_quant_kernelItaLi256ELi32ELb1ELb1ELb0ELi1EEEvPT0_PT_PfS4_S4_S4_diiiiiiib,"axG",@progbits,_ZN5aiter24add_rmsnorm_quant_kernelItaLi256ELi32ELb1ELb1ELb0ELi1EEEvPT0_PT_PfS4_S4_S4_diiiiiiib,comdat
.Lfunc_end56:
	.size	_ZN5aiter24add_rmsnorm_quant_kernelItaLi256ELi32ELb1ELb1ELb0ELi1EEEvPT0_PT_PfS4_S4_S4_diiiiiiib, .Lfunc_end56-_ZN5aiter24add_rmsnorm_quant_kernelItaLi256ELi32ELb1ELb1ELb0ELi1EEEvPT0_PT_PfS4_S4_S4_diiiiiiib
                                        ; -- End function
	.section	.AMDGPU.csdata,"",@progbits
; Kernel info:
; codeLenInByte = 5308
; NumSgprs: 44
; NumVgprs: 66
; NumAgprs: 0
; TotalNumVgprs: 66
; ScratchSize: 0
; MemoryBound: 0
; FloatMode: 240
; IeeeMode: 1
; LDSByteSize: 32 bytes/workgroup (compile time only)
; SGPRBlocks: 5
; VGPRBlocks: 8
; NumSGPRsForWavesPerEU: 44
; NumVGPRsForWavesPerEU: 66
; AccumOffset: 68
; Occupancy: 7
; WaveLimiterHint : 0
; COMPUTE_PGM_RSRC2:SCRATCH_EN: 0
; COMPUTE_PGM_RSRC2:USER_SGPR: 6
; COMPUTE_PGM_RSRC2:TRAP_HANDLER: 0
; COMPUTE_PGM_RSRC2:TGID_X_EN: 1
; COMPUTE_PGM_RSRC2:TGID_Y_EN: 0
; COMPUTE_PGM_RSRC2:TGID_Z_EN: 0
; COMPUTE_PGM_RSRC2:TIDIG_COMP_CNT: 0
; COMPUTE_PGM_RSRC3_GFX90A:ACCUM_OFFSET: 16
; COMPUTE_PGM_RSRC3_GFX90A:TG_SPLIT: 0
	.section	.text._ZN5aiter24add_rmsnorm_quant_kernelIDF16_aLi512ELi16ELb1ELb1ELb1ELi1EEEvPT0_PT_PfS4_S4_S4_diiiiiiib,"axG",@progbits,_ZN5aiter24add_rmsnorm_quant_kernelIDF16_aLi512ELi16ELb1ELb1ELb1ELi1EEEvPT0_PT_PfS4_S4_S4_diiiiiiib,comdat
	.protected	_ZN5aiter24add_rmsnorm_quant_kernelIDF16_aLi512ELi16ELb1ELb1ELb1ELi1EEEvPT0_PT_PfS4_S4_S4_diiiiiiib ; -- Begin function _ZN5aiter24add_rmsnorm_quant_kernelIDF16_aLi512ELi16ELb1ELb1ELb1ELi1EEEvPT0_PT_PfS4_S4_S4_diiiiiiib
	.globl	_ZN5aiter24add_rmsnorm_quant_kernelIDF16_aLi512ELi16ELb1ELb1ELb1ELi1EEEvPT0_PT_PfS4_S4_S4_diiiiiiib
	.p2align	8
	.type	_ZN5aiter24add_rmsnorm_quant_kernelIDF16_aLi512ELi16ELb1ELb1ELb1ELi1EEEvPT0_PT_PfS4_S4_S4_diiiiiiib,@function
_ZN5aiter24add_rmsnorm_quant_kernelIDF16_aLi512ELi16ELb1ELb1ELb1ELi1EEEvPT0_PT_PfS4_S4_S4_diiiiiiib: ; @_ZN5aiter24add_rmsnorm_quant_kernelIDF16_aLi512ELi16ELb1ELb1ELb1ELi1EEEvPT0_PT_PfS4_S4_S4_diiiiiiib
; %bb.0:
	s_load_dwordx8 s[8:15], s[4:5], 0x38
	s_mov_b32 s7, 0
	s_waitcnt lgkmcnt(0)
	s_ashr_i32 s0, s8, 31
	v_mov_b32_e32 v2, s8
	v_mov_b32_e32 v3, s0
	v_cmp_ge_i64_e32 vcc, s[6:7], v[2:3]
	s_cbranch_vccnz .LBB57_49
; %bb.1:
	s_load_dwordx8 s[16:23], s[4:5], 0x0
	s_ashr_i32 s0, s10, 31
	s_mul_hi_u32 s1, s10, s6
	s_mul_i32 s0, s0, s6
	s_add_i32 s1, s1, s0
	s_mul_i32 s0, s10, s6
	s_lshl_b64 s[0:1], s[0:1], 1
	s_waitcnt lgkmcnt(0)
	s_add_u32 s0, s22, s0
	s_addc_u32 s1, s23, s1
	s_add_i32 s2, s9, 1
	s_lshr_b32 s3, s2, 31
	v_lshlrev_b32_e32 v27, 4, v0
	s_add_i32 s2, s2, s3
	v_lshlrev_b32_e32 v1, 3, v0
	v_and_b32_e32 v2, 0x3c00, v27
	s_movk_i32 s10, 0x1f8
	s_lshl_b32 s2, s2, 1
	v_and_or_b32 v1, v1, s10, v2
	s_load_dwordx8 s[24:31], s[4:5], 0x20
	s_and_b32 s2, s2, -4
	s_and_b32 s1, s1, 0xffff
	s_mov_b32 s3, 0x20000
	v_lshlrev_b32_e32 v26, 1, v1
	s_movk_i32 s10, 0x400
	buffer_load_dwordx4 v[10:13], v26, s[0:3], s10 offen glc slc
	buffer_load_dwordx4 v[14:17], v26, s[0:3], 0 offen glc slc
	s_ashr_i32 s0, s11, 31
	s_mul_hi_u32 s1, s11, s6
	s_mul_i32 s0, s0, s6
	s_add_i32 s1, s1, s0
	s_mul_i32 s0, s11, s6
	s_waitcnt lgkmcnt(0)
	s_and_b32 s37, s27, 0xffff
	s_lshl_b64 s[0:1], s[0:1], 1
	s_add_u32 s0, s24, s0
	s_addc_u32 s1, s25, s1
	s_and_b32 s1, s1, 0xffff
	buffer_load_dwordx4 v[18:21], v26, s[0:3], s10 offen glc slc
	buffer_load_dwordx4 v[22:25], v26, s[0:3], 0 offen glc slc
	s_mov_b32 s39, s3
	s_mov_b32 s36, s26
	;; [unrolled: 1-line block ×3, first 2 shown]
	buffer_load_dwordx4 v[6:9], v26, s[36:39], 0 offen
	buffer_load_dwordx4 v[2:5], v26, s[36:39], s10 offen
	s_ashr_i32 s4, s12, 31
	s_mul_hi_u32 s1, s12, s6
	s_mul_i32 s4, s4, s6
	s_mul_i32 s0, s12, s6
	s_add_i32 s1, s1, s4
	s_lshl_b64 s[0:1], s[0:1], 1
	s_add_u32 s0, s18, s0
	s_addc_u32 s1, s19, s1
	s_and_b32 s1, s1, 0xffff
	s_waitcnt vmcnt(5)
	v_cvt_f32_f16_e32 v28, v10
	v_cvt_f32_f16_sdwa v29, v10 dst_sel:DWORD dst_unused:UNUSED_PAD src0_sel:WORD_1
	v_cvt_f32_f16_e32 v10, v11
	v_cvt_f32_f16_sdwa v11, v11 dst_sel:DWORD dst_unused:UNUSED_PAD src0_sel:WORD_1
	v_cvt_f32_f16_e32 v30, v12
	v_cvt_f32_f16_sdwa v31, v12 dst_sel:DWORD dst_unused:UNUSED_PAD src0_sel:WORD_1
	v_cvt_f32_f16_e32 v32, v13
	v_cvt_f32_f16_sdwa v33, v13 dst_sel:DWORD dst_unused:UNUSED_PAD src0_sel:WORD_1
	s_waitcnt vmcnt(4)
	v_cvt_f32_f16_e32 v34, v14
	v_cvt_f32_f16_sdwa v35, v14 dst_sel:DWORD dst_unused:UNUSED_PAD src0_sel:WORD_1
	v_cvt_f32_f16_e32 v36, v15
	v_cvt_f32_f16_sdwa v37, v15 dst_sel:DWORD dst_unused:UNUSED_PAD src0_sel:WORD_1
	v_cvt_f32_f16_e32 v38, v16
	v_cvt_f32_f16_sdwa v39, v16 dst_sel:DWORD dst_unused:UNUSED_PAD src0_sel:WORD_1
	v_cvt_f32_f16_e32 v40, v17
	v_cvt_f32_f16_sdwa v41, v17 dst_sel:DWORD dst_unused:UNUSED_PAD src0_sel:WORD_1
	;; [unrolled: 9-line block ×4, first 2 shown]
	v_pk_add_f32 v[16:17], v[28:29], v[12:13]
	v_pk_add_f32 v[14:15], v[10:11], v[14:15]
	;; [unrolled: 1-line block ×8, first 2 shown]
	v_cvt_f16_f32_e32 v28, v25
	v_cvt_f16_f32_e32 v29, v21
	;; [unrolled: 1-line block ×8, first 2 shown]
	v_pack_b32_f16 v31, v32, v31
	v_pack_b32_f16 v30, v33, v30
	;; [unrolled: 1-line block ×4, first 2 shown]
	buffer_store_dwordx4 v[28:31], v26, s[0:3], 0 offen glc slc
	v_cvt_f16_f32_e32 v32, v11
	v_cvt_f16_f32_e32 v28, v16
	;; [unrolled: 1-line block ×8, first 2 shown]
	v_pack_b32_f16 v31, v31, v32
	v_pack_b32_f16 v30, v30, v33
	;; [unrolled: 1-line block ×4, first 2 shown]
	;;#ASMSTART
	s_nop 0
	;;#ASMEND
	buffer_store_dwordx4 v[28:31], v26, s[0:3], s10 offen glc slc
	v_pk_mul_f32 v[28:29], v[24:25], v[24:25]
	v_pk_mul_f32 v[30:31], v[20:21], v[20:21]
	v_add_f32_e32 v26, v28, v29
	v_add_f32_e32 v26, v30, v26
	v_pk_mul_f32 v[32:33], v[18:19], v[18:19]
	v_add_f32_e32 v26, v31, v26
	v_add_f32_e32 v26, v32, v26
	;; [unrolled: 3-line block ×7, first 2 shown]
	v_add_f32_e32 v26, v43, v26
	v_and_b32_e32 v29, 63, v0
	v_cmp_eq_u32_e64 s[0:1], 63, v29
	v_mov_b32_dpp v28, v26 quad_perm:[1,0,3,2] row_mask:0xf bank_mask:0xf
	v_add_f32_e32 v26, v26, v28
	;;#ASMSTART
	s_nop 0
	;;#ASMEND
	s_nop 1
	v_mov_b32_dpp v28, v26 quad_perm:[2,3,0,1] row_mask:0xf bank_mask:0xf
	v_add_f32_e32 v26, v26, v28
	s_nop 1
	v_mov_b32_dpp v28, v26 row_half_mirror row_mask:0xf bank_mask:0xf
	v_add_f32_e32 v26, v26, v28
	s_nop 1
	v_mov_b32_dpp v28, v26 row_mirror row_mask:0xf bank_mask:0xf
	v_add_f32_e32 v26, v26, v28
	s_nop 1
	v_mov_b32_dpp v28, v26 row_bcast:15 row_mask:0xf bank_mask:0xf
	v_add_f32_e32 v26, v26, v28
	s_nop 1
	v_mov_b32_dpp v28, v26 row_bcast:31 row_mask:0xf bank_mask:0xf
	s_and_saveexec_b64 s[2:3], s[0:1]
	s_cbranch_execz .LBB57_3
; %bb.2:
	v_lshrrev_b32_e32 v29, 4, v0
	v_and_b32_e32 v29, 60, v29
	v_add_f32_e32 v26, v26, v28
	ds_write_b32 v29, v26 offset:32
.LBB57_3:
	s_or_b64 exec, exec, s[2:3]
	v_and_b32_e32 v26, 7, v0
	v_lshlrev_b32_e32 v26, 2, v26
	s_waitcnt lgkmcnt(0)
	s_barrier
	ds_read_b32 v28, v26 offset:32
	v_cvt_f32_i32_e32 v29, s9
	s_waitcnt vmcnt(3)
	v_cvt_f32_f16_sdwa v37, v9 dst_sel:DWORD dst_unused:UNUSED_PAD src0_sel:WORD_1
	v_cvt_f32_f16_e32 v36, v9
	s_cmp_lg_u32 s14, 0
	s_waitcnt lgkmcnt(0)
	v_mov_b32_dpp v30, v28 quad_perm:[1,0,3,2] row_mask:0xf bank_mask:0xf
	v_add_f32_e32 v28, v28, v30
	s_nop 1
	v_mov_b32_dpp v30, v28 quad_perm:[2,3,0,1] row_mask:0xf bank_mask:0xf
	v_add_f32_e32 v28, v28, v30
	s_nop 1
	v_mov_b32_dpp v30, v28 row_half_mirror row_mask:0xf bank_mask:0xf
	v_add_f32_e32 v28, v28, v30
	v_div_scale_f32 v30, s[2:3], v29, v29, v28
	v_rcp_f32_e32 v31, v30
	v_div_scale_f32 v32, vcc, v28, v29, v28
	s_mov_b32 s2, 0x800000
	v_fma_f32 v33, -v30, v31, 1.0
	v_fmac_f32_e32 v31, v33, v31
	v_mul_f32_e32 v33, v32, v31
	v_fma_f32 v34, -v30, v33, v32
	v_fmac_f32_e32 v33, v34, v31
	v_fma_f32 v30, -v30, v33, v32
	v_div_fmas_f32 v30, v30, v31, v33
	v_div_fixup_f32 v28, v30, v29, v28
	v_cvt_f64_f32_e32 v[28:29], v28
	v_add_f64 v[28:29], v[28:29], s[28:29]
	v_cvt_f32_f64_e32 v28, v[28:29]
	v_mul_f32_e32 v29, 0x4b800000, v28
	v_cmp_gt_f32_e32 vcc, s2, v28
	v_cndmask_b32_e32 v28, v28, v29, vcc
	v_rsq_f32_e32 v28, v28
	v_mul_f32_e32 v29, 0x45800000, v28
	v_cndmask_b32_e32 v28, v28, v29, vcc
	v_mov_b32_e32 v29, v28
	;;#ASMSTART
	v_pk_mul_f32 v[24:25], v[24:25], v[28:29]
	;;#ASMEND
	;;#ASMSTART
	v_pk_mul_f32 v[20:21], v[20:21], v[28:29]
	;;#ASMEND
	;; [unrolled: 3-line block ×8, first 2 shown]
	v_cvt_f32_f16_sdwa v11, v6 dst_sel:DWORD dst_unused:UNUSED_PAD src0_sel:WORD_1
	v_cvt_f32_f16_e32 v10, v6
	v_cvt_f32_f16_sdwa v13, v7 dst_sel:DWORD dst_unused:UNUSED_PAD src0_sel:WORD_1
	v_cvt_f32_f16_e32 v12, v7
	;; [unrolled: 2-line block ×3, first 2 shown]
	;;#ASMSTART
	v_pk_mul_f32 v[16:17], v[24:25], v[10:11]
	;;#ASMEND
	;;#ASMSTART
	v_pk_mul_f32 v[14:15], v[20:21], v[12:13]
	;;#ASMEND
	;; [unrolled: 3-line block ×3, first 2 shown]
	s_waitcnt vmcnt(2)
	v_cvt_f32_f16_sdwa v7, v2 dst_sel:DWORD dst_unused:UNUSED_PAD src0_sel:WORD_1
	v_cvt_f32_f16_e32 v6, v2
	v_cvt_f32_f16_sdwa v19, v3 dst_sel:DWORD dst_unused:UNUSED_PAD src0_sel:WORD_1
	v_cvt_f32_f16_e32 v18, v3
	;; [unrolled: 2-line block ×3, first 2 shown]
	v_cvt_f32_f16_e32 v20, v5
	;;#ASMSTART
	v_pk_mul_f32 v[8:9], v[22:23], v[36:37]
	;;#ASMEND
	v_cvt_f32_f16_sdwa v21, v5 dst_sel:DWORD dst_unused:UNUSED_PAD src0_sel:WORD_1
	;;#ASMSTART
	v_pk_mul_f32 v[12:13], v[30:31], v[6:7]
	;;#ASMEND
	;;#ASMSTART
	v_pk_mul_f32 v[6:7], v[32:33], v[18:19]
	;;#ASMEND
	;; [unrolled: 3-line block ×4, first 2 shown]
	v_and_b32_e32 v18, 0x7fffffff, v16
	v_mov_b32_e32 v20, 0x2edbe6ff
	v_and_b32_e32 v19, 0x7fffffff, v17
	;;#ASMSTART
	v_max3_f32 v18, v20, v18, v19

	;;#ASMEND
	v_and_b32_e32 v20, 0x7fffffff, v15
	v_and_b32_e32 v19, 0x7fffffff, v14
	;;#ASMSTART
	v_max3_f32 v18, v18, v19, v20

	;;#ASMEND
	v_and_b32_e32 v20, 0x7fffffff, v11
	;; [unrolled: 6-line block ×7, first 2 shown]
	v_and_b32_e32 v19, 0x7fffffff, v2
	;;#ASMSTART
	v_max3_f32 v20, v18, v19, v20

	;;#ASMEND
	s_cbranch_scc0 .LBB57_10
; %bb.4:
	s_ashr_i32 s12, s14, 31
	s_lshr_b32 s2, s12, 28
	s_add_i32 s2, s14, s2
	s_ashr_i32 s10, s2, 4
	s_cmp_lt_i32 s10, 16
	s_cbranch_scc1 .LBB57_11
; %bb.5:
	s_cmp_lt_i32 s10, 32
	s_cbranch_scc1 .LBB57_12
; %bb.6:
	;; [unrolled: 3-line block ×3, first 2 shown]
	s_cmp_eq_u32 s10, 64
	v_mov_b32_e32 v18, v20
	s_cbranch_scc0 .LBB57_9
; %bb.8:
	s_nop 0
	v_mov_b32_dpp v18, v20 quad_perm:[1,0,3,2] row_mask:0xf bank_mask:0xf
	v_cmp_gt_f32_e32 vcc, v20, v18
	v_cndmask_b32_e32 v18, v18, v20, vcc
	v_bfrev_b32_e32 v21, 0.5
	s_nop 0
	v_mov_b32_dpp v19, v18 quad_perm:[2,3,0,1] row_mask:0xf bank_mask:0xf
	v_cmp_gt_f32_e32 vcc, v18, v19
	v_cndmask_b32_e32 v18, v19, v18, vcc
	s_nop 1
	v_mov_b32_dpp v19, v18 row_ror:4 row_mask:0xf bank_mask:0xf
	v_cmp_gt_f32_e32 vcc, v18, v19
	v_cndmask_b32_e32 v18, v19, v18, vcc
	s_nop 1
	v_mov_b32_dpp v19, v18 row_ror:8 row_mask:0xf bank_mask:0xf
	v_cmp_gt_f32_e32 vcc, v18, v19
	v_cndmask_b32_e32 v18, v19, v18, vcc
	s_nop 1
	v_mov_b32_dpp v19, v18 row_bcast:15 row_mask:0xf bank_mask:0xf
	v_cmp_gt_f32_e32 vcc, v18, v19
	v_cndmask_b32_e32 v18, v19, v18, vcc
	s_nop 1
	v_mov_b32_dpp v19, v18 row_bcast:31 row_mask:0xf bank_mask:0xf
	v_cmp_gt_f32_e32 vcc, v18, v19
	v_cndmask_b32_e32 v18, v19, v18, vcc
	v_mbcnt_lo_u32_b32 v19, -1, 0
	v_mbcnt_hi_u32_b32 v19, -1, v19
	v_lshl_or_b32 v19, v19, 2, v21
	ds_bpermute_b32 v18, v19, v18
.LBB57_9:
	s_mov_b64 s[2:3], 0
	s_branch .LBB57_14
.LBB57_10:
	s_mov_b64 s[2:3], 0
                                        ; implicit-def: $vgpr21
                                        ; implicit-def: $vgpr18_vgpr19
	s_cbranch_execnz .LBB57_43
	s_branch .LBB57_46
.LBB57_11:
                                        ; implicit-def: $vgpr18
	s_branch .LBB57_21
.LBB57_12:
                                        ; implicit-def: $vgpr18
	s_branch .LBB57_18
.LBB57_13:
	s_mov_b64 s[2:3], -1
                                        ; implicit-def: $vgpr18
.LBB57_14:
	s_andn2_b64 vcc, exec, s[2:3]
	s_cbranch_vccnz .LBB57_17
; %bb.15:
	s_cmp_eq_u32 s10, 32
	s_waitcnt lgkmcnt(0)
	v_mov_b32_e32 v18, v20
	s_cbranch_scc0 .LBB57_17
; %bb.16:
	s_nop 0
	v_mov_b32_dpp v18, v20 quad_perm:[1,0,3,2] row_mask:0xf bank_mask:0xf
	v_cmp_gt_f32_e32 vcc, v20, v18
	v_cndmask_b32_e32 v18, v18, v20, vcc
	v_mov_b32_e32 v21, 0x7c
	s_nop 0
	v_mov_b32_dpp v19, v18 quad_perm:[2,3,0,1] row_mask:0xf bank_mask:0xf
	v_cmp_gt_f32_e32 vcc, v18, v19
	v_cndmask_b32_e32 v18, v19, v18, vcc
	s_nop 1
	v_mov_b32_dpp v19, v18 row_half_mirror row_mask:0xf bank_mask:0xf
	v_cmp_gt_f32_e32 vcc, v18, v19
	v_cndmask_b32_e32 v18, v19, v18, vcc
	s_nop 1
	v_mov_b32_dpp v19, v18 row_mirror row_mask:0xf bank_mask:0xf
	v_cmp_gt_f32_e32 vcc, v18, v19
	v_cndmask_b32_e32 v18, v19, v18, vcc
	s_nop 1
	v_mov_b32_dpp v19, v18 row_bcast:15 row_mask:0xa bank_mask:0xf
	v_cmp_gt_f32_e32 vcc, v18, v19
	v_cndmask_b32_e32 v18, v19, v18, vcc
	v_mbcnt_lo_u32_b32 v19, -1, 0
	v_mbcnt_hi_u32_b32 v19, -1, v19
	v_lshl_or_b32 v19, v19, 2, v21
	ds_bpermute_b32 v18, v19, v18
.LBB57_17:
	s_cbranch_execnz .LBB57_20
.LBB57_18:
	s_cmp_eq_u32 s10, 16
	s_waitcnt lgkmcnt(0)
	v_mov_b32_e32 v18, v20
	s_cbranch_scc0 .LBB57_20
; %bb.19:
	s_nop 0
	v_mov_b32_dpp v18, v20 quad_perm:[1,0,3,2] row_mask:0xf bank_mask:0xf
	v_cmp_gt_f32_e32 vcc, v20, v18
	v_cndmask_b32_e32 v18, v18, v20, vcc
	s_nop 1
	v_mov_b32_dpp v19, v18 quad_perm:[2,3,0,1] row_mask:0xf bank_mask:0xf
	v_cmp_gt_f32_e32 vcc, v18, v19
	v_cndmask_b32_e32 v18, v19, v18, vcc
	s_nop 1
	v_mov_b32_dpp v19, v18 row_half_mirror row_mask:0xf bank_mask:0xf
	v_cmp_gt_f32_e32 vcc, v18, v19
	v_cndmask_b32_e32 v18, v19, v18, vcc
	s_nop 1
	v_mov_b32_dpp v19, v18 row_mirror row_mask:0xf bank_mask:0xf
	v_cmp_gt_f32_e32 vcc, v18, v19
	v_cndmask_b32_e32 v18, v19, v18, vcc
.LBB57_20:
	s_cbranch_execnz .LBB57_33
.LBB57_21:
	s_cmp_lt_i32 s10, 4
	s_cbranch_scc1 .LBB57_25
; %bb.22:
	s_cmp_lt_i32 s10, 8
	s_cbranch_scc1 .LBB57_26
; %bb.23:
	s_cmp_eq_u32 s10, 8
	s_waitcnt lgkmcnt(0)
	v_mov_b32_e32 v18, v20
	s_cbranch_scc0 .LBB57_27
; %bb.24:
	s_nop 0
	v_mov_b32_dpp v18, v20 quad_perm:[1,0,3,2] row_mask:0xf bank_mask:0xf
	v_cmp_gt_f32_e32 vcc, v20, v18
	v_cndmask_b32_e32 v18, v18, v20, vcc
	s_nop 1
	v_mov_b32_dpp v19, v18 quad_perm:[2,3,0,1] row_mask:0xf bank_mask:0xf
	v_cmp_gt_f32_e32 vcc, v18, v19
	v_cndmask_b32_e32 v18, v19, v18, vcc
	s_nop 1
	v_mov_b32_dpp v19, v18 row_half_mirror row_mask:0xf bank_mask:0xf
	v_cmp_gt_f32_e32 vcc, v18, v19
	v_cndmask_b32_e32 v18, v19, v18, vcc
	s_cbranch_execz .LBB57_28
	s_branch .LBB57_30
.LBB57_25:
                                        ; implicit-def: $vgpr18
	s_branch .LBB57_31
.LBB57_26:
                                        ; implicit-def: $vgpr18
	s_branch .LBB57_28
.LBB57_27:
	s_cbranch_execnz .LBB57_30
.LBB57_28:
	s_cmp_eq_u32 s10, 4
	s_waitcnt lgkmcnt(0)
	v_mov_b32_e32 v18, v20
	s_cbranch_scc0 .LBB57_30
; %bb.29:
	s_nop 0
	v_mov_b32_dpp v18, v20 quad_perm:[1,0,3,2] row_mask:0xf bank_mask:0xf
	v_cmp_gt_f32_e32 vcc, v20, v18
	v_cndmask_b32_e32 v18, v18, v20, vcc
	s_nop 1
	v_mov_b32_dpp v19, v18 quad_perm:[2,3,0,1] row_mask:0xf bank_mask:0xf
	v_cmp_gt_f32_e32 vcc, v18, v19
	v_cndmask_b32_e32 v18, v19, v18, vcc
.LBB57_30:
	s_cbranch_execnz .LBB57_33
.LBB57_31:
	s_cmp_lg_u32 s10, 2
	s_waitcnt lgkmcnt(0)
	v_mov_b32_e32 v18, v20
	s_cbranch_scc1 .LBB57_33
; %bb.32:
	s_nop 0
	v_mov_b32_dpp v18, v20 quad_perm:[1,0,3,2] row_mask:0xf bank_mask:0xf
	v_cmp_gt_f32_e32 vcc, v20, v18
	v_cndmask_b32_e32 v18, v18, v20, vcc
.LBB57_33:
	v_cvt_f32_u32_e32 v19, s10
	s_waitcnt lgkmcnt(0)
	v_mul_f32_e32 v21, 0x3c010204, v18
	s_sub_i32 s2, 0, s10
	v_cmp_gt_u32_e32 vcc, s9, v27
	v_rcp_iflag_f32_e32 v19, v19
	s_mov_b64 s[4:5], 0
	v_mul_f32_e32 v18, 0x4f7ffffe, v19
	v_cvt_u32_f32_e32 v18, v18
	v_mul_lo_u32 v19, s2, v18
	v_mul_hi_u32 v19, v18, v19
	v_add_u32_e32 v18, v18, v19
	v_mul_hi_u32 v18, v0, v18
	v_mul_lo_u32 v19, v18, s10
	v_sub_u32_e32 v19, v0, v19
	v_add_u32_e32 v22, 1, v18
	v_cmp_le_u32_e64 s[2:3], s10, v19
	v_cndmask_b32_e64 v18, v18, v22, s[2:3]
	v_subrev_u32_e32 v22, s10, v19
	v_cndmask_b32_e64 v19, v19, v22, s[2:3]
	v_add_u32_e32 v22, 1, v18
	v_cmp_le_u32_e64 s[2:3], s10, v19
	v_cndmask_b32_e64 v22, v18, v22, s[2:3]
	v_mul_lo_u32 v18, v22, s10
	v_sub_u32_e32 v18, v0, v18
	v_cmp_eq_u32_e64 s[2:3], 0, v18
	s_and_b64 s[10:11], s[2:3], vcc
	s_mov_b64 s[2:3], 0
                                        ; implicit-def: $vgpr18_vgpr19
	s_and_saveexec_b64 s[18:19], s[10:11]
	s_xor_b64 s[10:11], exec, s[18:19]
	s_cbranch_execz .LBB57_42
; %bb.34:
	s_bitcmp0_b32 s15, 0
	s_cbranch_scc0 .LBB57_39
; %bb.35:
	s_ashr_i32 s2, s9, 31
	s_mul_hi_u32 s3, s9, s6
	s_mul_i32 s2, s2, s6
	s_add_i32 s19, s3, s2
	s_mul_i32 s18, s9, s6
	s_mov_b32 s15, s12
	s_or_b64 s[2:3], s[18:19], s[14:15]
	s_mov_b32 s2, 0
	s_cmp_lg_u64 s[2:3], 0
	s_cbranch_scc0 .LBB57_50
; %bb.36:
	s_add_u32 s2, s14, s15
	s_mov_b32 s24, s15
	s_mov_b32 s25, s15
	s_addc_u32 s3, s15, s15
	s_xor_b64 s[26:27], s[2:3], s[24:25]
	v_cvt_f32_u32_e32 v18, s26
	v_cvt_f32_u32_e32 v19, s27
	s_sub_u32 s2, 0, s26
	s_subb_u32 s3, 0, s27
	v_madmk_f32 v18, v19, 0x4f800000, v18
	v_rcp_f32_e32 v18, v18
	v_mul_f32_e32 v18, 0x5f7ffffc, v18
	v_mul_f32_e32 v19, 0x2f800000, v18
	v_trunc_f32_e32 v19, v19
	v_madmk_f32 v18, v19, 0xcf800000, v18
	v_cvt_u32_f32_e32 v19, v19
	v_cvt_u32_f32_e32 v18, v18
	v_readfirstlane_b32 s12, v19
	v_readfirstlane_b32 s15, v18
	s_mul_i32 s28, s2, s12
	s_mul_hi_u32 s30, s2, s15
	s_mul_i32 s29, s3, s15
	s_add_i32 s28, s30, s28
	s_add_i32 s28, s28, s29
	s_mul_i32 s31, s2, s15
	s_mul_hi_u32 s29, s15, s28
	s_mul_i32 s30, s15, s28
	s_mul_hi_u32 s15, s15, s31
	s_add_u32 s15, s15, s30
	s_addc_u32 s29, 0, s29
	s_mul_hi_u32 s33, s12, s31
	s_mul_i32 s31, s12, s31
	s_add_u32 s15, s15, s31
	s_mul_hi_u32 s30, s12, s28
	s_addc_u32 s15, s29, s33
	s_addc_u32 s29, s30, 0
	s_mul_i32 s28, s12, s28
	s_add_u32 s15, s15, s28
	s_addc_u32 s28, 0, s29
	v_add_co_u32_e32 v18, vcc, s15, v18
	s_cmp_lg_u64 vcc, 0
	s_addc_u32 s12, s12, s28
	v_readfirstlane_b32 s28, v18
	s_mul_i32 s15, s2, s12
	s_mul_hi_u32 s29, s2, s28
	s_add_i32 s15, s29, s15
	s_mul_i32 s3, s3, s28
	s_add_i32 s15, s15, s3
	s_mul_i32 s2, s2, s28
	s_mul_hi_u32 s29, s12, s2
	s_mul_i32 s30, s12, s2
	s_mul_i32 s33, s28, s15
	s_mul_hi_u32 s2, s28, s2
	s_mul_hi_u32 s31, s28, s15
	s_add_u32 s2, s2, s33
	s_addc_u32 s28, 0, s31
	s_add_u32 s2, s2, s30
	s_mul_hi_u32 s3, s12, s15
	s_addc_u32 s2, s28, s29
	s_addc_u32 s3, s3, 0
	s_mul_i32 s15, s12, s15
	s_add_u32 s2, s2, s15
	s_addc_u32 s3, 0, s3
	v_add_co_u32_e32 v18, vcc, s2, v18
	s_cmp_lg_u64 vcc, 0
	s_addc_u32 s12, s12, s3
	s_ashr_i32 s28, s19, 31
	s_add_u32 s2, s18, s28
	s_mov_b32 s29, s28
	s_addc_u32 s3, s19, s28
	s_xor_b64 s[30:31], s[2:3], s[28:29]
	v_readfirstlane_b32 s15, v18
	s_mul_i32 s3, s30, s12
	s_mul_hi_u32 s19, s30, s15
	s_mul_hi_u32 s2, s30, s12
	s_add_u32 s3, s19, s3
	s_addc_u32 s2, 0, s2
	s_mul_hi_u32 s33, s31, s15
	s_mul_i32 s15, s31, s15
	s_add_u32 s3, s3, s15
	s_mul_hi_u32 s19, s31, s12
	s_addc_u32 s2, s2, s33
	s_addc_u32 s3, s19, 0
	s_mul_i32 s12, s31, s12
	s_add_u32 s12, s2, s12
	s_addc_u32 s15, 0, s3
	s_mul_i32 s2, s26, s15
	s_mul_hi_u32 s3, s26, s12
	s_add_i32 s2, s3, s2
	s_mul_i32 s3, s27, s12
	s_add_i32 s19, s2, s3
	s_mul_i32 s3, s26, s12
	v_mov_b32_e32 v18, s3
	s_sub_i32 s2, s31, s19
	v_sub_co_u32_e32 v18, vcc, s30, v18
	s_cmp_lg_u64 vcc, 0
	s_subb_u32 s30, s2, s27
	v_subrev_co_u32_e64 v19, s[2:3], s26, v18
	s_cmp_lg_u64 s[2:3], 0
	s_subb_u32 s30, s30, 0
	s_cmp_ge_u32 s30, s27
	s_cselect_b32 s33, -1, 0
	v_cmp_le_u32_e64 s[2:3], s26, v19
	s_cmp_eq_u32 s30, s27
	v_cndmask_b32_e64 v19, 0, -1, s[2:3]
	v_mov_b32_e32 v23, s33
	s_cselect_b64 s[2:3], -1, 0
	v_cndmask_b32_e64 v19, v23, v19, s[2:3]
	s_add_u32 s2, s12, 1
	s_addc_u32 s30, s15, 0
	s_add_u32 s3, s12, 2
	s_addc_u32 s33, s15, 0
	v_mov_b32_e32 v23, s2
	v_mov_b32_e32 v24, s3
	v_cmp_ne_u32_e64 s[2:3], 0, v19
	v_cndmask_b32_e64 v19, v23, v24, s[2:3]
	v_mov_b32_e32 v23, s30
	v_mov_b32_e32 v24, s33
	s_cmp_lg_u64 vcc, 0
	v_cndmask_b32_e64 v23, v23, v24, s[2:3]
	s_subb_u32 s2, s31, s19
	s_cmp_ge_u32 s2, s27
	s_cselect_b32 s3, -1, 0
	v_cmp_le_u32_e32 vcc, s26, v18
	s_cmp_eq_u32 s2, s27
	v_cndmask_b32_e64 v18, 0, -1, vcc
	v_mov_b32_e32 v24, s3
	s_cselect_b64 vcc, -1, 0
	v_cndmask_b32_e32 v18, v24, v18, vcc
	v_mov_b32_e32 v24, s15
	v_cmp_ne_u32_e32 vcc, 0, v18
	v_cndmask_b32_e32 v18, v24, v23, vcc
	v_mov_b32_e32 v23, s12
	v_cndmask_b32_e32 v19, v23, v19, vcc
	s_xor_b64 s[2:3], s[28:29], s[24:25]
	v_xor_b32_e32 v19, s2, v19
	v_xor_b32_e32 v23, s3, v18
	v_mov_b32_e32 v24, s3
	v_subrev_co_u32_e32 v18, vcc, s2, v19
	v_subb_co_u32_e32 v19, vcc, v23, v24, vcc
	s_cbranch_execnz .LBB57_38
.LBB57_37:
	v_cvt_f32_u32_e32 v18, s14
	s_sub_i32 s2, 0, s14
	s_mov_b32 s3, 0
	v_rcp_iflag_f32_e32 v18, v18
	v_mul_f32_e32 v18, 0x4f7ffffe, v18
	v_cvt_u32_f32_e32 v18, v18
	v_readfirstlane_b32 s12, v18
	s_mul_i32 s2, s2, s12
	s_mul_hi_u32 s2, s12, s2
	s_add_i32 s12, s12, s2
	s_mul_hi_u32 s2, s18, s12
	s_mul_i32 s15, s2, s14
	s_sub_i32 s15, s18, s15
	s_add_i32 s12, s2, 1
	s_sub_i32 s18, s15, s14
	s_cmp_ge_u32 s15, s14
	s_cselect_b32 s2, s12, s2
	s_cselect_b32 s15, s18, s15
	s_add_i32 s12, s2, 1
	s_cmp_ge_u32 s15, s14
	s_cselect_b32 s2, s12, s2
	v_pk_mov_b32 v[18:19], s[2:3], s[2:3] op_sel:[0,1]
.LBB57_38:
	v_add_co_u32_e32 v18, vcc, v18, v22
	v_addc_co_u32_e32 v19, vcc, 0, v19, vcc
	s_branch .LBB57_41
.LBB57_39:
                                        ; implicit-def: $vgpr18_vgpr19
	s_cbranch_execz .LBB57_41
; %bb.40:
	v_mul_lo_u32 v18, v22, s8
	v_ashrrev_i32_e32 v19, 31, v18
	v_mov_b32_e32 v22, s7
	v_add_co_u32_e32 v18, vcc, s6, v18
	v_addc_co_u32_e32 v19, vcc, v19, v22, vcc
.LBB57_41:
	s_mov_b64 s[2:3], exec
.LBB57_42:
	s_or_b64 exec, exec, s[10:11]
	s_and_b64 vcc, exec, s[4:5]
	s_cbranch_vccz .LBB57_46
.LBB57_43:
	v_mov_b32_dpp v18, v20 quad_perm:[1,0,3,2] row_mask:0xf bank_mask:0xf
	v_cmp_gt_f32_e32 vcc, v20, v18
	v_cndmask_b32_e32 v18, v18, v20, vcc
	s_nop 1
	v_mov_b32_dpp v19, v18 quad_perm:[2,3,0,1] row_mask:0xf bank_mask:0xf
	v_cmp_gt_f32_e32 vcc, v18, v19
	v_cndmask_b32_e32 v18, v19, v18, vcc
	s_nop 1
	v_mov_b32_dpp v19, v18 row_half_mirror row_mask:0xf bank_mask:0xf
	v_cmp_gt_f32_e32 vcc, v18, v19
	v_cndmask_b32_e32 v18, v19, v18, vcc
	s_nop 1
	v_mov_b32_dpp v19, v18 row_mirror row_mask:0xf bank_mask:0xf
	v_cmp_gt_f32_e32 vcc, v18, v19
	v_cndmask_b32_e32 v18, v19, v18, vcc
	s_nop 1
	v_mov_b32_dpp v19, v18 row_bcast:15 row_mask:0xf bank_mask:0xf
	v_cmp_gt_f32_e32 vcc, v18, v19
	v_cndmask_b32_e32 v18, v19, v18, vcc
	s_nop 1
	v_mov_b32_dpp v19, v18 row_bcast:31 row_mask:0xf bank_mask:0xf
	s_and_saveexec_b64 s[2:3], s[0:1]
	s_cbranch_execz .LBB57_45
; %bb.44:
	v_lshrrev_b32_e32 v20, 4, v0
	v_cmp_gt_f32_e32 vcc, v18, v19
	v_and_b32_e32 v20, 60, v20
	v_cndmask_b32_e32 v18, v19, v18, vcc
	ds_write_b32 v20, v18
.LBB57_45:
	s_or_b64 exec, exec, s[2:3]
	s_waitcnt lgkmcnt(0)
	s_barrier
	ds_read_b32 v18, v26
	v_cmp_eq_u32_e64 s[2:3], 0, v0
	s_waitcnt lgkmcnt(0)
	v_mov_b32_dpp v19, v18 quad_perm:[1,0,3,2] row_mask:0xf bank_mask:0xf
	v_cmp_gt_f32_e32 vcc, v18, v19
	v_cndmask_b32_e32 v18, v19, v18, vcc
	s_nop 1
	v_mov_b32_dpp v19, v18 quad_perm:[2,3,0,1] row_mask:0xf bank_mask:0xf
	v_cmp_gt_f32_e32 vcc, v18, v19
	v_cndmask_b32_e32 v18, v19, v18, vcc
	s_nop 1
	v_mov_b32_dpp v19, v18 row_half_mirror row_mask:0xf bank_mask:0xf
	v_cmp_gt_f32_e32 vcc, v18, v19
	v_cndmask_b32_e32 v18, v19, v18, vcc
	v_mul_f32_e32 v21, 0x3c010204, v18
	v_pk_mov_b32 v[18:19], s[6:7], s[6:7] op_sel:[0,1]
.LBB57_46:
	s_and_saveexec_b64 s[0:1], s[2:3]
	s_cbranch_execz .LBB57_48
; %bb.47:
	v_lshlrev_b64 v[18:19], 2, v[18:19]
	v_mov_b32_e32 v0, s21
	v_add_co_u32_e32 v18, vcc, s20, v18
	v_addc_co_u32_e32 v19, vcc, v0, v19, vcc
	global_store_dword v[18:19], v21, off
.LBB57_48:
	s_or_b64 exec, exec, s[0:1]
	s_add_i32 s0, s9, 3
	s_ashr_i32 s1, s0, 31
	s_lshr_b32 s1, s1, 30
	;;#ASMSTART
	v_rcp_f32 v18, v21
	;;#ASMEND
	v_mov_b32_e32 v19, v18
	;;#ASMSTART
	v_pk_mul_f32 v[16:17], v[16:17], v[18:19]
	;;#ASMEND
	;;#ASMSTART
	v_pk_mul_f32 v[14:15], v[14:15], v[18:19]
	;;#ASMEND
	s_add_i32 s0, s0, s1
	v_cvt_i32_f32_e32 v0, v16
	v_cvt_i32_f32_sdwa v16, v17 dst_sel:BYTE_1 dst_unused:UNUSED_PAD src0_sel:DWORD
	v_cvt_i32_f32_e32 v14, v14
	v_cvt_i32_f32_sdwa v15, v15 dst_sel:BYTE_1 dst_unused:UNUSED_PAD src0_sel:DWORD
	;;#ASMSTART
	v_pk_mul_f32 v[10:11], v[10:11], v[18:19]
	;;#ASMEND
	;;#ASMSTART
	v_pk_mul_f32 v[8:9], v[8:9], v[18:19]
	;;#ASMEND
	s_and_b32 s2, s0, -4
	s_ashr_i32 s0, s13, 31
	v_cvt_i32_f32_e32 v10, v10
	v_cvt_i32_f32_sdwa v11, v11 dst_sel:BYTE_1 dst_unused:UNUSED_PAD src0_sel:DWORD
	v_cvt_i32_f32_e32 v17, v8
	v_cvt_i32_f32_sdwa v9, v9 dst_sel:BYTE_1 dst_unused:UNUSED_PAD src0_sel:DWORD
	s_mul_hi_u32 s1, s13, s6
	s_mul_i32 s0, s0, s6
	s_add_i32 s1, s1, s0
	s_mul_i32 s0, s13, s6
	s_add_u32 s0, s16, s0
	v_or_b32_sdwa v0, v0, v16 dst_sel:DWORD dst_unused:UNUSED_PAD src0_sel:BYTE_0 src1_sel:DWORD
	v_or_b32_sdwa v8, v14, v15 dst_sel:WORD_1 dst_unused:UNUSED_PAD src0_sel:BYTE_0 src1_sel:DWORD
	s_addc_u32 s1, s17, s1
	v_or_b32_sdwa v8, v0, v8 dst_sel:DWORD dst_unused:UNUSED_PAD src0_sel:WORD_0 src1_sel:DWORD
	v_or_b32_sdwa v0, v10, v11 dst_sel:DWORD dst_unused:UNUSED_PAD src0_sel:BYTE_0 src1_sel:DWORD
	v_or_b32_sdwa v9, v17, v9 dst_sel:WORD_1 dst_unused:UNUSED_PAD src0_sel:BYTE_0 src1_sel:DWORD
	s_and_b32 s1, s1, 0xffff
	s_mov_b32 s3, 0x20000
	v_or_b32_sdwa v9, v0, v9 dst_sel:DWORD dst_unused:UNUSED_PAD src0_sel:WORD_0 src1_sel:DWORD
	buffer_store_dwordx2 v[8:9], v1, s[0:3], 0 offen
	;;#ASMSTART
	s_nop 0
	;;#ASMEND
	;;#ASMSTART
	v_pk_mul_f32 v[8:9], v[12:13], v[18:19]
	;;#ASMEND
	;;#ASMSTART
	v_pk_mul_f32 v[6:7], v[6:7], v[18:19]
	;;#ASMEND
	v_cvt_i32_f32_e32 v0, v8
	v_cvt_i32_f32_sdwa v8, v9 dst_sel:BYTE_1 dst_unused:UNUSED_PAD src0_sel:DWORD
	v_cvt_i32_f32_e32 v6, v6
	v_cvt_i32_f32_sdwa v7, v7 dst_sel:BYTE_1 dst_unused:UNUSED_PAD src0_sel:DWORD
	;;#ASMSTART
	v_pk_mul_f32 v[4:5], v[4:5], v[18:19]
	;;#ASMEND
	;;#ASMSTART
	v_pk_mul_f32 v[2:3], v[2:3], v[18:19]
	;;#ASMEND
	v_cvt_i32_f32_e32 v4, v4
	v_cvt_i32_f32_sdwa v5, v5 dst_sel:BYTE_1 dst_unused:UNUSED_PAD src0_sel:DWORD
	v_cvt_i32_f32_e32 v9, v2
	v_cvt_i32_f32_sdwa v3, v3 dst_sel:BYTE_1 dst_unused:UNUSED_PAD src0_sel:DWORD
	v_or_b32_sdwa v0, v0, v8 dst_sel:DWORD dst_unused:UNUSED_PAD src0_sel:BYTE_0 src1_sel:DWORD
	v_or_b32_sdwa v2, v6, v7 dst_sel:WORD_1 dst_unused:UNUSED_PAD src0_sel:BYTE_0 src1_sel:DWORD
	v_or_b32_sdwa v2, v0, v2 dst_sel:DWORD dst_unused:UNUSED_PAD src0_sel:WORD_0 src1_sel:DWORD
	v_or_b32_sdwa v0, v4, v5 dst_sel:DWORD dst_unused:UNUSED_PAD src0_sel:BYTE_0 src1_sel:DWORD
	v_or_b32_sdwa v3, v9, v3 dst_sel:WORD_1 dst_unused:UNUSED_PAD src0_sel:BYTE_0 src1_sel:DWORD
	v_or_b32_sdwa v3, v0, v3 dst_sel:DWORD dst_unused:UNUSED_PAD src0_sel:WORD_0 src1_sel:DWORD
	s_movk_i32 s4, 0x200
	buffer_store_dwordx2 v[2:3], v1, s[0:3], s4 offen
	;;#ASMSTART
	s_nop 0
	;;#ASMEND
.LBB57_49:
	s_endpgm
.LBB57_50:
                                        ; implicit-def: $vgpr18_vgpr19
	s_branch .LBB57_37
	.section	.rodata,"a",@progbits
	.p2align	6, 0x0
	.amdhsa_kernel _ZN5aiter24add_rmsnorm_quant_kernelIDF16_aLi512ELi16ELb1ELb1ELb1ELi1EEEvPT0_PT_PfS4_S4_S4_diiiiiiib
		.amdhsa_group_segment_fixed_size 64
		.amdhsa_private_segment_fixed_size 0
		.amdhsa_kernarg_size 88
		.amdhsa_user_sgpr_count 6
		.amdhsa_user_sgpr_private_segment_buffer 1
		.amdhsa_user_sgpr_dispatch_ptr 0
		.amdhsa_user_sgpr_queue_ptr 0
		.amdhsa_user_sgpr_kernarg_segment_ptr 1
		.amdhsa_user_sgpr_dispatch_id 0
		.amdhsa_user_sgpr_flat_scratch_init 0
		.amdhsa_user_sgpr_kernarg_preload_length 0
		.amdhsa_user_sgpr_kernarg_preload_offset 0
		.amdhsa_user_sgpr_private_segment_size 0
		.amdhsa_uses_dynamic_stack 0
		.amdhsa_system_sgpr_private_segment_wavefront_offset 0
		.amdhsa_system_sgpr_workgroup_id_x 1
		.amdhsa_system_sgpr_workgroup_id_y 0
		.amdhsa_system_sgpr_workgroup_id_z 0
		.amdhsa_system_sgpr_workgroup_info 0
		.amdhsa_system_vgpr_workitem_id 0
		.amdhsa_next_free_vgpr 48
		.amdhsa_next_free_sgpr 40
		.amdhsa_accum_offset 48
		.amdhsa_reserve_vcc 1
		.amdhsa_reserve_flat_scratch 0
		.amdhsa_float_round_mode_32 0
		.amdhsa_float_round_mode_16_64 0
		.amdhsa_float_denorm_mode_32 3
		.amdhsa_float_denorm_mode_16_64 3
		.amdhsa_dx10_clamp 1
		.amdhsa_ieee_mode 1
		.amdhsa_fp16_overflow 0
		.amdhsa_tg_split 0
		.amdhsa_exception_fp_ieee_invalid_op 0
		.amdhsa_exception_fp_denorm_src 0
		.amdhsa_exception_fp_ieee_div_zero 0
		.amdhsa_exception_fp_ieee_overflow 0
		.amdhsa_exception_fp_ieee_underflow 0
		.amdhsa_exception_fp_ieee_inexact 0
		.amdhsa_exception_int_div_zero 0
	.end_amdhsa_kernel
	.section	.text._ZN5aiter24add_rmsnorm_quant_kernelIDF16_aLi512ELi16ELb1ELb1ELb1ELi1EEEvPT0_PT_PfS4_S4_S4_diiiiiiib,"axG",@progbits,_ZN5aiter24add_rmsnorm_quant_kernelIDF16_aLi512ELi16ELb1ELb1ELb1ELi1EEEvPT0_PT_PfS4_S4_S4_diiiiiiib,comdat
.Lfunc_end57:
	.size	_ZN5aiter24add_rmsnorm_quant_kernelIDF16_aLi512ELi16ELb1ELb1ELb1ELi1EEEvPT0_PT_PfS4_S4_S4_diiiiiiib, .Lfunc_end57-_ZN5aiter24add_rmsnorm_quant_kernelIDF16_aLi512ELi16ELb1ELb1ELb1ELi1EEEvPT0_PT_PfS4_S4_S4_diiiiiiib
                                        ; -- End function
	.section	.AMDGPU.csdata,"",@progbits
; Kernel info:
; codeLenInByte = 4020
; NumSgprs: 44
; NumVgprs: 48
; NumAgprs: 0
; TotalNumVgprs: 48
; ScratchSize: 0
; MemoryBound: 0
; FloatMode: 240
; IeeeMode: 1
; LDSByteSize: 64 bytes/workgroup (compile time only)
; SGPRBlocks: 5
; VGPRBlocks: 5
; NumSGPRsForWavesPerEU: 44
; NumVGPRsForWavesPerEU: 48
; AccumOffset: 48
; Occupancy: 8
; WaveLimiterHint : 0
; COMPUTE_PGM_RSRC2:SCRATCH_EN: 0
; COMPUTE_PGM_RSRC2:USER_SGPR: 6
; COMPUTE_PGM_RSRC2:TRAP_HANDLER: 0
; COMPUTE_PGM_RSRC2:TGID_X_EN: 1
; COMPUTE_PGM_RSRC2:TGID_Y_EN: 0
; COMPUTE_PGM_RSRC2:TGID_Z_EN: 0
; COMPUTE_PGM_RSRC2:TIDIG_COMP_CNT: 0
; COMPUTE_PGM_RSRC3_GFX90A:ACCUM_OFFSET: 11
; COMPUTE_PGM_RSRC3_GFX90A:TG_SPLIT: 0
	.section	.text._ZN5aiter24add_rmsnorm_quant_kernelItaLi512ELi16ELb1ELb1ELb1ELi1EEEvPT0_PT_PfS4_S4_S4_diiiiiiib,"axG",@progbits,_ZN5aiter24add_rmsnorm_quant_kernelItaLi512ELi16ELb1ELb1ELb1ELi1EEEvPT0_PT_PfS4_S4_S4_diiiiiiib,comdat
	.protected	_ZN5aiter24add_rmsnorm_quant_kernelItaLi512ELi16ELb1ELb1ELb1ELi1EEEvPT0_PT_PfS4_S4_S4_diiiiiiib ; -- Begin function _ZN5aiter24add_rmsnorm_quant_kernelItaLi512ELi16ELb1ELb1ELb1ELi1EEEvPT0_PT_PfS4_S4_S4_diiiiiiib
	.globl	_ZN5aiter24add_rmsnorm_quant_kernelItaLi512ELi16ELb1ELb1ELb1ELi1EEEvPT0_PT_PfS4_S4_S4_diiiiiiib
	.p2align	8
	.type	_ZN5aiter24add_rmsnorm_quant_kernelItaLi512ELi16ELb1ELb1ELb1ELi1EEEvPT0_PT_PfS4_S4_S4_diiiiiiib,@function
_ZN5aiter24add_rmsnorm_quant_kernelItaLi512ELi16ELb1ELb1ELb1ELi1EEEvPT0_PT_PfS4_S4_S4_diiiiiiib: ; @_ZN5aiter24add_rmsnorm_quant_kernelItaLi512ELi16ELb1ELb1ELb1ELi1EEEvPT0_PT_PfS4_S4_S4_diiiiiiib
; %bb.0:
	s_load_dwordx8 s[8:15], s[4:5], 0x38
	s_mov_b32 s7, 0
	s_waitcnt lgkmcnt(0)
	s_ashr_i32 s0, s8, 31
	v_mov_b32_e32 v2, s8
	v_mov_b32_e32 v3, s0
	v_cmp_ge_i64_e32 vcc, s[6:7], v[2:3]
	s_cbranch_vccnz .LBB58_49
; %bb.1:
	s_load_dwordx8 s[16:23], s[4:5], 0x0
	s_ashr_i32 s0, s10, 31
	s_mul_hi_u32 s1, s10, s6
	s_mul_i32 s0, s0, s6
	s_add_i32 s1, s1, s0
	s_mul_i32 s0, s10, s6
	s_lshl_b64 s[0:1], s[0:1], 1
	s_waitcnt lgkmcnt(0)
	s_add_u32 s0, s22, s0
	s_addc_u32 s1, s23, s1
	s_add_i32 s2, s9, 1
	s_lshr_b32 s3, s2, 31
	v_lshlrev_b32_e32 v27, 4, v0
	s_add_i32 s2, s2, s3
	v_lshlrev_b32_e32 v1, 3, v0
	v_and_b32_e32 v2, 0x3c00, v27
	s_movk_i32 s10, 0x1f8
	s_lshl_b32 s2, s2, 1
	v_and_or_b32 v1, v1, s10, v2
	s_load_dwordx8 s[24:31], s[4:5], 0x20
	s_and_b32 s2, s2, -4
	s_and_b32 s1, s1, 0xffff
	s_mov_b32 s3, 0x20000
	v_lshlrev_b32_e32 v26, 1, v1
	s_movk_i32 s10, 0x400
	buffer_load_dwordx4 v[18:21], v26, s[0:3], s10 offen glc slc
	buffer_load_dwordx4 v[10:13], v26, s[0:3], 0 offen glc slc
	s_ashr_i32 s0, s11, 31
	s_mul_hi_u32 s1, s11, s6
	s_mul_i32 s0, s0, s6
	s_add_i32 s1, s1, s0
	s_mul_i32 s0, s11, s6
	s_waitcnt lgkmcnt(0)
	s_and_b32 s37, s27, 0xffff
	s_lshl_b64 s[0:1], s[0:1], 1
	s_add_u32 s0, s24, s0
	s_addc_u32 s1, s25, s1
	s_and_b32 s1, s1, 0xffff
	buffer_load_dwordx4 v[22:25], v26, s[0:3], s10 offen glc slc
	buffer_load_dwordx4 v[14:17], v26, s[0:3], 0 offen glc slc
	s_mov_b32 s39, s3
	s_mov_b32 s36, s26
	;; [unrolled: 1-line block ×3, first 2 shown]
	buffer_load_dwordx4 v[6:9], v26, s[36:39], 0 offen
	buffer_load_dwordx4 v[2:5], v26, s[36:39], s10 offen
	s_ashr_i32 s5, s12, 31
	s_mul_hi_u32 s1, s12, s6
	s_mul_i32 s5, s5, s6
	s_mul_i32 s0, s12, s6
	s_add_i32 s1, s1, s5
	s_lshl_b64 s[0:1], s[0:1], 1
	s_add_u32 s0, s18, s0
	s_mov_b32 s4, 0x7060302
	s_addc_u32 s1, s19, s1
	s_and_b32 s1, s1, 0xffff
	s_waitcnt vmcnt(5)
	v_cvt_f32_u32_sdwa v29, v18 dst_sel:DWORD dst_unused:UNUSED_PAD src0_sel:WORD_1
	v_cvt_f32_u32_sdwa v28, v18 dst_sel:DWORD dst_unused:UNUSED_PAD src0_sel:WORD_0
	v_cvt_f32_u32_sdwa v31, v19 dst_sel:DWORD dst_unused:UNUSED_PAD src0_sel:WORD_1
	v_cvt_f32_u32_sdwa v30, v19 dst_sel:DWORD dst_unused:UNUSED_PAD src0_sel:WORD_0
	v_cvt_f32_u32_sdwa v19, v20 dst_sel:DWORD dst_unused:UNUSED_PAD src0_sel:WORD_1
	v_cvt_f32_u32_sdwa v18, v20 dst_sel:DWORD dst_unused:UNUSED_PAD src0_sel:WORD_0
	v_cvt_f32_u32_sdwa v33, v21 dst_sel:DWORD dst_unused:UNUSED_PAD src0_sel:WORD_1
	v_cvt_f32_u32_sdwa v32, v21 dst_sel:DWORD dst_unused:UNUSED_PAD src0_sel:WORD_0
	s_waitcnt vmcnt(4)
	v_cvt_f32_u32_sdwa v21, v10 dst_sel:DWORD dst_unused:UNUSED_PAD src0_sel:WORD_1
	v_cvt_f32_u32_sdwa v20, v10 dst_sel:DWORD dst_unused:UNUSED_PAD src0_sel:WORD_0
	v_cvt_f32_u32_sdwa v35, v11 dst_sel:DWORD dst_unused:UNUSED_PAD src0_sel:WORD_1
	v_cvt_f32_u32_sdwa v34, v11 dst_sel:DWORD dst_unused:UNUSED_PAD src0_sel:WORD_0
	v_cvt_f32_u32_sdwa v37, v12 dst_sel:DWORD dst_unused:UNUSED_PAD src0_sel:WORD_1
	v_cvt_f32_u32_sdwa v36, v12 dst_sel:DWORD dst_unused:UNUSED_PAD src0_sel:WORD_0
	v_cvt_f32_u32_sdwa v39, v13 dst_sel:DWORD dst_unused:UNUSED_PAD src0_sel:WORD_1
	v_cvt_f32_u32_sdwa v38, v13 dst_sel:DWORD dst_unused:UNUSED_PAD src0_sel:WORD_0
	;; [unrolled: 9-line block ×4, first 2 shown]
	v_pk_add_f32 v[14:15], v[30:31], v[12:13]
	v_pk_add_f32 v[12:13], v[18:19], v[22:23]
	;; [unrolled: 1-line block ×8, first 2 shown]
	v_perm_b32 v31, v19, v18, s4
	v_perm_b32 v30, v21, v20, s4
	;; [unrolled: 1-line block ×6, first 2 shown]
	buffer_store_dwordx4 v[28:31], v26, s[0:3], 0 offen glc slc
	;;#ASMSTART
	s_nop 0
	;;#ASMEND
	v_pk_mul_f32 v[34:35], v[18:19], v[18:19]
	v_perm_b32 v31, v15, v14, s4
	v_perm_b32 v30, v17, v16, s4
	v_pk_mul_f32 v[28:29], v[24:25], v[24:25]
	buffer_store_dwordx4 v[30:33], v26, s[0:3], s10 offen glc slc
	v_pk_mul_f32 v[30:31], v[22:23], v[22:23]
	v_add_f32_e32 v26, v28, v29
	v_add_f32_e32 v26, v30, v26
	v_pk_mul_f32 v[32:33], v[20:21], v[20:21]
	v_add_f32_e32 v26, v31, v26
	v_add_f32_e32 v26, v32, v26
	v_add_f32_e32 v26, v33, v26
	v_add_f32_e32 v26, v34, v26
	v_pk_mul_f32 v[36:37], v[16:17], v[16:17]
	v_add_f32_e32 v26, v35, v26
	v_add_f32_e32 v26, v36, v26
	v_pk_mul_f32 v[38:39], v[14:15], v[14:15]
	v_add_f32_e32 v26, v37, v26
	v_add_f32_e32 v26, v38, v26
	;; [unrolled: 3-line block ×4, first 2 shown]
	v_add_f32_e32 v26, v43, v26
	v_and_b32_e32 v29, 63, v0
	v_cmp_eq_u32_e64 s[0:1], 63, v29
	v_mov_b32_dpp v28, v26 quad_perm:[1,0,3,2] row_mask:0xf bank_mask:0xf
	v_add_f32_e32 v26, v26, v28
	;;#ASMSTART
	s_nop 0
	;;#ASMEND
	s_nop 1
	v_mov_b32_dpp v28, v26 quad_perm:[2,3,0,1] row_mask:0xf bank_mask:0xf
	v_add_f32_e32 v26, v26, v28
	s_nop 1
	v_mov_b32_dpp v28, v26 row_half_mirror row_mask:0xf bank_mask:0xf
	v_add_f32_e32 v26, v26, v28
	s_nop 1
	v_mov_b32_dpp v28, v26 row_mirror row_mask:0xf bank_mask:0xf
	v_add_f32_e32 v26, v26, v28
	s_nop 1
	v_mov_b32_dpp v28, v26 row_bcast:15 row_mask:0xf bank_mask:0xf
	v_add_f32_e32 v26, v26, v28
	s_nop 1
	v_mov_b32_dpp v28, v26 row_bcast:31 row_mask:0xf bank_mask:0xf
	s_and_saveexec_b64 s[2:3], s[0:1]
	s_cbranch_execz .LBB58_3
; %bb.2:
	v_lshrrev_b32_e32 v29, 4, v0
	v_and_b32_e32 v29, 60, v29
	v_add_f32_e32 v26, v26, v28
	ds_write_b32 v29, v26 offset:32
.LBB58_3:
	s_or_b64 exec, exec, s[2:3]
	v_and_b32_e32 v26, 7, v0
	v_lshlrev_b32_e32 v26, 2, v26
	s_waitcnt lgkmcnt(0)
	s_barrier
	ds_read_b32 v28, v26 offset:32
	v_cvt_f32_i32_e32 v29, s9
	s_waitcnt vmcnt(3)
	v_cvt_f32_u32_sdwa v37, v9 dst_sel:DWORD dst_unused:UNUSED_PAD src0_sel:WORD_1
	v_cvt_f32_u32_sdwa v36, v9 dst_sel:DWORD dst_unused:UNUSED_PAD src0_sel:WORD_0
	s_cmp_lg_u32 s14, 0
	s_waitcnt lgkmcnt(0)
	v_mov_b32_dpp v30, v28 quad_perm:[1,0,3,2] row_mask:0xf bank_mask:0xf
	v_add_f32_e32 v28, v28, v30
	s_nop 1
	v_mov_b32_dpp v30, v28 quad_perm:[2,3,0,1] row_mask:0xf bank_mask:0xf
	v_add_f32_e32 v28, v28, v30
	s_nop 1
	v_mov_b32_dpp v30, v28 row_half_mirror row_mask:0xf bank_mask:0xf
	v_add_f32_e32 v28, v28, v30
	v_div_scale_f32 v30, s[2:3], v29, v29, v28
	v_rcp_f32_e32 v31, v30
	v_div_scale_f32 v32, vcc, v28, v29, v28
	s_mov_b32 s2, 0x800000
	v_fma_f32 v33, -v30, v31, 1.0
	v_fmac_f32_e32 v31, v33, v31
	v_mul_f32_e32 v33, v32, v31
	v_fma_f32 v34, -v30, v33, v32
	v_fmac_f32_e32 v33, v34, v31
	v_fma_f32 v30, -v30, v33, v32
	v_div_fmas_f32 v30, v30, v31, v33
	v_div_fixup_f32 v28, v30, v29, v28
	v_cvt_f64_f32_e32 v[28:29], v28
	v_add_f64 v[28:29], v[28:29], s[28:29]
	v_cvt_f32_f64_e32 v28, v[28:29]
	v_mul_f32_e32 v29, 0x4b800000, v28
	v_cmp_gt_f32_e32 vcc, s2, v28
	v_cndmask_b32_e32 v28, v28, v29, vcc
	v_rsq_f32_e32 v28, v28
	v_mul_f32_e32 v29, 0x45800000, v28
	v_cndmask_b32_e32 v28, v28, v29, vcc
	v_mov_b32_e32 v29, v28
	;;#ASMSTART
	v_pk_mul_f32 v[24:25], v[24:25], v[28:29]
	;;#ASMEND
	;;#ASMSTART
	v_pk_mul_f32 v[22:23], v[22:23], v[28:29]
	;;#ASMEND
	;; [unrolled: 3-line block ×8, first 2 shown]
	v_cvt_f32_u32_sdwa v11, v6 dst_sel:DWORD dst_unused:UNUSED_PAD src0_sel:WORD_1
	v_cvt_f32_u32_sdwa v10, v6 dst_sel:DWORD dst_unused:UNUSED_PAD src0_sel:WORD_0
	v_cvt_f32_u32_sdwa v13, v7 dst_sel:DWORD dst_unused:UNUSED_PAD src0_sel:WORD_1
	v_cvt_f32_u32_sdwa v12, v7 dst_sel:DWORD dst_unused:UNUSED_PAD src0_sel:WORD_0
	;; [unrolled: 2-line block ×3, first 2 shown]
	;;#ASMSTART
	v_pk_mul_f32 v[16:17], v[24:25], v[10:11]
	;;#ASMEND
	;;#ASMSTART
	v_pk_mul_f32 v[14:15], v[22:23], v[12:13]
	;;#ASMEND
	;;#ASMSTART
	v_pk_mul_f32 v[10:11], v[20:21], v[6:7]
	;;#ASMEND
	;;#ASMSTART
	v_pk_mul_f32 v[8:9], v[18:19], v[36:37]
	;;#ASMEND
	s_waitcnt vmcnt(2)
	v_cvt_f32_u32_sdwa v7, v2 dst_sel:DWORD dst_unused:UNUSED_PAD src0_sel:WORD_1
	v_cvt_f32_u32_sdwa v6, v2 dst_sel:DWORD dst_unused:UNUSED_PAD src0_sel:WORD_0
	v_cvt_f32_u32_sdwa v19, v3 dst_sel:DWORD dst_unused:UNUSED_PAD src0_sel:WORD_1
	v_cvt_f32_u32_sdwa v18, v3 dst_sel:DWORD dst_unused:UNUSED_PAD src0_sel:WORD_0
	;; [unrolled: 2-line block ×3, first 2 shown]
	v_cvt_f32_u32_sdwa v20, v5 dst_sel:DWORD dst_unused:UNUSED_PAD src0_sel:WORD_0
	v_cvt_f32_u32_sdwa v21, v5 dst_sel:DWORD dst_unused:UNUSED_PAD src0_sel:WORD_1
	;;#ASMSTART
	v_pk_mul_f32 v[12:13], v[30:31], v[6:7]
	;;#ASMEND
	;;#ASMSTART
	v_pk_mul_f32 v[6:7], v[32:33], v[18:19]
	;;#ASMEND
	;; [unrolled: 3-line block ×4, first 2 shown]
	v_and_b32_e32 v18, 0x7fffffff, v16
	v_mov_b32_e32 v20, 0x2edbe6ff
	v_and_b32_e32 v19, 0x7fffffff, v17
	;;#ASMSTART
	v_max3_f32 v18, v20, v18, v19

	;;#ASMEND
	v_and_b32_e32 v20, 0x7fffffff, v15
	v_and_b32_e32 v19, 0x7fffffff, v14
	;;#ASMSTART
	v_max3_f32 v18, v18, v19, v20

	;;#ASMEND
	v_and_b32_e32 v20, 0x7fffffff, v11
	;; [unrolled: 6-line block ×7, first 2 shown]
	v_and_b32_e32 v19, 0x7fffffff, v2
	;;#ASMSTART
	v_max3_f32 v20, v18, v19, v20

	;;#ASMEND
	s_cbranch_scc0 .LBB58_10
; %bb.4:
	s_ashr_i32 s12, s14, 31
	s_lshr_b32 s2, s12, 28
	s_add_i32 s2, s14, s2
	s_ashr_i32 s10, s2, 4
	s_cmp_lt_i32 s10, 16
	s_cbranch_scc1 .LBB58_11
; %bb.5:
	s_cmp_lt_i32 s10, 32
	s_cbranch_scc1 .LBB58_12
; %bb.6:
	;; [unrolled: 3-line block ×3, first 2 shown]
	s_cmp_eq_u32 s10, 64
	v_mov_b32_e32 v18, v20
	s_cbranch_scc0 .LBB58_9
; %bb.8:
	s_nop 0
	v_mov_b32_dpp v18, v20 quad_perm:[1,0,3,2] row_mask:0xf bank_mask:0xf
	v_cmp_gt_f32_e32 vcc, v20, v18
	v_cndmask_b32_e32 v18, v18, v20, vcc
	v_bfrev_b32_e32 v21, 0.5
	s_nop 0
	v_mov_b32_dpp v19, v18 quad_perm:[2,3,0,1] row_mask:0xf bank_mask:0xf
	v_cmp_gt_f32_e32 vcc, v18, v19
	v_cndmask_b32_e32 v18, v19, v18, vcc
	s_nop 1
	v_mov_b32_dpp v19, v18 row_ror:4 row_mask:0xf bank_mask:0xf
	v_cmp_gt_f32_e32 vcc, v18, v19
	v_cndmask_b32_e32 v18, v19, v18, vcc
	s_nop 1
	v_mov_b32_dpp v19, v18 row_ror:8 row_mask:0xf bank_mask:0xf
	v_cmp_gt_f32_e32 vcc, v18, v19
	v_cndmask_b32_e32 v18, v19, v18, vcc
	s_nop 1
	v_mov_b32_dpp v19, v18 row_bcast:15 row_mask:0xf bank_mask:0xf
	v_cmp_gt_f32_e32 vcc, v18, v19
	v_cndmask_b32_e32 v18, v19, v18, vcc
	s_nop 1
	v_mov_b32_dpp v19, v18 row_bcast:31 row_mask:0xf bank_mask:0xf
	v_cmp_gt_f32_e32 vcc, v18, v19
	v_cndmask_b32_e32 v18, v19, v18, vcc
	v_mbcnt_lo_u32_b32 v19, -1, 0
	v_mbcnt_hi_u32_b32 v19, -1, v19
	v_lshl_or_b32 v19, v19, 2, v21
	ds_bpermute_b32 v18, v19, v18
.LBB58_9:
	s_mov_b64 s[2:3], 0
	s_branch .LBB58_14
.LBB58_10:
	s_mov_b64 s[2:3], 0
                                        ; implicit-def: $vgpr21
                                        ; implicit-def: $vgpr18_vgpr19
	s_cbranch_execnz .LBB58_43
	s_branch .LBB58_46
.LBB58_11:
                                        ; implicit-def: $vgpr18
	s_branch .LBB58_21
.LBB58_12:
                                        ; implicit-def: $vgpr18
	s_branch .LBB58_18
.LBB58_13:
	s_mov_b64 s[2:3], -1
                                        ; implicit-def: $vgpr18
.LBB58_14:
	s_andn2_b64 vcc, exec, s[2:3]
	s_cbranch_vccnz .LBB58_17
; %bb.15:
	s_cmp_eq_u32 s10, 32
	s_waitcnt lgkmcnt(0)
	v_mov_b32_e32 v18, v20
	s_cbranch_scc0 .LBB58_17
; %bb.16:
	s_nop 0
	v_mov_b32_dpp v18, v20 quad_perm:[1,0,3,2] row_mask:0xf bank_mask:0xf
	v_cmp_gt_f32_e32 vcc, v20, v18
	v_cndmask_b32_e32 v18, v18, v20, vcc
	v_mov_b32_e32 v21, 0x7c
	s_nop 0
	v_mov_b32_dpp v19, v18 quad_perm:[2,3,0,1] row_mask:0xf bank_mask:0xf
	v_cmp_gt_f32_e32 vcc, v18, v19
	v_cndmask_b32_e32 v18, v19, v18, vcc
	s_nop 1
	v_mov_b32_dpp v19, v18 row_half_mirror row_mask:0xf bank_mask:0xf
	v_cmp_gt_f32_e32 vcc, v18, v19
	v_cndmask_b32_e32 v18, v19, v18, vcc
	s_nop 1
	v_mov_b32_dpp v19, v18 row_mirror row_mask:0xf bank_mask:0xf
	v_cmp_gt_f32_e32 vcc, v18, v19
	v_cndmask_b32_e32 v18, v19, v18, vcc
	s_nop 1
	v_mov_b32_dpp v19, v18 row_bcast:15 row_mask:0xa bank_mask:0xf
	v_cmp_gt_f32_e32 vcc, v18, v19
	v_cndmask_b32_e32 v18, v19, v18, vcc
	v_mbcnt_lo_u32_b32 v19, -1, 0
	v_mbcnt_hi_u32_b32 v19, -1, v19
	v_lshl_or_b32 v19, v19, 2, v21
	ds_bpermute_b32 v18, v19, v18
.LBB58_17:
	s_cbranch_execnz .LBB58_20
.LBB58_18:
	s_cmp_eq_u32 s10, 16
	s_waitcnt lgkmcnt(0)
	v_mov_b32_e32 v18, v20
	s_cbranch_scc0 .LBB58_20
; %bb.19:
	s_nop 0
	v_mov_b32_dpp v18, v20 quad_perm:[1,0,3,2] row_mask:0xf bank_mask:0xf
	v_cmp_gt_f32_e32 vcc, v20, v18
	v_cndmask_b32_e32 v18, v18, v20, vcc
	s_nop 1
	v_mov_b32_dpp v19, v18 quad_perm:[2,3,0,1] row_mask:0xf bank_mask:0xf
	v_cmp_gt_f32_e32 vcc, v18, v19
	v_cndmask_b32_e32 v18, v19, v18, vcc
	s_nop 1
	v_mov_b32_dpp v19, v18 row_half_mirror row_mask:0xf bank_mask:0xf
	v_cmp_gt_f32_e32 vcc, v18, v19
	v_cndmask_b32_e32 v18, v19, v18, vcc
	s_nop 1
	v_mov_b32_dpp v19, v18 row_mirror row_mask:0xf bank_mask:0xf
	v_cmp_gt_f32_e32 vcc, v18, v19
	v_cndmask_b32_e32 v18, v19, v18, vcc
.LBB58_20:
	s_cbranch_execnz .LBB58_33
.LBB58_21:
	s_cmp_lt_i32 s10, 4
	s_cbranch_scc1 .LBB58_25
; %bb.22:
	s_cmp_lt_i32 s10, 8
	s_cbranch_scc1 .LBB58_26
; %bb.23:
	s_cmp_eq_u32 s10, 8
	s_waitcnt lgkmcnt(0)
	v_mov_b32_e32 v18, v20
	s_cbranch_scc0 .LBB58_27
; %bb.24:
	s_nop 0
	v_mov_b32_dpp v18, v20 quad_perm:[1,0,3,2] row_mask:0xf bank_mask:0xf
	v_cmp_gt_f32_e32 vcc, v20, v18
	v_cndmask_b32_e32 v18, v18, v20, vcc
	s_nop 1
	v_mov_b32_dpp v19, v18 quad_perm:[2,3,0,1] row_mask:0xf bank_mask:0xf
	v_cmp_gt_f32_e32 vcc, v18, v19
	v_cndmask_b32_e32 v18, v19, v18, vcc
	s_nop 1
	v_mov_b32_dpp v19, v18 row_half_mirror row_mask:0xf bank_mask:0xf
	v_cmp_gt_f32_e32 vcc, v18, v19
	v_cndmask_b32_e32 v18, v19, v18, vcc
	s_cbranch_execz .LBB58_28
	s_branch .LBB58_30
.LBB58_25:
                                        ; implicit-def: $vgpr18
	s_branch .LBB58_31
.LBB58_26:
                                        ; implicit-def: $vgpr18
	s_branch .LBB58_28
.LBB58_27:
	s_cbranch_execnz .LBB58_30
.LBB58_28:
	s_cmp_eq_u32 s10, 4
	s_waitcnt lgkmcnt(0)
	v_mov_b32_e32 v18, v20
	s_cbranch_scc0 .LBB58_30
; %bb.29:
	s_nop 0
	v_mov_b32_dpp v18, v20 quad_perm:[1,0,3,2] row_mask:0xf bank_mask:0xf
	v_cmp_gt_f32_e32 vcc, v20, v18
	v_cndmask_b32_e32 v18, v18, v20, vcc
	s_nop 1
	v_mov_b32_dpp v19, v18 quad_perm:[2,3,0,1] row_mask:0xf bank_mask:0xf
	v_cmp_gt_f32_e32 vcc, v18, v19
	v_cndmask_b32_e32 v18, v19, v18, vcc
.LBB58_30:
	s_cbranch_execnz .LBB58_33
.LBB58_31:
	s_cmp_lg_u32 s10, 2
	s_waitcnt lgkmcnt(0)
	v_mov_b32_e32 v18, v20
	s_cbranch_scc1 .LBB58_33
; %bb.32:
	s_nop 0
	v_mov_b32_dpp v18, v20 quad_perm:[1,0,3,2] row_mask:0xf bank_mask:0xf
	v_cmp_gt_f32_e32 vcc, v20, v18
	v_cndmask_b32_e32 v18, v18, v20, vcc
.LBB58_33:
	v_cvt_f32_u32_e32 v19, s10
	s_waitcnt lgkmcnt(0)
	v_mul_f32_e32 v21, 0x3c010204, v18
	s_sub_i32 s2, 0, s10
	v_cmp_gt_u32_e32 vcc, s9, v27
	v_rcp_iflag_f32_e32 v19, v19
	s_mov_b64 s[4:5], 0
	v_mul_f32_e32 v18, 0x4f7ffffe, v19
	v_cvt_u32_f32_e32 v18, v18
	v_mul_lo_u32 v19, s2, v18
	v_mul_hi_u32 v19, v18, v19
	v_add_u32_e32 v18, v18, v19
	v_mul_hi_u32 v18, v0, v18
	v_mul_lo_u32 v19, v18, s10
	v_sub_u32_e32 v19, v0, v19
	v_add_u32_e32 v22, 1, v18
	v_cmp_le_u32_e64 s[2:3], s10, v19
	v_cndmask_b32_e64 v18, v18, v22, s[2:3]
	v_subrev_u32_e32 v22, s10, v19
	v_cndmask_b32_e64 v19, v19, v22, s[2:3]
	v_add_u32_e32 v22, 1, v18
	v_cmp_le_u32_e64 s[2:3], s10, v19
	v_cndmask_b32_e64 v22, v18, v22, s[2:3]
	v_mul_lo_u32 v18, v22, s10
	v_sub_u32_e32 v18, v0, v18
	v_cmp_eq_u32_e64 s[2:3], 0, v18
	s_and_b64 s[10:11], s[2:3], vcc
	s_mov_b64 s[2:3], 0
                                        ; implicit-def: $vgpr18_vgpr19
	s_and_saveexec_b64 s[18:19], s[10:11]
	s_xor_b64 s[10:11], exec, s[18:19]
	s_cbranch_execz .LBB58_42
; %bb.34:
	s_bitcmp0_b32 s15, 0
	s_cbranch_scc0 .LBB58_39
; %bb.35:
	s_ashr_i32 s2, s9, 31
	s_mul_hi_u32 s3, s9, s6
	s_mul_i32 s2, s2, s6
	s_add_i32 s19, s3, s2
	s_mul_i32 s18, s9, s6
	s_mov_b32 s15, s12
	s_or_b64 s[2:3], s[18:19], s[14:15]
	s_mov_b32 s2, 0
	s_cmp_lg_u64 s[2:3], 0
	s_cbranch_scc0 .LBB58_50
; %bb.36:
	s_add_u32 s2, s14, s15
	s_mov_b32 s24, s15
	s_mov_b32 s25, s15
	s_addc_u32 s3, s15, s15
	s_xor_b64 s[26:27], s[2:3], s[24:25]
	v_cvt_f32_u32_e32 v18, s26
	v_cvt_f32_u32_e32 v19, s27
	s_sub_u32 s2, 0, s26
	s_subb_u32 s3, 0, s27
	v_madmk_f32 v18, v19, 0x4f800000, v18
	v_rcp_f32_e32 v18, v18
	v_mul_f32_e32 v18, 0x5f7ffffc, v18
	v_mul_f32_e32 v19, 0x2f800000, v18
	v_trunc_f32_e32 v19, v19
	v_madmk_f32 v18, v19, 0xcf800000, v18
	v_cvt_u32_f32_e32 v19, v19
	v_cvt_u32_f32_e32 v18, v18
	v_readfirstlane_b32 s12, v19
	v_readfirstlane_b32 s15, v18
	s_mul_i32 s28, s2, s12
	s_mul_hi_u32 s30, s2, s15
	s_mul_i32 s29, s3, s15
	s_add_i32 s28, s30, s28
	s_add_i32 s28, s28, s29
	s_mul_i32 s31, s2, s15
	s_mul_hi_u32 s29, s15, s28
	s_mul_i32 s30, s15, s28
	s_mul_hi_u32 s15, s15, s31
	s_add_u32 s15, s15, s30
	s_addc_u32 s29, 0, s29
	s_mul_hi_u32 s33, s12, s31
	s_mul_i32 s31, s12, s31
	s_add_u32 s15, s15, s31
	s_mul_hi_u32 s30, s12, s28
	s_addc_u32 s15, s29, s33
	s_addc_u32 s29, s30, 0
	s_mul_i32 s28, s12, s28
	s_add_u32 s15, s15, s28
	s_addc_u32 s28, 0, s29
	v_add_co_u32_e32 v18, vcc, s15, v18
	s_cmp_lg_u64 vcc, 0
	s_addc_u32 s12, s12, s28
	v_readfirstlane_b32 s28, v18
	s_mul_i32 s15, s2, s12
	s_mul_hi_u32 s29, s2, s28
	s_add_i32 s15, s29, s15
	s_mul_i32 s3, s3, s28
	s_add_i32 s15, s15, s3
	s_mul_i32 s2, s2, s28
	s_mul_hi_u32 s29, s12, s2
	s_mul_i32 s30, s12, s2
	s_mul_i32 s33, s28, s15
	s_mul_hi_u32 s2, s28, s2
	s_mul_hi_u32 s31, s28, s15
	s_add_u32 s2, s2, s33
	s_addc_u32 s28, 0, s31
	s_add_u32 s2, s2, s30
	s_mul_hi_u32 s3, s12, s15
	s_addc_u32 s2, s28, s29
	s_addc_u32 s3, s3, 0
	s_mul_i32 s15, s12, s15
	s_add_u32 s2, s2, s15
	s_addc_u32 s3, 0, s3
	v_add_co_u32_e32 v18, vcc, s2, v18
	s_cmp_lg_u64 vcc, 0
	s_addc_u32 s12, s12, s3
	s_ashr_i32 s28, s19, 31
	s_add_u32 s2, s18, s28
	s_mov_b32 s29, s28
	s_addc_u32 s3, s19, s28
	s_xor_b64 s[30:31], s[2:3], s[28:29]
	v_readfirstlane_b32 s15, v18
	s_mul_i32 s3, s30, s12
	s_mul_hi_u32 s19, s30, s15
	s_mul_hi_u32 s2, s30, s12
	s_add_u32 s3, s19, s3
	s_addc_u32 s2, 0, s2
	s_mul_hi_u32 s33, s31, s15
	s_mul_i32 s15, s31, s15
	s_add_u32 s3, s3, s15
	s_mul_hi_u32 s19, s31, s12
	s_addc_u32 s2, s2, s33
	s_addc_u32 s3, s19, 0
	s_mul_i32 s12, s31, s12
	s_add_u32 s12, s2, s12
	s_addc_u32 s15, 0, s3
	s_mul_i32 s2, s26, s15
	s_mul_hi_u32 s3, s26, s12
	s_add_i32 s2, s3, s2
	s_mul_i32 s3, s27, s12
	s_add_i32 s19, s2, s3
	s_mul_i32 s3, s26, s12
	v_mov_b32_e32 v18, s3
	s_sub_i32 s2, s31, s19
	v_sub_co_u32_e32 v18, vcc, s30, v18
	s_cmp_lg_u64 vcc, 0
	s_subb_u32 s30, s2, s27
	v_subrev_co_u32_e64 v19, s[2:3], s26, v18
	s_cmp_lg_u64 s[2:3], 0
	s_subb_u32 s30, s30, 0
	s_cmp_ge_u32 s30, s27
	s_cselect_b32 s33, -1, 0
	v_cmp_le_u32_e64 s[2:3], s26, v19
	s_cmp_eq_u32 s30, s27
	v_cndmask_b32_e64 v19, 0, -1, s[2:3]
	v_mov_b32_e32 v23, s33
	s_cselect_b64 s[2:3], -1, 0
	v_cndmask_b32_e64 v19, v23, v19, s[2:3]
	s_add_u32 s2, s12, 1
	s_addc_u32 s30, s15, 0
	s_add_u32 s3, s12, 2
	s_addc_u32 s33, s15, 0
	v_mov_b32_e32 v23, s2
	v_mov_b32_e32 v24, s3
	v_cmp_ne_u32_e64 s[2:3], 0, v19
	v_cndmask_b32_e64 v19, v23, v24, s[2:3]
	v_mov_b32_e32 v23, s30
	v_mov_b32_e32 v24, s33
	s_cmp_lg_u64 vcc, 0
	v_cndmask_b32_e64 v23, v23, v24, s[2:3]
	s_subb_u32 s2, s31, s19
	s_cmp_ge_u32 s2, s27
	s_cselect_b32 s3, -1, 0
	v_cmp_le_u32_e32 vcc, s26, v18
	s_cmp_eq_u32 s2, s27
	v_cndmask_b32_e64 v18, 0, -1, vcc
	v_mov_b32_e32 v24, s3
	s_cselect_b64 vcc, -1, 0
	v_cndmask_b32_e32 v18, v24, v18, vcc
	v_mov_b32_e32 v24, s15
	v_cmp_ne_u32_e32 vcc, 0, v18
	v_cndmask_b32_e32 v18, v24, v23, vcc
	v_mov_b32_e32 v23, s12
	v_cndmask_b32_e32 v19, v23, v19, vcc
	s_xor_b64 s[2:3], s[28:29], s[24:25]
	v_xor_b32_e32 v19, s2, v19
	v_xor_b32_e32 v23, s3, v18
	v_mov_b32_e32 v24, s3
	v_subrev_co_u32_e32 v18, vcc, s2, v19
	v_subb_co_u32_e32 v19, vcc, v23, v24, vcc
	s_cbranch_execnz .LBB58_38
.LBB58_37:
	v_cvt_f32_u32_e32 v18, s14
	s_sub_i32 s2, 0, s14
	s_mov_b32 s3, 0
	v_rcp_iflag_f32_e32 v18, v18
	v_mul_f32_e32 v18, 0x4f7ffffe, v18
	v_cvt_u32_f32_e32 v18, v18
	v_readfirstlane_b32 s12, v18
	s_mul_i32 s2, s2, s12
	s_mul_hi_u32 s2, s12, s2
	s_add_i32 s12, s12, s2
	s_mul_hi_u32 s2, s18, s12
	s_mul_i32 s15, s2, s14
	s_sub_i32 s15, s18, s15
	s_add_i32 s12, s2, 1
	s_sub_i32 s18, s15, s14
	s_cmp_ge_u32 s15, s14
	s_cselect_b32 s2, s12, s2
	s_cselect_b32 s15, s18, s15
	s_add_i32 s12, s2, 1
	s_cmp_ge_u32 s15, s14
	s_cselect_b32 s2, s12, s2
	v_pk_mov_b32 v[18:19], s[2:3], s[2:3] op_sel:[0,1]
.LBB58_38:
	v_add_co_u32_e32 v18, vcc, v18, v22
	v_addc_co_u32_e32 v19, vcc, 0, v19, vcc
	s_branch .LBB58_41
.LBB58_39:
                                        ; implicit-def: $vgpr18_vgpr19
	s_cbranch_execz .LBB58_41
; %bb.40:
	v_mul_lo_u32 v18, v22, s8
	v_ashrrev_i32_e32 v19, 31, v18
	v_mov_b32_e32 v22, s7
	v_add_co_u32_e32 v18, vcc, s6, v18
	v_addc_co_u32_e32 v19, vcc, v19, v22, vcc
.LBB58_41:
	s_mov_b64 s[2:3], exec
.LBB58_42:
	s_or_b64 exec, exec, s[10:11]
	s_and_b64 vcc, exec, s[4:5]
	s_cbranch_vccz .LBB58_46
.LBB58_43:
	v_mov_b32_dpp v18, v20 quad_perm:[1,0,3,2] row_mask:0xf bank_mask:0xf
	v_cmp_gt_f32_e32 vcc, v20, v18
	v_cndmask_b32_e32 v18, v18, v20, vcc
	s_nop 1
	v_mov_b32_dpp v19, v18 quad_perm:[2,3,0,1] row_mask:0xf bank_mask:0xf
	v_cmp_gt_f32_e32 vcc, v18, v19
	v_cndmask_b32_e32 v18, v19, v18, vcc
	s_nop 1
	v_mov_b32_dpp v19, v18 row_half_mirror row_mask:0xf bank_mask:0xf
	v_cmp_gt_f32_e32 vcc, v18, v19
	v_cndmask_b32_e32 v18, v19, v18, vcc
	s_nop 1
	v_mov_b32_dpp v19, v18 row_mirror row_mask:0xf bank_mask:0xf
	v_cmp_gt_f32_e32 vcc, v18, v19
	v_cndmask_b32_e32 v18, v19, v18, vcc
	s_nop 1
	v_mov_b32_dpp v19, v18 row_bcast:15 row_mask:0xf bank_mask:0xf
	v_cmp_gt_f32_e32 vcc, v18, v19
	v_cndmask_b32_e32 v18, v19, v18, vcc
	s_nop 1
	v_mov_b32_dpp v19, v18 row_bcast:31 row_mask:0xf bank_mask:0xf
	s_and_saveexec_b64 s[2:3], s[0:1]
	s_cbranch_execz .LBB58_45
; %bb.44:
	v_lshrrev_b32_e32 v20, 4, v0
	v_cmp_gt_f32_e32 vcc, v18, v19
	v_and_b32_e32 v20, 60, v20
	v_cndmask_b32_e32 v18, v19, v18, vcc
	ds_write_b32 v20, v18
.LBB58_45:
	s_or_b64 exec, exec, s[2:3]
	s_waitcnt lgkmcnt(0)
	s_barrier
	ds_read_b32 v18, v26
	v_cmp_eq_u32_e64 s[2:3], 0, v0
	s_waitcnt lgkmcnt(0)
	v_mov_b32_dpp v19, v18 quad_perm:[1,0,3,2] row_mask:0xf bank_mask:0xf
	v_cmp_gt_f32_e32 vcc, v18, v19
	v_cndmask_b32_e32 v18, v19, v18, vcc
	s_nop 1
	v_mov_b32_dpp v19, v18 quad_perm:[2,3,0,1] row_mask:0xf bank_mask:0xf
	v_cmp_gt_f32_e32 vcc, v18, v19
	v_cndmask_b32_e32 v18, v19, v18, vcc
	s_nop 1
	v_mov_b32_dpp v19, v18 row_half_mirror row_mask:0xf bank_mask:0xf
	v_cmp_gt_f32_e32 vcc, v18, v19
	v_cndmask_b32_e32 v18, v19, v18, vcc
	v_mul_f32_e32 v21, 0x3c010204, v18
	v_pk_mov_b32 v[18:19], s[6:7], s[6:7] op_sel:[0,1]
.LBB58_46:
	s_and_saveexec_b64 s[0:1], s[2:3]
	s_cbranch_execz .LBB58_48
; %bb.47:
	v_lshlrev_b64 v[18:19], 2, v[18:19]
	v_mov_b32_e32 v0, s21
	v_add_co_u32_e32 v18, vcc, s20, v18
	v_addc_co_u32_e32 v19, vcc, v0, v19, vcc
	global_store_dword v[18:19], v21, off
.LBB58_48:
	s_or_b64 exec, exec, s[0:1]
	s_add_i32 s0, s9, 3
	s_ashr_i32 s1, s0, 31
	s_lshr_b32 s1, s1, 30
	;;#ASMSTART
	v_rcp_f32 v18, v21
	;;#ASMEND
	v_mov_b32_e32 v19, v18
	;;#ASMSTART
	v_pk_mul_f32 v[16:17], v[16:17], v[18:19]
	;;#ASMEND
	;;#ASMSTART
	v_pk_mul_f32 v[14:15], v[14:15], v[18:19]
	;;#ASMEND
	s_add_i32 s0, s0, s1
	v_cvt_i32_f32_e32 v0, v16
	v_cvt_i32_f32_sdwa v16, v17 dst_sel:BYTE_1 dst_unused:UNUSED_PAD src0_sel:DWORD
	v_cvt_i32_f32_e32 v14, v14
	v_cvt_i32_f32_sdwa v15, v15 dst_sel:BYTE_1 dst_unused:UNUSED_PAD src0_sel:DWORD
	;;#ASMSTART
	v_pk_mul_f32 v[10:11], v[10:11], v[18:19]
	;;#ASMEND
	;;#ASMSTART
	v_pk_mul_f32 v[8:9], v[8:9], v[18:19]
	;;#ASMEND
	s_and_b32 s2, s0, -4
	s_ashr_i32 s0, s13, 31
	v_cvt_i32_f32_e32 v10, v10
	v_cvt_i32_f32_sdwa v11, v11 dst_sel:BYTE_1 dst_unused:UNUSED_PAD src0_sel:DWORD
	v_cvt_i32_f32_e32 v17, v8
	v_cvt_i32_f32_sdwa v9, v9 dst_sel:BYTE_1 dst_unused:UNUSED_PAD src0_sel:DWORD
	s_mul_hi_u32 s1, s13, s6
	s_mul_i32 s0, s0, s6
	s_add_i32 s1, s1, s0
	s_mul_i32 s0, s13, s6
	s_add_u32 s0, s16, s0
	v_or_b32_sdwa v0, v0, v16 dst_sel:DWORD dst_unused:UNUSED_PAD src0_sel:BYTE_0 src1_sel:DWORD
	v_or_b32_sdwa v8, v14, v15 dst_sel:WORD_1 dst_unused:UNUSED_PAD src0_sel:BYTE_0 src1_sel:DWORD
	s_addc_u32 s1, s17, s1
	v_or_b32_sdwa v8, v0, v8 dst_sel:DWORD dst_unused:UNUSED_PAD src0_sel:WORD_0 src1_sel:DWORD
	v_or_b32_sdwa v0, v10, v11 dst_sel:DWORD dst_unused:UNUSED_PAD src0_sel:BYTE_0 src1_sel:DWORD
	v_or_b32_sdwa v9, v17, v9 dst_sel:WORD_1 dst_unused:UNUSED_PAD src0_sel:BYTE_0 src1_sel:DWORD
	s_and_b32 s1, s1, 0xffff
	s_mov_b32 s3, 0x20000
	v_or_b32_sdwa v9, v0, v9 dst_sel:DWORD dst_unused:UNUSED_PAD src0_sel:WORD_0 src1_sel:DWORD
	buffer_store_dwordx2 v[8:9], v1, s[0:3], 0 offen
	;;#ASMSTART
	s_nop 0
	;;#ASMEND
	;;#ASMSTART
	v_pk_mul_f32 v[8:9], v[12:13], v[18:19]
	;;#ASMEND
	;;#ASMSTART
	v_pk_mul_f32 v[6:7], v[6:7], v[18:19]
	;;#ASMEND
	v_cvt_i32_f32_e32 v0, v8
	v_cvt_i32_f32_sdwa v8, v9 dst_sel:BYTE_1 dst_unused:UNUSED_PAD src0_sel:DWORD
	v_cvt_i32_f32_e32 v6, v6
	v_cvt_i32_f32_sdwa v7, v7 dst_sel:BYTE_1 dst_unused:UNUSED_PAD src0_sel:DWORD
	;;#ASMSTART
	v_pk_mul_f32 v[4:5], v[4:5], v[18:19]
	;;#ASMEND
	;;#ASMSTART
	v_pk_mul_f32 v[2:3], v[2:3], v[18:19]
	;;#ASMEND
	v_cvt_i32_f32_e32 v4, v4
	v_cvt_i32_f32_sdwa v5, v5 dst_sel:BYTE_1 dst_unused:UNUSED_PAD src0_sel:DWORD
	v_cvt_i32_f32_e32 v9, v2
	v_cvt_i32_f32_sdwa v3, v3 dst_sel:BYTE_1 dst_unused:UNUSED_PAD src0_sel:DWORD
	v_or_b32_sdwa v0, v0, v8 dst_sel:DWORD dst_unused:UNUSED_PAD src0_sel:BYTE_0 src1_sel:DWORD
	v_or_b32_sdwa v2, v6, v7 dst_sel:WORD_1 dst_unused:UNUSED_PAD src0_sel:BYTE_0 src1_sel:DWORD
	v_or_b32_sdwa v2, v0, v2 dst_sel:DWORD dst_unused:UNUSED_PAD src0_sel:WORD_0 src1_sel:DWORD
	v_or_b32_sdwa v0, v4, v5 dst_sel:DWORD dst_unused:UNUSED_PAD src0_sel:BYTE_0 src1_sel:DWORD
	v_or_b32_sdwa v3, v9, v3 dst_sel:WORD_1 dst_unused:UNUSED_PAD src0_sel:BYTE_0 src1_sel:DWORD
	v_or_b32_sdwa v3, v0, v3 dst_sel:DWORD dst_unused:UNUSED_PAD src0_sel:WORD_0 src1_sel:DWORD
	s_movk_i32 s4, 0x200
	buffer_store_dwordx2 v[2:3], v1, s[0:3], s4 offen
	;;#ASMSTART
	s_nop 0
	;;#ASMEND
.LBB58_49:
	s_endpgm
.LBB58_50:
                                        ; implicit-def: $vgpr18_vgpr19
	s_branch .LBB58_37
	.section	.rodata,"a",@progbits
	.p2align	6, 0x0
	.amdhsa_kernel _ZN5aiter24add_rmsnorm_quant_kernelItaLi512ELi16ELb1ELb1ELb1ELi1EEEvPT0_PT_PfS4_S4_S4_diiiiiiib
		.amdhsa_group_segment_fixed_size 64
		.amdhsa_private_segment_fixed_size 0
		.amdhsa_kernarg_size 88
		.amdhsa_user_sgpr_count 6
		.amdhsa_user_sgpr_private_segment_buffer 1
		.amdhsa_user_sgpr_dispatch_ptr 0
		.amdhsa_user_sgpr_queue_ptr 0
		.amdhsa_user_sgpr_kernarg_segment_ptr 1
		.amdhsa_user_sgpr_dispatch_id 0
		.amdhsa_user_sgpr_flat_scratch_init 0
		.amdhsa_user_sgpr_kernarg_preload_length 0
		.amdhsa_user_sgpr_kernarg_preload_offset 0
		.amdhsa_user_sgpr_private_segment_size 0
		.amdhsa_uses_dynamic_stack 0
		.amdhsa_system_sgpr_private_segment_wavefront_offset 0
		.amdhsa_system_sgpr_workgroup_id_x 1
		.amdhsa_system_sgpr_workgroup_id_y 0
		.amdhsa_system_sgpr_workgroup_id_z 0
		.amdhsa_system_sgpr_workgroup_info 0
		.amdhsa_system_vgpr_workitem_id 0
		.amdhsa_next_free_vgpr 48
		.amdhsa_next_free_sgpr 40
		.amdhsa_accum_offset 48
		.amdhsa_reserve_vcc 1
		.amdhsa_reserve_flat_scratch 0
		.amdhsa_float_round_mode_32 0
		.amdhsa_float_round_mode_16_64 0
		.amdhsa_float_denorm_mode_32 3
		.amdhsa_float_denorm_mode_16_64 3
		.amdhsa_dx10_clamp 1
		.amdhsa_ieee_mode 1
		.amdhsa_fp16_overflow 0
		.amdhsa_tg_split 0
		.amdhsa_exception_fp_ieee_invalid_op 0
		.amdhsa_exception_fp_denorm_src 0
		.amdhsa_exception_fp_ieee_div_zero 0
		.amdhsa_exception_fp_ieee_overflow 0
		.amdhsa_exception_fp_ieee_underflow 0
		.amdhsa_exception_fp_ieee_inexact 0
		.amdhsa_exception_int_div_zero 0
	.end_amdhsa_kernel
	.section	.text._ZN5aiter24add_rmsnorm_quant_kernelItaLi512ELi16ELb1ELb1ELb1ELi1EEEvPT0_PT_PfS4_S4_S4_diiiiiiib,"axG",@progbits,_ZN5aiter24add_rmsnorm_quant_kernelItaLi512ELi16ELb1ELb1ELb1ELi1EEEvPT0_PT_PfS4_S4_S4_diiiiiiib,comdat
.Lfunc_end58:
	.size	_ZN5aiter24add_rmsnorm_quant_kernelItaLi512ELi16ELb1ELb1ELb1ELi1EEEvPT0_PT_PfS4_S4_S4_diiiiiiib, .Lfunc_end58-_ZN5aiter24add_rmsnorm_quant_kernelItaLi512ELi16ELb1ELb1ELb1ELi1EEEvPT0_PT_PfS4_S4_S4_diiiiiiib
                                        ; -- End function
	.section	.AMDGPU.csdata,"",@progbits
; Kernel info:
; codeLenInByte = 4060
; NumSgprs: 44
; NumVgprs: 48
; NumAgprs: 0
; TotalNumVgprs: 48
; ScratchSize: 0
; MemoryBound: 0
; FloatMode: 240
; IeeeMode: 1
; LDSByteSize: 64 bytes/workgroup (compile time only)
; SGPRBlocks: 5
; VGPRBlocks: 5
; NumSGPRsForWavesPerEU: 44
; NumVGPRsForWavesPerEU: 48
; AccumOffset: 48
; Occupancy: 8
; WaveLimiterHint : 0
; COMPUTE_PGM_RSRC2:SCRATCH_EN: 0
; COMPUTE_PGM_RSRC2:USER_SGPR: 6
; COMPUTE_PGM_RSRC2:TRAP_HANDLER: 0
; COMPUTE_PGM_RSRC2:TGID_X_EN: 1
; COMPUTE_PGM_RSRC2:TGID_Y_EN: 0
; COMPUTE_PGM_RSRC2:TGID_Z_EN: 0
; COMPUTE_PGM_RSRC2:TIDIG_COMP_CNT: 0
; COMPUTE_PGM_RSRC3_GFX90A:ACCUM_OFFSET: 11
; COMPUTE_PGM_RSRC3_GFX90A:TG_SPLIT: 0
	.section	.text._ZN5aiter24add_rmsnorm_quant_kernelIDF16_aLi512ELi16ELb1ELb1ELb0ELi1EEEvPT0_PT_PfS4_S4_S4_diiiiiiib,"axG",@progbits,_ZN5aiter24add_rmsnorm_quant_kernelIDF16_aLi512ELi16ELb1ELb1ELb0ELi1EEEvPT0_PT_PfS4_S4_S4_diiiiiiib,comdat
	.protected	_ZN5aiter24add_rmsnorm_quant_kernelIDF16_aLi512ELi16ELb1ELb1ELb0ELi1EEEvPT0_PT_PfS4_S4_S4_diiiiiiib ; -- Begin function _ZN5aiter24add_rmsnorm_quant_kernelIDF16_aLi512ELi16ELb1ELb1ELb0ELi1EEEvPT0_PT_PfS4_S4_S4_diiiiiiib
	.globl	_ZN5aiter24add_rmsnorm_quant_kernelIDF16_aLi512ELi16ELb1ELb1ELb0ELi1EEEvPT0_PT_PfS4_S4_S4_diiiiiiib
	.p2align	8
	.type	_ZN5aiter24add_rmsnorm_quant_kernelIDF16_aLi512ELi16ELb1ELb1ELb0ELi1EEEvPT0_PT_PfS4_S4_S4_diiiiiiib,@function
_ZN5aiter24add_rmsnorm_quant_kernelIDF16_aLi512ELi16ELb1ELb1ELb0ELi1EEEvPT0_PT_PfS4_S4_S4_diiiiiiib: ; @_ZN5aiter24add_rmsnorm_quant_kernelIDF16_aLi512ELi16ELb1ELb1ELb0ELi1EEEvPT0_PT_PfS4_S4_S4_diiiiiiib
; %bb.0:
	s_load_dwordx8 s[8:15], s[4:5], 0x38
	s_mov_b32 s7, 0
	s_waitcnt lgkmcnt(0)
	s_ashr_i32 s0, s8, 31
	v_mov_b32_e32 v2, s8
	v_mov_b32_e32 v3, s0
	v_cmp_ge_i64_e32 vcc, s[6:7], v[2:3]
	s_cbranch_vccnz .LBB59_49
; %bb.1:
	s_load_dwordx8 s[16:23], s[4:5], 0x0
	s_ashr_i32 s0, s10, 31
	s_mul_hi_u32 s1, s10, s6
	s_mul_i32 s0, s0, s6
	s_add_i32 s1, s1, s0
	s_mul_i32 s0, s10, s6
	s_lshl_b64 s[0:1], s[0:1], 1
	s_waitcnt lgkmcnt(0)
	s_add_u32 s0, s22, s0
	s_addc_u32 s1, s23, s1
	s_add_i32 s2, s9, 1
	s_lshr_b32 s3, s2, 31
	s_add_i32 s2, s2, s3
	s_lshl_b32 s2, s2, 1
	s_load_dwordx8 s[24:31], s[4:5], 0x20
	s_and_b32 s2, s2, -4
	s_and_b32 s1, s1, 0xffff
	s_mov_b32 s3, 0x20000
	v_lshlrev_b32_e32 v1, 5, v0
	buffer_load_dwordx4 v[10:13], v1, s[0:3], 16 offen
	buffer_load_dwordx4 v[14:17], v1, s[0:3], 0 offen
	s_ashr_i32 s0, s11, 31
	s_mul_hi_u32 s1, s11, s6
	s_mul_i32 s0, s0, s6
	s_add_i32 s1, s1, s0
	s_mul_i32 s0, s11, s6
	s_waitcnt lgkmcnt(0)
	s_and_b32 s37, s27, 0xffff
	s_lshl_b64 s[0:1], s[0:1], 1
	s_add_u32 s0, s24, s0
	s_addc_u32 s1, s25, s1
	s_and_b32 s1, s1, 0xffff
	buffer_load_dwordx4 v[18:21], v1, s[0:3], 16 offen
	buffer_load_dwordx4 v[22:25], v1, s[0:3], 0 offen
	s_mov_b32 s39, s3
	s_mov_b32 s36, s26
	;; [unrolled: 1-line block ×3, first 2 shown]
	buffer_load_dwordx4 v[6:9], v1, s[36:39], 0 offen
	buffer_load_dwordx4 v[2:5], v1, s[36:39], 16 offen
	s_ashr_i32 s4, s12, 31
	s_mul_hi_u32 s1, s12, s6
	s_mul_i32 s4, s4, s6
	s_mul_i32 s0, s12, s6
	s_add_i32 s1, s1, s4
	s_lshl_b64 s[0:1], s[0:1], 1
	s_add_u32 s0, s18, s0
	s_addc_u32 s1, s19, s1
	s_and_b32 s1, s1, 0xffff
	s_waitcnt vmcnt(5)
	v_cvt_f32_f16_e32 v26, v10
	v_cvt_f32_f16_sdwa v27, v10 dst_sel:DWORD dst_unused:UNUSED_PAD src0_sel:WORD_1
	v_cvt_f32_f16_e32 v10, v11
	v_cvt_f32_f16_sdwa v11, v11 dst_sel:DWORD dst_unused:UNUSED_PAD src0_sel:WORD_1
	v_cvt_f32_f16_e32 v28, v12
	v_cvt_f32_f16_sdwa v29, v12 dst_sel:DWORD dst_unused:UNUSED_PAD src0_sel:WORD_1
	v_cvt_f32_f16_e32 v30, v13
	v_cvt_f32_f16_sdwa v31, v13 dst_sel:DWORD dst_unused:UNUSED_PAD src0_sel:WORD_1
	s_waitcnt vmcnt(4)
	v_cvt_f32_f16_e32 v32, v14
	v_cvt_f32_f16_sdwa v33, v14 dst_sel:DWORD dst_unused:UNUSED_PAD src0_sel:WORD_1
	v_cvt_f32_f16_e32 v34, v15
	v_cvt_f32_f16_sdwa v35, v15 dst_sel:DWORD dst_unused:UNUSED_PAD src0_sel:WORD_1
	v_cvt_f32_f16_e32 v36, v16
	v_cvt_f32_f16_sdwa v37, v16 dst_sel:DWORD dst_unused:UNUSED_PAD src0_sel:WORD_1
	v_cvt_f32_f16_e32 v38, v17
	v_cvt_f32_f16_sdwa v39, v17 dst_sel:DWORD dst_unused:UNUSED_PAD src0_sel:WORD_1
	;; [unrolled: 9-line block ×4, first 2 shown]
	v_pk_add_f32 v[16:17], v[26:27], v[12:13]
	v_pk_add_f32 v[14:15], v[10:11], v[14:15]
	;; [unrolled: 1-line block ×8, first 2 shown]
	v_cvt_f16_f32_e32 v26, v25
	v_cvt_f16_f32_e32 v30, v24
	;; [unrolled: 1-line block ×8, first 2 shown]
	v_pack_b32_f16 v27, v31, v27
	v_pack_b32_f16 v28, v32, v28
	;; [unrolled: 1-line block ×4, first 2 shown]
	v_cvt_f16_f32_e32 v34, v16
	v_cvt_f16_f32_e32 v35, v14
	;; [unrolled: 1-line block ×5, first 2 shown]
	buffer_store_dwordx4 v[26:29], v1, s[0:3], 0 offen
	v_cvt_f16_f32_e32 v30, v17
	v_cvt_f16_f32_e32 v26, v13
	;; [unrolled: 1-line block ×3, first 2 shown]
	v_pack_b32_f16 v29, v37, v38
	;;#ASMSTART
	s_nop 0
	;;#ASMEND
	v_pack_b32_f16 v28, v36, v26
	v_pack_b32_f16 v27, v35, v27
	;; [unrolled: 1-line block ×3, first 2 shown]
	buffer_store_dwordx4 v[26:29], v1, s[0:3], 16 offen
	v_pk_mul_f32 v[30:31], v[18:19], v[18:19]
	v_pk_mul_f32 v[26:27], v[24:25], v[24:25]
	;; [unrolled: 1-line block ×3, first 2 shown]
	v_add_f32_e32 v1, v26, v27
	v_add_f32_e32 v1, v28, v1
	;; [unrolled: 1-line block ×4, first 2 shown]
	v_pk_mul_f32 v[32:33], v[22:23], v[22:23]
	v_add_f32_e32 v1, v31, v1
	v_add_f32_e32 v1, v32, v1
	v_pk_mul_f32 v[34:35], v[16:17], v[16:17]
	v_add_f32_e32 v1, v33, v1
	v_add_f32_e32 v1, v34, v1
	v_pk_mul_f32 v[36:37], v[14:15], v[14:15]
	v_add_f32_e32 v1, v35, v1
	v_add_f32_e32 v1, v36, v1
	v_pk_mul_f32 v[38:39], v[12:13], v[12:13]
	v_add_f32_e32 v1, v37, v1
	v_add_f32_e32 v1, v38, v1
	v_pk_mul_f32 v[40:41], v[10:11], v[10:11]
	v_add_f32_e32 v1, v39, v1
	v_add_f32_e32 v1, v40, v1
	v_add_f32_e32 v1, v41, v1
	v_and_b32_e32 v27, 63, v0
	v_cmp_eq_u32_e64 s[0:1], 63, v27
	v_mov_b32_dpp v26, v1 quad_perm:[1,0,3,2] row_mask:0xf bank_mask:0xf
	v_add_f32_e32 v1, v1, v26
	;;#ASMSTART
	s_nop 0
	;;#ASMEND
	s_nop 1
	v_mov_b32_dpp v26, v1 quad_perm:[2,3,0,1] row_mask:0xf bank_mask:0xf
	v_add_f32_e32 v1, v1, v26
	s_nop 1
	v_mov_b32_dpp v26, v1 row_half_mirror row_mask:0xf bank_mask:0xf
	v_add_f32_e32 v1, v1, v26
	s_nop 1
	v_mov_b32_dpp v26, v1 row_mirror row_mask:0xf bank_mask:0xf
	v_add_f32_e32 v1, v1, v26
	s_nop 1
	v_mov_b32_dpp v26, v1 row_bcast:15 row_mask:0xf bank_mask:0xf
	v_add_f32_e32 v1, v1, v26
	s_nop 1
	v_mov_b32_dpp v26, v1 row_bcast:31 row_mask:0xf bank_mask:0xf
	s_and_saveexec_b64 s[2:3], s[0:1]
	s_cbranch_execz .LBB59_3
; %bb.2:
	v_lshrrev_b32_e32 v27, 4, v0
	v_and_b32_e32 v27, 60, v27
	v_add_f32_e32 v1, v1, v26
	ds_write_b32 v27, v1 offset:32
.LBB59_3:
	s_or_b64 exec, exec, s[2:3]
	v_and_b32_e32 v1, 7, v0
	v_lshlrev_b32_e32 v26, 2, v1
	s_waitcnt lgkmcnt(0)
	s_barrier
	ds_read_b32 v1, v26 offset:32
	v_cvt_f32_i32_e32 v27, s9
	s_waitcnt vmcnt(3)
	v_cvt_f32_f16_sdwa v33, v7 dst_sel:DWORD dst_unused:UNUSED_PAD src0_sel:WORD_1
	v_cvt_f32_f16_sdwa v35, v9 dst_sel:DWORD dst_unused:UNUSED_PAD src0_sel:WORD_1
	v_cvt_f32_f16_e32 v34, v9
	s_waitcnt lgkmcnt(0)
	v_mov_b32_dpp v28, v1 quad_perm:[1,0,3,2] row_mask:0xf bank_mask:0xf
	v_add_f32_e32 v1, v1, v28
	s_cmp_lg_u32 s14, 0
	s_nop 0
	v_mov_b32_dpp v28, v1 quad_perm:[2,3,0,1] row_mask:0xf bank_mask:0xf
	v_add_f32_e32 v1, v1, v28
	s_nop 1
	v_mov_b32_dpp v28, v1 row_half_mirror row_mask:0xf bank_mask:0xf
	v_add_f32_e32 v1, v1, v28
	v_div_scale_f32 v28, s[2:3], v27, v27, v1
	v_rcp_f32_e32 v29, v28
	v_div_scale_f32 v30, vcc, v1, v27, v1
	s_mov_b32 s2, 0x800000
	v_fma_f32 v31, -v28, v29, 1.0
	v_fmac_f32_e32 v29, v31, v29
	v_mul_f32_e32 v31, v30, v29
	v_fma_f32 v32, -v28, v31, v30
	v_fmac_f32_e32 v31, v32, v29
	v_fma_f32 v28, -v28, v31, v30
	v_div_fmas_f32 v28, v28, v29, v31
	v_div_fixup_f32 v1, v28, v27, v1
	v_cvt_f64_f32_e32 v[28:29], v1
	v_add_f64 v[28:29], v[28:29], s[28:29]
	v_cvt_f32_f64_e32 v1, v[28:29]
	v_mul_f32_e32 v27, 0x4b800000, v1
	v_cmp_gt_f32_e32 vcc, s2, v1
	v_cndmask_b32_e32 v1, v1, v27, vcc
	v_rsq_f32_e32 v27, v1
	v_cvt_f32_f16_e32 v32, v7
	v_cvt_f32_f16_sdwa v7, v8 dst_sel:DWORD dst_unused:UNUSED_PAD src0_sel:WORD_1
	v_lshlrev_b32_e32 v1, 4, v0
	v_mul_f32_e32 v28, 0x45800000, v27
	v_cndmask_b32_e32 v28, v27, v28, vcc
	v_mov_b32_e32 v29, v28
	;;#ASMSTART
	v_pk_mul_f32 v[24:25], v[24:25], v[28:29]
	;;#ASMEND
	;;#ASMSTART
	v_pk_mul_f32 v[20:21], v[20:21], v[28:29]
	;;#ASMEND
	;; [unrolled: 3-line block ×8, first 2 shown]
	v_cvt_f32_f16_sdwa v11, v6 dst_sel:DWORD dst_unused:UNUSED_PAD src0_sel:WORD_1
	v_cvt_f32_f16_e32 v10, v6
	v_cvt_f32_f16_e32 v6, v8
	;;#ASMSTART
	v_pk_mul_f32 v[12:13], v[24:25], v[10:11]
	;;#ASMEND
	;;#ASMSTART
	v_pk_mul_f32 v[10:11], v[20:21], v[32:33]
	;;#ASMEND
	;; [unrolled: 3-line block ×3, first 2 shown]
	s_waitcnt vmcnt(2)
	v_cvt_f32_f16_e32 v18, v2
	v_cvt_f32_f16_e32 v20, v3
	;;#ASMSTART
	v_pk_mul_f32 v[6:7], v[22:23], v[34:35]
	;;#ASMEND
	v_cvt_f32_f16_sdwa v19, v2 dst_sel:DWORD dst_unused:UNUSED_PAD src0_sel:WORD_1
	v_cvt_f32_f16_sdwa v21, v3 dst_sel:DWORD dst_unused:UNUSED_PAD src0_sel:WORD_1
	;; [unrolled: 1-line block ×3, first 2 shown]
	v_cvt_f32_f16_e32 v2, v4
	;;#ASMSTART
	v_pk_mul_f32 v[16:17], v[16:17], v[18:19]
	;;#ASMEND
	;;#ASMSTART
	v_pk_mul_f32 v[14:15], v[14:15], v[20:21]
	;;#ASMEND
	v_and_b32_e32 v18, 0x7fffffff, v12
	v_mov_b32_e32 v20, 0x2edbe6ff
	v_cvt_f32_f16_sdwa v23, v5 dst_sel:DWORD dst_unused:UNUSED_PAD src0_sel:WORD_1
	v_cvt_f32_f16_e32 v22, v5
	;;#ASMSTART
	v_pk_mul_f32 v[4:5], v[30:31], v[2:3]
	;;#ASMEND
	;;#ASMSTART
	v_pk_mul_f32 v[2:3], v[28:29], v[22:23]
	;;#ASMEND
	v_and_b32_e32 v19, 0x7fffffff, v13
	;;#ASMSTART
	v_max3_f32 v18, v20, v18, v19

	;;#ASMEND
	v_and_b32_e32 v20, 0x7fffffff, v11
	v_and_b32_e32 v19, 0x7fffffff, v10
	;;#ASMSTART
	v_max3_f32 v18, v18, v19, v20

	;;#ASMEND
	v_and_b32_e32 v20, 0x7fffffff, v9
	;; [unrolled: 6-line block ×7, first 2 shown]
	v_and_b32_e32 v19, 0x7fffffff, v2
	;;#ASMSTART
	v_max3_f32 v20, v18, v19, v20

	;;#ASMEND
	s_cbranch_scc0 .LBB59_10
; %bb.4:
	s_ashr_i32 s12, s14, 31
	s_lshr_b32 s2, s12, 28
	s_add_i32 s2, s14, s2
	s_ashr_i32 s10, s2, 4
	s_cmp_lt_i32 s10, 16
	s_cbranch_scc1 .LBB59_11
; %bb.5:
	s_cmp_lt_i32 s10, 32
	s_cbranch_scc1 .LBB59_12
; %bb.6:
	;; [unrolled: 3-line block ×3, first 2 shown]
	s_cmp_eq_u32 s10, 64
	v_mov_b32_e32 v18, v20
	s_cbranch_scc0 .LBB59_9
; %bb.8:
	s_nop 0
	v_mov_b32_dpp v18, v20 quad_perm:[1,0,3,2] row_mask:0xf bank_mask:0xf
	v_cmp_gt_f32_e32 vcc, v20, v18
	v_cndmask_b32_e32 v18, v18, v20, vcc
	v_bfrev_b32_e32 v21, 0.5
	s_nop 0
	v_mov_b32_dpp v19, v18 quad_perm:[2,3,0,1] row_mask:0xf bank_mask:0xf
	v_cmp_gt_f32_e32 vcc, v18, v19
	v_cndmask_b32_e32 v18, v19, v18, vcc
	s_nop 1
	v_mov_b32_dpp v19, v18 row_ror:4 row_mask:0xf bank_mask:0xf
	v_cmp_gt_f32_e32 vcc, v18, v19
	v_cndmask_b32_e32 v18, v19, v18, vcc
	s_nop 1
	v_mov_b32_dpp v19, v18 row_ror:8 row_mask:0xf bank_mask:0xf
	v_cmp_gt_f32_e32 vcc, v18, v19
	v_cndmask_b32_e32 v18, v19, v18, vcc
	s_nop 1
	v_mov_b32_dpp v19, v18 row_bcast:15 row_mask:0xf bank_mask:0xf
	v_cmp_gt_f32_e32 vcc, v18, v19
	v_cndmask_b32_e32 v18, v19, v18, vcc
	s_nop 1
	v_mov_b32_dpp v19, v18 row_bcast:31 row_mask:0xf bank_mask:0xf
	v_cmp_gt_f32_e32 vcc, v18, v19
	v_cndmask_b32_e32 v18, v19, v18, vcc
	v_mbcnt_lo_u32_b32 v19, -1, 0
	v_mbcnt_hi_u32_b32 v19, -1, v19
	v_lshl_or_b32 v19, v19, 2, v21
	ds_bpermute_b32 v18, v19, v18
.LBB59_9:
	s_mov_b64 s[2:3], 0
	s_branch .LBB59_14
.LBB59_10:
	s_mov_b64 s[2:3], 0
                                        ; implicit-def: $vgpr21
                                        ; implicit-def: $vgpr18_vgpr19
	s_cbranch_execnz .LBB59_43
	s_branch .LBB59_46
.LBB59_11:
                                        ; implicit-def: $vgpr18
	s_branch .LBB59_21
.LBB59_12:
                                        ; implicit-def: $vgpr18
	s_branch .LBB59_18
.LBB59_13:
	s_mov_b64 s[2:3], -1
                                        ; implicit-def: $vgpr18
.LBB59_14:
	s_andn2_b64 vcc, exec, s[2:3]
	s_cbranch_vccnz .LBB59_17
; %bb.15:
	s_cmp_eq_u32 s10, 32
	s_waitcnt lgkmcnt(0)
	v_mov_b32_e32 v18, v20
	s_cbranch_scc0 .LBB59_17
; %bb.16:
	s_nop 0
	v_mov_b32_dpp v18, v20 quad_perm:[1,0,3,2] row_mask:0xf bank_mask:0xf
	v_cmp_gt_f32_e32 vcc, v20, v18
	v_cndmask_b32_e32 v18, v18, v20, vcc
	v_mov_b32_e32 v21, 0x7c
	s_nop 0
	v_mov_b32_dpp v19, v18 quad_perm:[2,3,0,1] row_mask:0xf bank_mask:0xf
	v_cmp_gt_f32_e32 vcc, v18, v19
	v_cndmask_b32_e32 v18, v19, v18, vcc
	s_nop 1
	v_mov_b32_dpp v19, v18 row_half_mirror row_mask:0xf bank_mask:0xf
	v_cmp_gt_f32_e32 vcc, v18, v19
	v_cndmask_b32_e32 v18, v19, v18, vcc
	s_nop 1
	v_mov_b32_dpp v19, v18 row_mirror row_mask:0xf bank_mask:0xf
	v_cmp_gt_f32_e32 vcc, v18, v19
	v_cndmask_b32_e32 v18, v19, v18, vcc
	s_nop 1
	v_mov_b32_dpp v19, v18 row_bcast:15 row_mask:0xa bank_mask:0xf
	v_cmp_gt_f32_e32 vcc, v18, v19
	v_cndmask_b32_e32 v18, v19, v18, vcc
	v_mbcnt_lo_u32_b32 v19, -1, 0
	v_mbcnt_hi_u32_b32 v19, -1, v19
	v_lshl_or_b32 v19, v19, 2, v21
	ds_bpermute_b32 v18, v19, v18
.LBB59_17:
	s_cbranch_execnz .LBB59_20
.LBB59_18:
	s_cmp_eq_u32 s10, 16
	s_waitcnt lgkmcnt(0)
	v_mov_b32_e32 v18, v20
	s_cbranch_scc0 .LBB59_20
; %bb.19:
	s_nop 0
	v_mov_b32_dpp v18, v20 quad_perm:[1,0,3,2] row_mask:0xf bank_mask:0xf
	v_cmp_gt_f32_e32 vcc, v20, v18
	v_cndmask_b32_e32 v18, v18, v20, vcc
	s_nop 1
	v_mov_b32_dpp v19, v18 quad_perm:[2,3,0,1] row_mask:0xf bank_mask:0xf
	v_cmp_gt_f32_e32 vcc, v18, v19
	v_cndmask_b32_e32 v18, v19, v18, vcc
	s_nop 1
	v_mov_b32_dpp v19, v18 row_half_mirror row_mask:0xf bank_mask:0xf
	v_cmp_gt_f32_e32 vcc, v18, v19
	v_cndmask_b32_e32 v18, v19, v18, vcc
	s_nop 1
	v_mov_b32_dpp v19, v18 row_mirror row_mask:0xf bank_mask:0xf
	v_cmp_gt_f32_e32 vcc, v18, v19
	v_cndmask_b32_e32 v18, v19, v18, vcc
.LBB59_20:
	s_cbranch_execnz .LBB59_33
.LBB59_21:
	s_cmp_lt_i32 s10, 4
	s_cbranch_scc1 .LBB59_25
; %bb.22:
	s_cmp_lt_i32 s10, 8
	s_cbranch_scc1 .LBB59_26
; %bb.23:
	s_cmp_eq_u32 s10, 8
	s_waitcnt lgkmcnt(0)
	v_mov_b32_e32 v18, v20
	s_cbranch_scc0 .LBB59_27
; %bb.24:
	s_nop 0
	v_mov_b32_dpp v18, v20 quad_perm:[1,0,3,2] row_mask:0xf bank_mask:0xf
	v_cmp_gt_f32_e32 vcc, v20, v18
	v_cndmask_b32_e32 v18, v18, v20, vcc
	s_nop 1
	v_mov_b32_dpp v19, v18 quad_perm:[2,3,0,1] row_mask:0xf bank_mask:0xf
	v_cmp_gt_f32_e32 vcc, v18, v19
	v_cndmask_b32_e32 v18, v19, v18, vcc
	s_nop 1
	v_mov_b32_dpp v19, v18 row_half_mirror row_mask:0xf bank_mask:0xf
	v_cmp_gt_f32_e32 vcc, v18, v19
	v_cndmask_b32_e32 v18, v19, v18, vcc
	s_cbranch_execz .LBB59_28
	s_branch .LBB59_30
.LBB59_25:
                                        ; implicit-def: $vgpr18
	s_branch .LBB59_31
.LBB59_26:
                                        ; implicit-def: $vgpr18
	s_branch .LBB59_28
.LBB59_27:
	s_cbranch_execnz .LBB59_30
.LBB59_28:
	s_cmp_eq_u32 s10, 4
	s_waitcnt lgkmcnt(0)
	v_mov_b32_e32 v18, v20
	s_cbranch_scc0 .LBB59_30
; %bb.29:
	s_nop 0
	v_mov_b32_dpp v18, v20 quad_perm:[1,0,3,2] row_mask:0xf bank_mask:0xf
	v_cmp_gt_f32_e32 vcc, v20, v18
	v_cndmask_b32_e32 v18, v18, v20, vcc
	s_nop 1
	v_mov_b32_dpp v19, v18 quad_perm:[2,3,0,1] row_mask:0xf bank_mask:0xf
	v_cmp_gt_f32_e32 vcc, v18, v19
	v_cndmask_b32_e32 v18, v19, v18, vcc
.LBB59_30:
	s_cbranch_execnz .LBB59_33
.LBB59_31:
	s_cmp_lg_u32 s10, 2
	s_waitcnt lgkmcnt(0)
	v_mov_b32_e32 v18, v20
	s_cbranch_scc1 .LBB59_33
; %bb.32:
	s_nop 0
	v_mov_b32_dpp v18, v20 quad_perm:[1,0,3,2] row_mask:0xf bank_mask:0xf
	v_cmp_gt_f32_e32 vcc, v20, v18
	v_cndmask_b32_e32 v18, v18, v20, vcc
.LBB59_33:
	v_cvt_f32_u32_e32 v19, s10
	s_waitcnt lgkmcnt(0)
	v_mul_f32_e32 v21, 0x3c010204, v18
	s_sub_i32 s2, 0, s10
	v_cmp_gt_u32_e32 vcc, s9, v1
	v_rcp_iflag_f32_e32 v19, v19
	s_mov_b64 s[4:5], 0
	v_mul_f32_e32 v18, 0x4f7ffffe, v19
	v_cvt_u32_f32_e32 v18, v18
	v_mul_lo_u32 v19, s2, v18
	v_mul_hi_u32 v19, v18, v19
	v_add_u32_e32 v18, v18, v19
	v_mul_hi_u32 v18, v0, v18
	v_mul_lo_u32 v19, v18, s10
	v_sub_u32_e32 v19, v0, v19
	v_add_u32_e32 v22, 1, v18
	v_cmp_le_u32_e64 s[2:3], s10, v19
	v_cndmask_b32_e64 v18, v18, v22, s[2:3]
	v_subrev_u32_e32 v22, s10, v19
	v_cndmask_b32_e64 v19, v19, v22, s[2:3]
	v_add_u32_e32 v22, 1, v18
	v_cmp_le_u32_e64 s[2:3], s10, v19
	v_cndmask_b32_e64 v22, v18, v22, s[2:3]
	v_mul_lo_u32 v18, v22, s10
	v_sub_u32_e32 v18, v0, v18
	v_cmp_eq_u32_e64 s[2:3], 0, v18
	s_and_b64 s[10:11], s[2:3], vcc
	s_mov_b64 s[2:3], 0
                                        ; implicit-def: $vgpr18_vgpr19
	s_and_saveexec_b64 s[18:19], s[10:11]
	s_xor_b64 s[10:11], exec, s[18:19]
	s_cbranch_execz .LBB59_42
; %bb.34:
	s_bitcmp0_b32 s15, 0
	s_cbranch_scc0 .LBB59_39
; %bb.35:
	s_ashr_i32 s2, s9, 31
	s_mul_hi_u32 s3, s9, s6
	s_mul_i32 s2, s2, s6
	s_add_i32 s19, s3, s2
	s_mul_i32 s18, s9, s6
	s_mov_b32 s15, s12
	s_or_b64 s[2:3], s[18:19], s[14:15]
	s_mov_b32 s2, 0
	s_cmp_lg_u64 s[2:3], 0
	s_cbranch_scc0 .LBB59_50
; %bb.36:
	s_add_u32 s2, s14, s15
	s_mov_b32 s24, s15
	s_mov_b32 s25, s15
	s_addc_u32 s3, s15, s15
	s_xor_b64 s[26:27], s[2:3], s[24:25]
	v_cvt_f32_u32_e32 v18, s26
	v_cvt_f32_u32_e32 v19, s27
	s_sub_u32 s2, 0, s26
	s_subb_u32 s3, 0, s27
	v_madmk_f32 v18, v19, 0x4f800000, v18
	v_rcp_f32_e32 v18, v18
	v_mul_f32_e32 v18, 0x5f7ffffc, v18
	v_mul_f32_e32 v19, 0x2f800000, v18
	v_trunc_f32_e32 v19, v19
	v_madmk_f32 v18, v19, 0xcf800000, v18
	v_cvt_u32_f32_e32 v19, v19
	v_cvt_u32_f32_e32 v18, v18
	v_readfirstlane_b32 s12, v19
	v_readfirstlane_b32 s15, v18
	s_mul_i32 s28, s2, s12
	s_mul_hi_u32 s30, s2, s15
	s_mul_i32 s29, s3, s15
	s_add_i32 s28, s30, s28
	s_add_i32 s28, s28, s29
	s_mul_i32 s31, s2, s15
	s_mul_hi_u32 s29, s15, s28
	s_mul_i32 s30, s15, s28
	s_mul_hi_u32 s15, s15, s31
	s_add_u32 s15, s15, s30
	s_addc_u32 s29, 0, s29
	s_mul_hi_u32 s33, s12, s31
	s_mul_i32 s31, s12, s31
	s_add_u32 s15, s15, s31
	s_mul_hi_u32 s30, s12, s28
	s_addc_u32 s15, s29, s33
	s_addc_u32 s29, s30, 0
	s_mul_i32 s28, s12, s28
	s_add_u32 s15, s15, s28
	s_addc_u32 s28, 0, s29
	v_add_co_u32_e32 v18, vcc, s15, v18
	s_cmp_lg_u64 vcc, 0
	s_addc_u32 s12, s12, s28
	v_readfirstlane_b32 s28, v18
	s_mul_i32 s15, s2, s12
	s_mul_hi_u32 s29, s2, s28
	s_add_i32 s15, s29, s15
	s_mul_i32 s3, s3, s28
	s_add_i32 s15, s15, s3
	s_mul_i32 s2, s2, s28
	s_mul_hi_u32 s29, s12, s2
	s_mul_i32 s30, s12, s2
	s_mul_i32 s33, s28, s15
	s_mul_hi_u32 s2, s28, s2
	s_mul_hi_u32 s31, s28, s15
	s_add_u32 s2, s2, s33
	s_addc_u32 s28, 0, s31
	s_add_u32 s2, s2, s30
	s_mul_hi_u32 s3, s12, s15
	s_addc_u32 s2, s28, s29
	s_addc_u32 s3, s3, 0
	s_mul_i32 s15, s12, s15
	s_add_u32 s2, s2, s15
	s_addc_u32 s3, 0, s3
	v_add_co_u32_e32 v18, vcc, s2, v18
	s_cmp_lg_u64 vcc, 0
	s_addc_u32 s12, s12, s3
	s_ashr_i32 s28, s19, 31
	s_add_u32 s2, s18, s28
	s_mov_b32 s29, s28
	s_addc_u32 s3, s19, s28
	s_xor_b64 s[30:31], s[2:3], s[28:29]
	v_readfirstlane_b32 s15, v18
	s_mul_i32 s3, s30, s12
	s_mul_hi_u32 s19, s30, s15
	s_mul_hi_u32 s2, s30, s12
	s_add_u32 s3, s19, s3
	s_addc_u32 s2, 0, s2
	s_mul_hi_u32 s33, s31, s15
	s_mul_i32 s15, s31, s15
	s_add_u32 s3, s3, s15
	s_mul_hi_u32 s19, s31, s12
	s_addc_u32 s2, s2, s33
	s_addc_u32 s3, s19, 0
	s_mul_i32 s12, s31, s12
	s_add_u32 s12, s2, s12
	s_addc_u32 s15, 0, s3
	s_mul_i32 s2, s26, s15
	s_mul_hi_u32 s3, s26, s12
	s_add_i32 s2, s3, s2
	s_mul_i32 s3, s27, s12
	s_add_i32 s19, s2, s3
	s_mul_i32 s3, s26, s12
	v_mov_b32_e32 v18, s3
	s_sub_i32 s2, s31, s19
	v_sub_co_u32_e32 v18, vcc, s30, v18
	s_cmp_lg_u64 vcc, 0
	s_subb_u32 s30, s2, s27
	v_subrev_co_u32_e64 v19, s[2:3], s26, v18
	s_cmp_lg_u64 s[2:3], 0
	s_subb_u32 s30, s30, 0
	s_cmp_ge_u32 s30, s27
	s_cselect_b32 s33, -1, 0
	v_cmp_le_u32_e64 s[2:3], s26, v19
	s_cmp_eq_u32 s30, s27
	v_cndmask_b32_e64 v19, 0, -1, s[2:3]
	v_mov_b32_e32 v23, s33
	s_cselect_b64 s[2:3], -1, 0
	v_cndmask_b32_e64 v19, v23, v19, s[2:3]
	s_add_u32 s2, s12, 1
	s_addc_u32 s30, s15, 0
	s_add_u32 s3, s12, 2
	s_addc_u32 s33, s15, 0
	v_mov_b32_e32 v23, s2
	v_mov_b32_e32 v24, s3
	v_cmp_ne_u32_e64 s[2:3], 0, v19
	v_cndmask_b32_e64 v19, v23, v24, s[2:3]
	v_mov_b32_e32 v23, s30
	v_mov_b32_e32 v24, s33
	s_cmp_lg_u64 vcc, 0
	v_cndmask_b32_e64 v23, v23, v24, s[2:3]
	s_subb_u32 s2, s31, s19
	s_cmp_ge_u32 s2, s27
	s_cselect_b32 s3, -1, 0
	v_cmp_le_u32_e32 vcc, s26, v18
	s_cmp_eq_u32 s2, s27
	v_cndmask_b32_e64 v18, 0, -1, vcc
	v_mov_b32_e32 v24, s3
	s_cselect_b64 vcc, -1, 0
	v_cndmask_b32_e32 v18, v24, v18, vcc
	v_mov_b32_e32 v24, s15
	v_cmp_ne_u32_e32 vcc, 0, v18
	v_cndmask_b32_e32 v18, v24, v23, vcc
	v_mov_b32_e32 v23, s12
	v_cndmask_b32_e32 v19, v23, v19, vcc
	s_xor_b64 s[2:3], s[28:29], s[24:25]
	v_xor_b32_e32 v19, s2, v19
	v_xor_b32_e32 v23, s3, v18
	v_mov_b32_e32 v24, s3
	v_subrev_co_u32_e32 v18, vcc, s2, v19
	v_subb_co_u32_e32 v19, vcc, v23, v24, vcc
	s_cbranch_execnz .LBB59_38
.LBB59_37:
	v_cvt_f32_u32_e32 v18, s14
	s_sub_i32 s2, 0, s14
	s_mov_b32 s3, 0
	v_rcp_iflag_f32_e32 v18, v18
	v_mul_f32_e32 v18, 0x4f7ffffe, v18
	v_cvt_u32_f32_e32 v18, v18
	v_readfirstlane_b32 s12, v18
	s_mul_i32 s2, s2, s12
	s_mul_hi_u32 s2, s12, s2
	s_add_i32 s12, s12, s2
	s_mul_hi_u32 s2, s18, s12
	s_mul_i32 s15, s2, s14
	s_sub_i32 s15, s18, s15
	s_add_i32 s12, s2, 1
	s_sub_i32 s18, s15, s14
	s_cmp_ge_u32 s15, s14
	s_cselect_b32 s2, s12, s2
	s_cselect_b32 s15, s18, s15
	s_add_i32 s12, s2, 1
	s_cmp_ge_u32 s15, s14
	s_cselect_b32 s2, s12, s2
	v_pk_mov_b32 v[18:19], s[2:3], s[2:3] op_sel:[0,1]
.LBB59_38:
	v_add_co_u32_e32 v18, vcc, v18, v22
	v_addc_co_u32_e32 v19, vcc, 0, v19, vcc
	s_branch .LBB59_41
.LBB59_39:
                                        ; implicit-def: $vgpr18_vgpr19
	s_cbranch_execz .LBB59_41
; %bb.40:
	v_mul_lo_u32 v18, v22, s8
	v_ashrrev_i32_e32 v19, 31, v18
	v_mov_b32_e32 v22, s7
	v_add_co_u32_e32 v18, vcc, s6, v18
	v_addc_co_u32_e32 v19, vcc, v19, v22, vcc
.LBB59_41:
	s_mov_b64 s[2:3], exec
.LBB59_42:
	s_or_b64 exec, exec, s[10:11]
	s_and_b64 vcc, exec, s[4:5]
	s_cbranch_vccz .LBB59_46
.LBB59_43:
	v_mov_b32_dpp v18, v20 quad_perm:[1,0,3,2] row_mask:0xf bank_mask:0xf
	v_cmp_gt_f32_e32 vcc, v20, v18
	v_cndmask_b32_e32 v18, v18, v20, vcc
	s_nop 1
	v_mov_b32_dpp v19, v18 quad_perm:[2,3,0,1] row_mask:0xf bank_mask:0xf
	v_cmp_gt_f32_e32 vcc, v18, v19
	v_cndmask_b32_e32 v18, v19, v18, vcc
	s_nop 1
	v_mov_b32_dpp v19, v18 row_half_mirror row_mask:0xf bank_mask:0xf
	v_cmp_gt_f32_e32 vcc, v18, v19
	v_cndmask_b32_e32 v18, v19, v18, vcc
	s_nop 1
	v_mov_b32_dpp v19, v18 row_mirror row_mask:0xf bank_mask:0xf
	v_cmp_gt_f32_e32 vcc, v18, v19
	v_cndmask_b32_e32 v18, v19, v18, vcc
	s_nop 1
	v_mov_b32_dpp v19, v18 row_bcast:15 row_mask:0xf bank_mask:0xf
	v_cmp_gt_f32_e32 vcc, v18, v19
	v_cndmask_b32_e32 v18, v19, v18, vcc
	s_nop 1
	v_mov_b32_dpp v19, v18 row_bcast:31 row_mask:0xf bank_mask:0xf
	s_and_saveexec_b64 s[2:3], s[0:1]
	s_cbranch_execz .LBB59_45
; %bb.44:
	v_lshrrev_b32_e32 v20, 4, v0
	v_cmp_gt_f32_e32 vcc, v18, v19
	v_and_b32_e32 v20, 60, v20
	v_cndmask_b32_e32 v18, v19, v18, vcc
	ds_write_b32 v20, v18
.LBB59_45:
	s_or_b64 exec, exec, s[2:3]
	s_waitcnt lgkmcnt(0)
	s_barrier
	ds_read_b32 v18, v26
	v_cmp_eq_u32_e64 s[2:3], 0, v0
	s_waitcnt lgkmcnt(0)
	v_mov_b32_dpp v19, v18 quad_perm:[1,0,3,2] row_mask:0xf bank_mask:0xf
	v_cmp_gt_f32_e32 vcc, v18, v19
	v_cndmask_b32_e32 v18, v19, v18, vcc
	s_nop 1
	v_mov_b32_dpp v19, v18 quad_perm:[2,3,0,1] row_mask:0xf bank_mask:0xf
	v_cmp_gt_f32_e32 vcc, v18, v19
	v_cndmask_b32_e32 v18, v19, v18, vcc
	s_nop 1
	v_mov_b32_dpp v19, v18 row_half_mirror row_mask:0xf bank_mask:0xf
	v_cmp_gt_f32_e32 vcc, v18, v19
	v_cndmask_b32_e32 v18, v19, v18, vcc
	v_mul_f32_e32 v21, 0x3c010204, v18
	v_pk_mov_b32 v[18:19], s[6:7], s[6:7] op_sel:[0,1]
.LBB59_46:
	s_and_saveexec_b64 s[0:1], s[2:3]
	s_cbranch_execz .LBB59_48
; %bb.47:
	v_lshlrev_b64 v[18:19], 2, v[18:19]
	v_mov_b32_e32 v0, s21
	v_add_co_u32_e32 v18, vcc, s20, v18
	v_addc_co_u32_e32 v19, vcc, v0, v19, vcc
	global_store_dword v[18:19], v21, off
.LBB59_48:
	s_or_b64 exec, exec, s[0:1]
	s_add_i32 s0, s9, 3
	;;#ASMSTART
	v_rcp_f32 v18, v21
	;;#ASMEND
	v_mov_b32_e32 v19, v18
	;;#ASMSTART
	v_pk_mul_f32 v[12:13], v[12:13], v[18:19]
	;;#ASMEND
	;;#ASMSTART
	v_pk_mul_f32 v[10:11], v[10:11], v[18:19]
	;;#ASMEND
	;; [unrolled: 3-line block ×4, first 2 shown]
	s_ashr_i32 s1, s0, 31
	v_cvt_i32_f32_e32 v0, v12
	v_cvt_i32_f32_sdwa v12, v13 dst_sel:BYTE_1 dst_unused:UNUSED_PAD src0_sel:DWORD
	v_cvt_i32_f32_e32 v10, v10
	v_cvt_i32_f32_sdwa v11, v11 dst_sel:BYTE_1 dst_unused:UNUSED_PAD src0_sel:DWORD
	;; [unrolled: 2-line block ×3, first 2 shown]
	;;#ASMSTART
	v_pk_mul_f32 v[6:7], v[16:17], v[18:19]
	;;#ASMEND
	s_lshr_b32 s1, s1, 30
	v_cvt_i32_f32_e32 v8, v8
	v_cvt_i32_f32_sdwa v9, v9 dst_sel:BYTE_1 dst_unused:UNUSED_PAD src0_sel:DWORD
	v_cvt_i32_f32_e32 v16, v6
	v_cvt_i32_f32_sdwa v17, v7 dst_sel:BYTE_1 dst_unused:UNUSED_PAD src0_sel:DWORD
	;;#ASMSTART
	v_pk_mul_f32 v[6:7], v[14:15], v[18:19]
	;;#ASMEND
	s_add_i32 s0, s0, s1
	v_cvt_i32_f32_e32 v6, v6
	v_cvt_i32_f32_sdwa v7, v7 dst_sel:BYTE_1 dst_unused:UNUSED_PAD src0_sel:DWORD
	;;#ASMSTART
	v_pk_mul_f32 v[4:5], v[4:5], v[18:19]
	;;#ASMEND
	s_and_b32 s2, s0, -4
	s_ashr_i32 s0, s13, 31
	v_cvt_i32_f32_e32 v14, v4
	v_cvt_i32_f32_sdwa v5, v5 dst_sel:BYTE_1 dst_unused:UNUSED_PAD src0_sel:DWORD
	;;#ASMSTART
	v_pk_mul_f32 v[2:3], v[2:3], v[18:19]
	;;#ASMEND
	v_cvt_i32_f32_e32 v15, v2
	v_cvt_i32_f32_sdwa v18, v3 dst_sel:BYTE_1 dst_unused:UNUSED_PAD src0_sel:DWORD
	s_mul_hi_u32 s1, s13, s6
	s_mul_i32 s0, s0, s6
	v_or_b32_sdwa v0, v0, v12 dst_sel:DWORD dst_unused:UNUSED_PAD src0_sel:BYTE_0 src1_sel:DWORD
	v_or_b32_sdwa v2, v10, v11 dst_sel:WORD_1 dst_unused:UNUSED_PAD src0_sel:BYTE_0 src1_sel:DWORD
	s_add_i32 s1, s1, s0
	s_mul_i32 s0, s13, s6
	v_or_b32_sdwa v2, v0, v2 dst_sel:DWORD dst_unused:UNUSED_PAD src0_sel:WORD_0 src1_sel:DWORD
	v_or_b32_sdwa v0, v8, v9 dst_sel:DWORD dst_unused:UNUSED_PAD src0_sel:BYTE_0 src1_sel:DWORD
	v_or_b32_sdwa v3, v13, v20 dst_sel:WORD_1 dst_unused:UNUSED_PAD src0_sel:BYTE_0 src1_sel:DWORD
	s_add_u32 s0, s16, s0
	v_or_b32_sdwa v3, v0, v3 dst_sel:DWORD dst_unused:UNUSED_PAD src0_sel:WORD_0 src1_sel:DWORD
	v_or_b32_sdwa v0, v16, v17 dst_sel:DWORD dst_unused:UNUSED_PAD src0_sel:BYTE_0 src1_sel:DWORD
	v_or_b32_sdwa v4, v6, v7 dst_sel:WORD_1 dst_unused:UNUSED_PAD src0_sel:BYTE_0 src1_sel:DWORD
	s_addc_u32 s1, s17, s1
	v_or_b32_sdwa v4, v0, v4 dst_sel:DWORD dst_unused:UNUSED_PAD src0_sel:WORD_0 src1_sel:DWORD
	v_or_b32_sdwa v0, v14, v5 dst_sel:DWORD dst_unused:UNUSED_PAD src0_sel:BYTE_0 src1_sel:DWORD
	v_or_b32_sdwa v5, v15, v18 dst_sel:WORD_1 dst_unused:UNUSED_PAD src0_sel:BYTE_0 src1_sel:DWORD
	s_and_b32 s1, s1, 0xffff
	s_mov_b32 s3, 0x20000
	v_or_b32_sdwa v5, v0, v5 dst_sel:DWORD dst_unused:UNUSED_PAD src0_sel:WORD_0 src1_sel:DWORD
	buffer_store_dwordx4 v[2:5], v1, s[0:3], 0 offen
	;;#ASMSTART
	s_nop 0
	;;#ASMEND
.LBB59_49:
	s_endpgm
.LBB59_50:
                                        ; implicit-def: $vgpr18_vgpr19
	s_branch .LBB59_37
	.section	.rodata,"a",@progbits
	.p2align	6, 0x0
	.amdhsa_kernel _ZN5aiter24add_rmsnorm_quant_kernelIDF16_aLi512ELi16ELb1ELb1ELb0ELi1EEEvPT0_PT_PfS4_S4_S4_diiiiiiib
		.amdhsa_group_segment_fixed_size 64
		.amdhsa_private_segment_fixed_size 0
		.amdhsa_kernarg_size 88
		.amdhsa_user_sgpr_count 6
		.amdhsa_user_sgpr_private_segment_buffer 1
		.amdhsa_user_sgpr_dispatch_ptr 0
		.amdhsa_user_sgpr_queue_ptr 0
		.amdhsa_user_sgpr_kernarg_segment_ptr 1
		.amdhsa_user_sgpr_dispatch_id 0
		.amdhsa_user_sgpr_flat_scratch_init 0
		.amdhsa_user_sgpr_kernarg_preload_length 0
		.amdhsa_user_sgpr_kernarg_preload_offset 0
		.amdhsa_user_sgpr_private_segment_size 0
		.amdhsa_uses_dynamic_stack 0
		.amdhsa_system_sgpr_private_segment_wavefront_offset 0
		.amdhsa_system_sgpr_workgroup_id_x 1
		.amdhsa_system_sgpr_workgroup_id_y 0
		.amdhsa_system_sgpr_workgroup_id_z 0
		.amdhsa_system_sgpr_workgroup_info 0
		.amdhsa_system_vgpr_workitem_id 0
		.amdhsa_next_free_vgpr 46
		.amdhsa_next_free_sgpr 40
		.amdhsa_accum_offset 48
		.amdhsa_reserve_vcc 1
		.amdhsa_reserve_flat_scratch 0
		.amdhsa_float_round_mode_32 0
		.amdhsa_float_round_mode_16_64 0
		.amdhsa_float_denorm_mode_32 3
		.amdhsa_float_denorm_mode_16_64 3
		.amdhsa_dx10_clamp 1
		.amdhsa_ieee_mode 1
		.amdhsa_fp16_overflow 0
		.amdhsa_tg_split 0
		.amdhsa_exception_fp_ieee_invalid_op 0
		.amdhsa_exception_fp_denorm_src 0
		.amdhsa_exception_fp_ieee_div_zero 0
		.amdhsa_exception_fp_ieee_overflow 0
		.amdhsa_exception_fp_ieee_underflow 0
		.amdhsa_exception_fp_ieee_inexact 0
		.amdhsa_exception_int_div_zero 0
	.end_amdhsa_kernel
	.section	.text._ZN5aiter24add_rmsnorm_quant_kernelIDF16_aLi512ELi16ELb1ELb1ELb0ELi1EEEvPT0_PT_PfS4_S4_S4_diiiiiiib,"axG",@progbits,_ZN5aiter24add_rmsnorm_quant_kernelIDF16_aLi512ELi16ELb1ELb1ELb0ELi1EEEvPT0_PT_PfS4_S4_S4_diiiiiiib,comdat
.Lfunc_end59:
	.size	_ZN5aiter24add_rmsnorm_quant_kernelIDF16_aLi512ELi16ELb1ELb1ELb0ELi1EEEvPT0_PT_PfS4_S4_S4_diiiiiiib, .Lfunc_end59-_ZN5aiter24add_rmsnorm_quant_kernelIDF16_aLi512ELi16ELb1ELb1ELb0ELi1EEEvPT0_PT_PfS4_S4_S4_diiiiiiib
                                        ; -- End function
	.section	.AMDGPU.csdata,"",@progbits
; Kernel info:
; codeLenInByte = 3972
; NumSgprs: 44
; NumVgprs: 46
; NumAgprs: 0
; TotalNumVgprs: 46
; ScratchSize: 0
; MemoryBound: 0
; FloatMode: 240
; IeeeMode: 1
; LDSByteSize: 64 bytes/workgroup (compile time only)
; SGPRBlocks: 5
; VGPRBlocks: 5
; NumSGPRsForWavesPerEU: 44
; NumVGPRsForWavesPerEU: 46
; AccumOffset: 48
; Occupancy: 8
; WaveLimiterHint : 0
; COMPUTE_PGM_RSRC2:SCRATCH_EN: 0
; COMPUTE_PGM_RSRC2:USER_SGPR: 6
; COMPUTE_PGM_RSRC2:TRAP_HANDLER: 0
; COMPUTE_PGM_RSRC2:TGID_X_EN: 1
; COMPUTE_PGM_RSRC2:TGID_Y_EN: 0
; COMPUTE_PGM_RSRC2:TGID_Z_EN: 0
; COMPUTE_PGM_RSRC2:TIDIG_COMP_CNT: 0
; COMPUTE_PGM_RSRC3_GFX90A:ACCUM_OFFSET: 11
; COMPUTE_PGM_RSRC3_GFX90A:TG_SPLIT: 0
	.section	.text._ZN5aiter24add_rmsnorm_quant_kernelItaLi512ELi16ELb1ELb1ELb0ELi1EEEvPT0_PT_PfS4_S4_S4_diiiiiiib,"axG",@progbits,_ZN5aiter24add_rmsnorm_quant_kernelItaLi512ELi16ELb1ELb1ELb0ELi1EEEvPT0_PT_PfS4_S4_S4_diiiiiiib,comdat
	.protected	_ZN5aiter24add_rmsnorm_quant_kernelItaLi512ELi16ELb1ELb1ELb0ELi1EEEvPT0_PT_PfS4_S4_S4_diiiiiiib ; -- Begin function _ZN5aiter24add_rmsnorm_quant_kernelItaLi512ELi16ELb1ELb1ELb0ELi1EEEvPT0_PT_PfS4_S4_S4_diiiiiiib
	.globl	_ZN5aiter24add_rmsnorm_quant_kernelItaLi512ELi16ELb1ELb1ELb0ELi1EEEvPT0_PT_PfS4_S4_S4_diiiiiiib
	.p2align	8
	.type	_ZN5aiter24add_rmsnorm_quant_kernelItaLi512ELi16ELb1ELb1ELb0ELi1EEEvPT0_PT_PfS4_S4_S4_diiiiiiib,@function
_ZN5aiter24add_rmsnorm_quant_kernelItaLi512ELi16ELb1ELb1ELb0ELi1EEEvPT0_PT_PfS4_S4_S4_diiiiiiib: ; @_ZN5aiter24add_rmsnorm_quant_kernelItaLi512ELi16ELb1ELb1ELb0ELi1EEEvPT0_PT_PfS4_S4_S4_diiiiiiib
; %bb.0:
	s_load_dwordx8 s[8:15], s[4:5], 0x38
	s_mov_b32 s7, 0
	s_waitcnt lgkmcnt(0)
	s_ashr_i32 s0, s8, 31
	v_mov_b32_e32 v2, s8
	v_mov_b32_e32 v3, s0
	v_cmp_ge_i64_e32 vcc, s[6:7], v[2:3]
	s_cbranch_vccnz .LBB60_49
; %bb.1:
	s_load_dwordx8 s[16:23], s[4:5], 0x0
	s_ashr_i32 s0, s10, 31
	s_mul_hi_u32 s1, s10, s6
	s_mul_i32 s0, s0, s6
	s_add_i32 s1, s1, s0
	s_mul_i32 s0, s10, s6
	s_lshl_b64 s[0:1], s[0:1], 1
	s_waitcnt lgkmcnt(0)
	s_add_u32 s0, s22, s0
	s_addc_u32 s1, s23, s1
	s_add_i32 s2, s9, 1
	s_lshr_b32 s3, s2, 31
	s_add_i32 s2, s2, s3
	s_lshl_b32 s2, s2, 1
	s_load_dwordx8 s[24:31], s[4:5], 0x20
	s_and_b32 s2, s2, -4
	s_and_b32 s1, s1, 0xffff
	s_mov_b32 s3, 0x20000
	v_lshlrev_b32_e32 v1, 5, v0
	buffer_load_dwordx4 v[18:21], v1, s[0:3], 16 offen
	buffer_load_dwordx4 v[10:13], v1, s[0:3], 0 offen
	s_ashr_i32 s0, s11, 31
	s_mul_hi_u32 s1, s11, s6
	s_mul_i32 s0, s0, s6
	s_add_i32 s1, s1, s0
	s_mul_i32 s0, s11, s6
	s_waitcnt lgkmcnt(0)
	s_and_b32 s37, s27, 0xffff
	s_lshl_b64 s[0:1], s[0:1], 1
	s_add_u32 s0, s24, s0
	s_addc_u32 s1, s25, s1
	s_and_b32 s1, s1, 0xffff
	buffer_load_dwordx4 v[22:25], v1, s[0:3], 16 offen
	buffer_load_dwordx4 v[14:17], v1, s[0:3], 0 offen
	s_mov_b32 s39, s3
	s_mov_b32 s36, s26
	;; [unrolled: 1-line block ×3, first 2 shown]
	buffer_load_dwordx4 v[6:9], v1, s[36:39], 0 offen
	buffer_load_dwordx4 v[2:5], v1, s[36:39], 16 offen
	s_ashr_i32 s5, s12, 31
	s_mul_hi_u32 s1, s12, s6
	s_mul_i32 s5, s5, s6
	s_mul_i32 s0, s12, s6
	s_add_i32 s1, s1, s5
	s_lshl_b64 s[0:1], s[0:1], 1
	s_add_u32 s0, s18, s0
	s_mov_b32 s4, 0x7060302
	s_addc_u32 s1, s19, s1
	s_and_b32 s1, s1, 0xffff
	s_waitcnt vmcnt(5)
	v_cvt_f32_u32_sdwa v27, v18 dst_sel:DWORD dst_unused:UNUSED_PAD src0_sel:WORD_1
	v_cvt_f32_u32_sdwa v26, v18 dst_sel:DWORD dst_unused:UNUSED_PAD src0_sel:WORD_0
	v_cvt_f32_u32_sdwa v29, v19 dst_sel:DWORD dst_unused:UNUSED_PAD src0_sel:WORD_1
	v_cvt_f32_u32_sdwa v28, v19 dst_sel:DWORD dst_unused:UNUSED_PAD src0_sel:WORD_0
	v_cvt_f32_u32_sdwa v19, v20 dst_sel:DWORD dst_unused:UNUSED_PAD src0_sel:WORD_1
	v_cvt_f32_u32_sdwa v18, v20 dst_sel:DWORD dst_unused:UNUSED_PAD src0_sel:WORD_0
	v_cvt_f32_u32_sdwa v31, v21 dst_sel:DWORD dst_unused:UNUSED_PAD src0_sel:WORD_1
	v_cvt_f32_u32_sdwa v30, v21 dst_sel:DWORD dst_unused:UNUSED_PAD src0_sel:WORD_0
	s_waitcnt vmcnt(4)
	v_cvt_f32_u32_sdwa v21, v10 dst_sel:DWORD dst_unused:UNUSED_PAD src0_sel:WORD_1
	v_cvt_f32_u32_sdwa v20, v10 dst_sel:DWORD dst_unused:UNUSED_PAD src0_sel:WORD_0
	v_cvt_f32_u32_sdwa v33, v11 dst_sel:DWORD dst_unused:UNUSED_PAD src0_sel:WORD_1
	v_cvt_f32_u32_sdwa v32, v11 dst_sel:DWORD dst_unused:UNUSED_PAD src0_sel:WORD_0
	v_cvt_f32_u32_sdwa v35, v12 dst_sel:DWORD dst_unused:UNUSED_PAD src0_sel:WORD_1
	v_cvt_f32_u32_sdwa v34, v12 dst_sel:DWORD dst_unused:UNUSED_PAD src0_sel:WORD_0
	v_cvt_f32_u32_sdwa v37, v13 dst_sel:DWORD dst_unused:UNUSED_PAD src0_sel:WORD_1
	v_cvt_f32_u32_sdwa v36, v13 dst_sel:DWORD dst_unused:UNUSED_PAD src0_sel:WORD_0
	s_waitcnt vmcnt(3)
	v_cvt_f32_u32_sdwa v11, v22 dst_sel:DWORD dst_unused:UNUSED_PAD src0_sel:WORD_1
	v_cvt_f32_u32_sdwa v10, v22 dst_sel:DWORD dst_unused:UNUSED_PAD src0_sel:WORD_0
	v_cvt_f32_u32_sdwa v13, v23 dst_sel:DWORD dst_unused:UNUSED_PAD src0_sel:WORD_1
	v_cvt_f32_u32_sdwa v12, v23 dst_sel:DWORD dst_unused:UNUSED_PAD src0_sel:WORD_0
	v_cvt_f32_u32_sdwa v23, v24 dst_sel:DWORD dst_unused:UNUSED_PAD src0_sel:WORD_1
	v_cvt_f32_u32_sdwa v22, v24 dst_sel:DWORD dst_unused:UNUSED_PAD src0_sel:WORD_0
	v_cvt_f32_u32_sdwa v39, v25 dst_sel:DWORD dst_unused:UNUSED_PAD src0_sel:WORD_1
	v_cvt_f32_u32_sdwa v38, v25 dst_sel:DWORD dst_unused:UNUSED_PAD src0_sel:WORD_0
	s_waitcnt vmcnt(2)
	v_cvt_f32_u32_sdwa v25, v14 dst_sel:DWORD dst_unused:UNUSED_PAD src0_sel:WORD_1
	v_cvt_f32_u32_sdwa v24, v14 dst_sel:DWORD dst_unused:UNUSED_PAD src0_sel:WORD_0
	v_cvt_f32_u32_sdwa v41, v15 dst_sel:DWORD dst_unused:UNUSED_PAD src0_sel:WORD_1
	v_cvt_f32_u32_sdwa v40, v15 dst_sel:DWORD dst_unused:UNUSED_PAD src0_sel:WORD_0
	v_cvt_f32_u32_sdwa v43, v16 dst_sel:DWORD dst_unused:UNUSED_PAD src0_sel:WORD_1
	v_cvt_f32_u32_sdwa v42, v16 dst_sel:DWORD dst_unused:UNUSED_PAD src0_sel:WORD_0
	v_cvt_f32_u32_sdwa v45, v17 dst_sel:DWORD dst_unused:UNUSED_PAD src0_sel:WORD_1
	v_cvt_f32_u32_sdwa v44, v17 dst_sel:DWORD dst_unused:UNUSED_PAD src0_sel:WORD_0
	v_pk_add_f32 v[16:17], v[26:27], v[10:11]
	v_pk_add_f32 v[14:15], v[28:29], v[12:13]
	v_pk_add_f32 v[12:13], v[18:19], v[22:23]
	v_pk_add_f32 v[10:11], v[30:31], v[38:39]
	v_pk_add_f32 v[24:25], v[20:21], v[24:25]
	v_pk_add_f32 v[22:23], v[32:33], v[40:41]
	v_pk_add_f32 v[20:21], v[34:35], v[42:43]
	v_pk_add_f32 v[18:19], v[36:37], v[44:45]
	v_perm_b32 v29, v19, v18, s4
	v_perm_b32 v28, v21, v20, s4
	;; [unrolled: 1-line block ×8, first 2 shown]
	v_pk_mul_f32 v[34:35], v[24:25], v[24:25]
	v_pk_mul_f32 v[36:37], v[22:23], v[22:23]
	buffer_store_dwordx4 v[26:29], v1, s[0:3], 0 offen
	;;#ASMSTART
	s_nop 0
	;;#ASMEND
	buffer_store_dwordx4 v[30:33], v1, s[0:3], 16 offen
	v_add_f32_e32 v1, v34, v35
	v_add_f32_e32 v1, v36, v1
	v_pk_mul_f32 v[26:27], v[20:21], v[20:21]
	v_add_f32_e32 v1, v37, v1
	v_add_f32_e32 v1, v26, v1
	v_pk_mul_f32 v[28:29], v[18:19], v[18:19]
	v_add_f32_e32 v1, v27, v1
	v_add_f32_e32 v1, v28, v1
	v_pk_mul_f32 v[30:31], v[16:17], v[16:17]
	v_add_f32_e32 v1, v29, v1
	v_add_f32_e32 v1, v30, v1
	v_pk_mul_f32 v[32:33], v[14:15], v[14:15]
	v_add_f32_e32 v1, v31, v1
	v_add_f32_e32 v1, v32, v1
	v_pk_mul_f32 v[38:39], v[12:13], v[12:13]
	v_add_f32_e32 v1, v33, v1
	v_add_f32_e32 v1, v38, v1
	v_pk_mul_f32 v[40:41], v[10:11], v[10:11]
	v_add_f32_e32 v1, v39, v1
	v_add_f32_e32 v1, v40, v1
	;; [unrolled: 1-line block ×3, first 2 shown]
	v_and_b32_e32 v27, 63, v0
	v_cmp_eq_u32_e64 s[0:1], 63, v27
	v_mov_b32_dpp v26, v1 quad_perm:[1,0,3,2] row_mask:0xf bank_mask:0xf
	v_add_f32_e32 v1, v1, v26
	;;#ASMSTART
	s_nop 0
	;;#ASMEND
	s_nop 1
	v_mov_b32_dpp v26, v1 quad_perm:[2,3,0,1] row_mask:0xf bank_mask:0xf
	v_add_f32_e32 v1, v1, v26
	s_nop 1
	v_mov_b32_dpp v26, v1 row_half_mirror row_mask:0xf bank_mask:0xf
	v_add_f32_e32 v1, v1, v26
	s_nop 1
	v_mov_b32_dpp v26, v1 row_mirror row_mask:0xf bank_mask:0xf
	v_add_f32_e32 v1, v1, v26
	s_nop 1
	v_mov_b32_dpp v26, v1 row_bcast:15 row_mask:0xf bank_mask:0xf
	v_add_f32_e32 v1, v1, v26
	s_nop 1
	v_mov_b32_dpp v26, v1 row_bcast:31 row_mask:0xf bank_mask:0xf
	s_and_saveexec_b64 s[2:3], s[0:1]
	s_cbranch_execz .LBB60_3
; %bb.2:
	v_lshrrev_b32_e32 v27, 4, v0
	v_and_b32_e32 v27, 60, v27
	v_add_f32_e32 v1, v1, v26
	ds_write_b32 v27, v1 offset:32
.LBB60_3:
	s_or_b64 exec, exec, s[2:3]
	v_and_b32_e32 v1, 7, v0
	v_lshlrev_b32_e32 v26, 2, v1
	s_waitcnt lgkmcnt(0)
	s_barrier
	ds_read_b32 v1, v26 offset:32
	v_cvt_f32_i32_e32 v27, s9
	s_waitcnt vmcnt(3)
	v_cvt_f32_u32_sdwa v33, v7 dst_sel:DWORD dst_unused:UNUSED_PAD src0_sel:WORD_1
	v_cvt_f32_u32_sdwa v35, v9 dst_sel:DWORD dst_unused:UNUSED_PAD src0_sel:WORD_1
	v_cvt_f32_u32_sdwa v34, v9 dst_sel:DWORD dst_unused:UNUSED_PAD src0_sel:WORD_0
	s_waitcnt lgkmcnt(0)
	v_mov_b32_dpp v28, v1 quad_perm:[1,0,3,2] row_mask:0xf bank_mask:0xf
	v_add_f32_e32 v1, v1, v28
	s_cmp_lg_u32 s14, 0
	s_nop 0
	v_mov_b32_dpp v28, v1 quad_perm:[2,3,0,1] row_mask:0xf bank_mask:0xf
	v_add_f32_e32 v1, v1, v28
	s_nop 1
	v_mov_b32_dpp v28, v1 row_half_mirror row_mask:0xf bank_mask:0xf
	v_add_f32_e32 v1, v1, v28
	v_div_scale_f32 v28, s[2:3], v27, v27, v1
	v_rcp_f32_e32 v29, v28
	v_div_scale_f32 v30, vcc, v1, v27, v1
	s_mov_b32 s2, 0x800000
	v_fma_f32 v31, -v28, v29, 1.0
	v_fmac_f32_e32 v29, v31, v29
	v_mul_f32_e32 v31, v30, v29
	v_fma_f32 v32, -v28, v31, v30
	v_fmac_f32_e32 v31, v32, v29
	v_fma_f32 v28, -v28, v31, v30
	v_div_fmas_f32 v28, v28, v29, v31
	v_div_fixup_f32 v1, v28, v27, v1
	v_cvt_f64_f32_e32 v[28:29], v1
	v_add_f64 v[28:29], v[28:29], s[28:29]
	v_cvt_f32_f64_e32 v1, v[28:29]
	v_mul_f32_e32 v27, 0x4b800000, v1
	v_cmp_gt_f32_e32 vcc, s2, v1
	v_cndmask_b32_e32 v1, v1, v27, vcc
	v_rsq_f32_e32 v27, v1
	v_cvt_f32_u32_sdwa v32, v7 dst_sel:DWORD dst_unused:UNUSED_PAD src0_sel:WORD_0
	v_cvt_f32_u32_sdwa v7, v8 dst_sel:DWORD dst_unused:UNUSED_PAD src0_sel:WORD_1
	v_lshlrev_b32_e32 v1, 4, v0
	v_mul_f32_e32 v28, 0x45800000, v27
	v_cndmask_b32_e32 v28, v27, v28, vcc
	v_mov_b32_e32 v29, v28
	;;#ASMSTART
	v_pk_mul_f32 v[24:25], v[24:25], v[28:29]
	;;#ASMEND
	;;#ASMSTART
	v_pk_mul_f32 v[22:23], v[22:23], v[28:29]
	;;#ASMEND
	;; [unrolled: 3-line block ×8, first 2 shown]
	v_cvt_f32_u32_sdwa v11, v6 dst_sel:DWORD dst_unused:UNUSED_PAD src0_sel:WORD_1
	v_cvt_f32_u32_sdwa v10, v6 dst_sel:DWORD dst_unused:UNUSED_PAD src0_sel:WORD_0
	v_cvt_f32_u32_sdwa v6, v8 dst_sel:DWORD dst_unused:UNUSED_PAD src0_sel:WORD_0
	;;#ASMSTART
	v_pk_mul_f32 v[12:13], v[24:25], v[10:11]
	;;#ASMEND
	;;#ASMSTART
	v_pk_mul_f32 v[10:11], v[22:23], v[32:33]
	;;#ASMEND
	;; [unrolled: 3-line block ×4, first 2 shown]
	s_waitcnt vmcnt(2)
	v_cvt_f32_u32_sdwa v18, v2 dst_sel:DWORD dst_unused:UNUSED_PAD src0_sel:WORD_0
	v_cvt_f32_u32_sdwa v20, v3 dst_sel:DWORD dst_unused:UNUSED_PAD src0_sel:WORD_0
	v_cvt_f32_u32_sdwa v19, v2 dst_sel:DWORD dst_unused:UNUSED_PAD src0_sel:WORD_1
	v_cvt_f32_u32_sdwa v21, v3 dst_sel:DWORD dst_unused:UNUSED_PAD src0_sel:WORD_1
	v_cvt_f32_u32_sdwa v3, v4 dst_sel:DWORD dst_unused:UNUSED_PAD src0_sel:WORD_1
	v_cvt_f32_u32_sdwa v2, v4 dst_sel:DWORD dst_unused:UNUSED_PAD src0_sel:WORD_0
	;;#ASMSTART
	v_pk_mul_f32 v[16:17], v[16:17], v[18:19]
	;;#ASMEND
	;;#ASMSTART
	v_pk_mul_f32 v[14:15], v[14:15], v[20:21]
	;;#ASMEND
	v_and_b32_e32 v18, 0x7fffffff, v12
	v_mov_b32_e32 v20, 0x2edbe6ff
	v_cvt_f32_u32_sdwa v23, v5 dst_sel:DWORD dst_unused:UNUSED_PAD src0_sel:WORD_1
	v_cvt_f32_u32_sdwa v22, v5 dst_sel:DWORD dst_unused:UNUSED_PAD src0_sel:WORD_0
	;;#ASMSTART
	v_pk_mul_f32 v[4:5], v[30:31], v[2:3]
	;;#ASMEND
	;;#ASMSTART
	v_pk_mul_f32 v[2:3], v[28:29], v[22:23]
	;;#ASMEND
	v_and_b32_e32 v19, 0x7fffffff, v13
	;;#ASMSTART
	v_max3_f32 v18, v20, v18, v19

	;;#ASMEND
	v_and_b32_e32 v20, 0x7fffffff, v11
	v_and_b32_e32 v19, 0x7fffffff, v10
	;;#ASMSTART
	v_max3_f32 v18, v18, v19, v20

	;;#ASMEND
	v_and_b32_e32 v20, 0x7fffffff, v9
	;; [unrolled: 6-line block ×7, first 2 shown]
	v_and_b32_e32 v19, 0x7fffffff, v2
	;;#ASMSTART
	v_max3_f32 v20, v18, v19, v20

	;;#ASMEND
	s_cbranch_scc0 .LBB60_10
; %bb.4:
	s_ashr_i32 s12, s14, 31
	s_lshr_b32 s2, s12, 28
	s_add_i32 s2, s14, s2
	s_ashr_i32 s10, s2, 4
	s_cmp_lt_i32 s10, 16
	s_cbranch_scc1 .LBB60_11
; %bb.5:
	s_cmp_lt_i32 s10, 32
	s_cbranch_scc1 .LBB60_12
; %bb.6:
	;; [unrolled: 3-line block ×3, first 2 shown]
	s_cmp_eq_u32 s10, 64
	v_mov_b32_e32 v18, v20
	s_cbranch_scc0 .LBB60_9
; %bb.8:
	s_nop 0
	v_mov_b32_dpp v18, v20 quad_perm:[1,0,3,2] row_mask:0xf bank_mask:0xf
	v_cmp_gt_f32_e32 vcc, v20, v18
	v_cndmask_b32_e32 v18, v18, v20, vcc
	v_bfrev_b32_e32 v21, 0.5
	s_nop 0
	v_mov_b32_dpp v19, v18 quad_perm:[2,3,0,1] row_mask:0xf bank_mask:0xf
	v_cmp_gt_f32_e32 vcc, v18, v19
	v_cndmask_b32_e32 v18, v19, v18, vcc
	s_nop 1
	v_mov_b32_dpp v19, v18 row_ror:4 row_mask:0xf bank_mask:0xf
	v_cmp_gt_f32_e32 vcc, v18, v19
	v_cndmask_b32_e32 v18, v19, v18, vcc
	s_nop 1
	v_mov_b32_dpp v19, v18 row_ror:8 row_mask:0xf bank_mask:0xf
	v_cmp_gt_f32_e32 vcc, v18, v19
	v_cndmask_b32_e32 v18, v19, v18, vcc
	s_nop 1
	v_mov_b32_dpp v19, v18 row_bcast:15 row_mask:0xf bank_mask:0xf
	v_cmp_gt_f32_e32 vcc, v18, v19
	v_cndmask_b32_e32 v18, v19, v18, vcc
	s_nop 1
	v_mov_b32_dpp v19, v18 row_bcast:31 row_mask:0xf bank_mask:0xf
	v_cmp_gt_f32_e32 vcc, v18, v19
	v_cndmask_b32_e32 v18, v19, v18, vcc
	v_mbcnt_lo_u32_b32 v19, -1, 0
	v_mbcnt_hi_u32_b32 v19, -1, v19
	v_lshl_or_b32 v19, v19, 2, v21
	ds_bpermute_b32 v18, v19, v18
.LBB60_9:
	s_mov_b64 s[2:3], 0
	s_branch .LBB60_14
.LBB60_10:
	s_mov_b64 s[2:3], 0
                                        ; implicit-def: $vgpr21
                                        ; implicit-def: $vgpr18_vgpr19
	s_cbranch_execnz .LBB60_43
	s_branch .LBB60_46
.LBB60_11:
                                        ; implicit-def: $vgpr18
	s_branch .LBB60_21
.LBB60_12:
                                        ; implicit-def: $vgpr18
	s_branch .LBB60_18
.LBB60_13:
	s_mov_b64 s[2:3], -1
                                        ; implicit-def: $vgpr18
.LBB60_14:
	s_andn2_b64 vcc, exec, s[2:3]
	s_cbranch_vccnz .LBB60_17
; %bb.15:
	s_cmp_eq_u32 s10, 32
	s_waitcnt lgkmcnt(0)
	v_mov_b32_e32 v18, v20
	s_cbranch_scc0 .LBB60_17
; %bb.16:
	s_nop 0
	v_mov_b32_dpp v18, v20 quad_perm:[1,0,3,2] row_mask:0xf bank_mask:0xf
	v_cmp_gt_f32_e32 vcc, v20, v18
	v_cndmask_b32_e32 v18, v18, v20, vcc
	v_mov_b32_e32 v21, 0x7c
	s_nop 0
	v_mov_b32_dpp v19, v18 quad_perm:[2,3,0,1] row_mask:0xf bank_mask:0xf
	v_cmp_gt_f32_e32 vcc, v18, v19
	v_cndmask_b32_e32 v18, v19, v18, vcc
	s_nop 1
	v_mov_b32_dpp v19, v18 row_half_mirror row_mask:0xf bank_mask:0xf
	v_cmp_gt_f32_e32 vcc, v18, v19
	v_cndmask_b32_e32 v18, v19, v18, vcc
	s_nop 1
	v_mov_b32_dpp v19, v18 row_mirror row_mask:0xf bank_mask:0xf
	v_cmp_gt_f32_e32 vcc, v18, v19
	v_cndmask_b32_e32 v18, v19, v18, vcc
	s_nop 1
	v_mov_b32_dpp v19, v18 row_bcast:15 row_mask:0xa bank_mask:0xf
	v_cmp_gt_f32_e32 vcc, v18, v19
	v_cndmask_b32_e32 v18, v19, v18, vcc
	v_mbcnt_lo_u32_b32 v19, -1, 0
	v_mbcnt_hi_u32_b32 v19, -1, v19
	v_lshl_or_b32 v19, v19, 2, v21
	ds_bpermute_b32 v18, v19, v18
.LBB60_17:
	s_cbranch_execnz .LBB60_20
.LBB60_18:
	s_cmp_eq_u32 s10, 16
	s_waitcnt lgkmcnt(0)
	v_mov_b32_e32 v18, v20
	s_cbranch_scc0 .LBB60_20
; %bb.19:
	s_nop 0
	v_mov_b32_dpp v18, v20 quad_perm:[1,0,3,2] row_mask:0xf bank_mask:0xf
	v_cmp_gt_f32_e32 vcc, v20, v18
	v_cndmask_b32_e32 v18, v18, v20, vcc
	s_nop 1
	v_mov_b32_dpp v19, v18 quad_perm:[2,3,0,1] row_mask:0xf bank_mask:0xf
	v_cmp_gt_f32_e32 vcc, v18, v19
	v_cndmask_b32_e32 v18, v19, v18, vcc
	s_nop 1
	v_mov_b32_dpp v19, v18 row_half_mirror row_mask:0xf bank_mask:0xf
	v_cmp_gt_f32_e32 vcc, v18, v19
	v_cndmask_b32_e32 v18, v19, v18, vcc
	s_nop 1
	v_mov_b32_dpp v19, v18 row_mirror row_mask:0xf bank_mask:0xf
	v_cmp_gt_f32_e32 vcc, v18, v19
	v_cndmask_b32_e32 v18, v19, v18, vcc
.LBB60_20:
	s_cbranch_execnz .LBB60_33
.LBB60_21:
	s_cmp_lt_i32 s10, 4
	s_cbranch_scc1 .LBB60_25
; %bb.22:
	s_cmp_lt_i32 s10, 8
	s_cbranch_scc1 .LBB60_26
; %bb.23:
	s_cmp_eq_u32 s10, 8
	s_waitcnt lgkmcnt(0)
	v_mov_b32_e32 v18, v20
	s_cbranch_scc0 .LBB60_27
; %bb.24:
	s_nop 0
	v_mov_b32_dpp v18, v20 quad_perm:[1,0,3,2] row_mask:0xf bank_mask:0xf
	v_cmp_gt_f32_e32 vcc, v20, v18
	v_cndmask_b32_e32 v18, v18, v20, vcc
	s_nop 1
	v_mov_b32_dpp v19, v18 quad_perm:[2,3,0,1] row_mask:0xf bank_mask:0xf
	v_cmp_gt_f32_e32 vcc, v18, v19
	v_cndmask_b32_e32 v18, v19, v18, vcc
	s_nop 1
	v_mov_b32_dpp v19, v18 row_half_mirror row_mask:0xf bank_mask:0xf
	v_cmp_gt_f32_e32 vcc, v18, v19
	v_cndmask_b32_e32 v18, v19, v18, vcc
	s_cbranch_execz .LBB60_28
	s_branch .LBB60_30
.LBB60_25:
                                        ; implicit-def: $vgpr18
	s_branch .LBB60_31
.LBB60_26:
                                        ; implicit-def: $vgpr18
	s_branch .LBB60_28
.LBB60_27:
	s_cbranch_execnz .LBB60_30
.LBB60_28:
	s_cmp_eq_u32 s10, 4
	s_waitcnt lgkmcnt(0)
	v_mov_b32_e32 v18, v20
	s_cbranch_scc0 .LBB60_30
; %bb.29:
	s_nop 0
	v_mov_b32_dpp v18, v20 quad_perm:[1,0,3,2] row_mask:0xf bank_mask:0xf
	v_cmp_gt_f32_e32 vcc, v20, v18
	v_cndmask_b32_e32 v18, v18, v20, vcc
	s_nop 1
	v_mov_b32_dpp v19, v18 quad_perm:[2,3,0,1] row_mask:0xf bank_mask:0xf
	v_cmp_gt_f32_e32 vcc, v18, v19
	v_cndmask_b32_e32 v18, v19, v18, vcc
.LBB60_30:
	s_cbranch_execnz .LBB60_33
.LBB60_31:
	s_cmp_lg_u32 s10, 2
	s_waitcnt lgkmcnt(0)
	v_mov_b32_e32 v18, v20
	s_cbranch_scc1 .LBB60_33
; %bb.32:
	s_nop 0
	v_mov_b32_dpp v18, v20 quad_perm:[1,0,3,2] row_mask:0xf bank_mask:0xf
	v_cmp_gt_f32_e32 vcc, v20, v18
	v_cndmask_b32_e32 v18, v18, v20, vcc
.LBB60_33:
	v_cvt_f32_u32_e32 v19, s10
	s_waitcnt lgkmcnt(0)
	v_mul_f32_e32 v21, 0x3c010204, v18
	s_sub_i32 s2, 0, s10
	v_cmp_gt_u32_e32 vcc, s9, v1
	v_rcp_iflag_f32_e32 v19, v19
	s_mov_b64 s[4:5], 0
	v_mul_f32_e32 v18, 0x4f7ffffe, v19
	v_cvt_u32_f32_e32 v18, v18
	v_mul_lo_u32 v19, s2, v18
	v_mul_hi_u32 v19, v18, v19
	v_add_u32_e32 v18, v18, v19
	v_mul_hi_u32 v18, v0, v18
	v_mul_lo_u32 v19, v18, s10
	v_sub_u32_e32 v19, v0, v19
	v_add_u32_e32 v22, 1, v18
	v_cmp_le_u32_e64 s[2:3], s10, v19
	v_cndmask_b32_e64 v18, v18, v22, s[2:3]
	v_subrev_u32_e32 v22, s10, v19
	v_cndmask_b32_e64 v19, v19, v22, s[2:3]
	v_add_u32_e32 v22, 1, v18
	v_cmp_le_u32_e64 s[2:3], s10, v19
	v_cndmask_b32_e64 v22, v18, v22, s[2:3]
	v_mul_lo_u32 v18, v22, s10
	v_sub_u32_e32 v18, v0, v18
	v_cmp_eq_u32_e64 s[2:3], 0, v18
	s_and_b64 s[10:11], s[2:3], vcc
	s_mov_b64 s[2:3], 0
                                        ; implicit-def: $vgpr18_vgpr19
	s_and_saveexec_b64 s[18:19], s[10:11]
	s_xor_b64 s[10:11], exec, s[18:19]
	s_cbranch_execz .LBB60_42
; %bb.34:
	s_bitcmp0_b32 s15, 0
	s_cbranch_scc0 .LBB60_39
; %bb.35:
	s_ashr_i32 s2, s9, 31
	s_mul_hi_u32 s3, s9, s6
	s_mul_i32 s2, s2, s6
	s_add_i32 s19, s3, s2
	s_mul_i32 s18, s9, s6
	s_mov_b32 s15, s12
	s_or_b64 s[2:3], s[18:19], s[14:15]
	s_mov_b32 s2, 0
	s_cmp_lg_u64 s[2:3], 0
	s_cbranch_scc0 .LBB60_50
; %bb.36:
	s_add_u32 s2, s14, s15
	s_mov_b32 s24, s15
	s_mov_b32 s25, s15
	s_addc_u32 s3, s15, s15
	s_xor_b64 s[26:27], s[2:3], s[24:25]
	v_cvt_f32_u32_e32 v18, s26
	v_cvt_f32_u32_e32 v19, s27
	s_sub_u32 s2, 0, s26
	s_subb_u32 s3, 0, s27
	v_madmk_f32 v18, v19, 0x4f800000, v18
	v_rcp_f32_e32 v18, v18
	v_mul_f32_e32 v18, 0x5f7ffffc, v18
	v_mul_f32_e32 v19, 0x2f800000, v18
	v_trunc_f32_e32 v19, v19
	v_madmk_f32 v18, v19, 0xcf800000, v18
	v_cvt_u32_f32_e32 v19, v19
	v_cvt_u32_f32_e32 v18, v18
	v_readfirstlane_b32 s12, v19
	v_readfirstlane_b32 s15, v18
	s_mul_i32 s28, s2, s12
	s_mul_hi_u32 s30, s2, s15
	s_mul_i32 s29, s3, s15
	s_add_i32 s28, s30, s28
	s_add_i32 s28, s28, s29
	s_mul_i32 s31, s2, s15
	s_mul_hi_u32 s29, s15, s28
	s_mul_i32 s30, s15, s28
	s_mul_hi_u32 s15, s15, s31
	s_add_u32 s15, s15, s30
	s_addc_u32 s29, 0, s29
	s_mul_hi_u32 s33, s12, s31
	s_mul_i32 s31, s12, s31
	s_add_u32 s15, s15, s31
	s_mul_hi_u32 s30, s12, s28
	s_addc_u32 s15, s29, s33
	s_addc_u32 s29, s30, 0
	s_mul_i32 s28, s12, s28
	s_add_u32 s15, s15, s28
	s_addc_u32 s28, 0, s29
	v_add_co_u32_e32 v18, vcc, s15, v18
	s_cmp_lg_u64 vcc, 0
	s_addc_u32 s12, s12, s28
	v_readfirstlane_b32 s28, v18
	s_mul_i32 s15, s2, s12
	s_mul_hi_u32 s29, s2, s28
	s_add_i32 s15, s29, s15
	s_mul_i32 s3, s3, s28
	s_add_i32 s15, s15, s3
	s_mul_i32 s2, s2, s28
	s_mul_hi_u32 s29, s12, s2
	s_mul_i32 s30, s12, s2
	s_mul_i32 s33, s28, s15
	s_mul_hi_u32 s2, s28, s2
	s_mul_hi_u32 s31, s28, s15
	s_add_u32 s2, s2, s33
	s_addc_u32 s28, 0, s31
	s_add_u32 s2, s2, s30
	s_mul_hi_u32 s3, s12, s15
	s_addc_u32 s2, s28, s29
	s_addc_u32 s3, s3, 0
	s_mul_i32 s15, s12, s15
	s_add_u32 s2, s2, s15
	s_addc_u32 s3, 0, s3
	v_add_co_u32_e32 v18, vcc, s2, v18
	s_cmp_lg_u64 vcc, 0
	s_addc_u32 s12, s12, s3
	s_ashr_i32 s28, s19, 31
	s_add_u32 s2, s18, s28
	s_mov_b32 s29, s28
	s_addc_u32 s3, s19, s28
	s_xor_b64 s[30:31], s[2:3], s[28:29]
	v_readfirstlane_b32 s15, v18
	s_mul_i32 s3, s30, s12
	s_mul_hi_u32 s19, s30, s15
	s_mul_hi_u32 s2, s30, s12
	s_add_u32 s3, s19, s3
	s_addc_u32 s2, 0, s2
	s_mul_hi_u32 s33, s31, s15
	s_mul_i32 s15, s31, s15
	s_add_u32 s3, s3, s15
	s_mul_hi_u32 s19, s31, s12
	s_addc_u32 s2, s2, s33
	s_addc_u32 s3, s19, 0
	s_mul_i32 s12, s31, s12
	s_add_u32 s12, s2, s12
	s_addc_u32 s15, 0, s3
	s_mul_i32 s2, s26, s15
	s_mul_hi_u32 s3, s26, s12
	s_add_i32 s2, s3, s2
	s_mul_i32 s3, s27, s12
	s_add_i32 s19, s2, s3
	s_mul_i32 s3, s26, s12
	v_mov_b32_e32 v18, s3
	s_sub_i32 s2, s31, s19
	v_sub_co_u32_e32 v18, vcc, s30, v18
	s_cmp_lg_u64 vcc, 0
	s_subb_u32 s30, s2, s27
	v_subrev_co_u32_e64 v19, s[2:3], s26, v18
	s_cmp_lg_u64 s[2:3], 0
	s_subb_u32 s30, s30, 0
	s_cmp_ge_u32 s30, s27
	s_cselect_b32 s33, -1, 0
	v_cmp_le_u32_e64 s[2:3], s26, v19
	s_cmp_eq_u32 s30, s27
	v_cndmask_b32_e64 v19, 0, -1, s[2:3]
	v_mov_b32_e32 v23, s33
	s_cselect_b64 s[2:3], -1, 0
	v_cndmask_b32_e64 v19, v23, v19, s[2:3]
	s_add_u32 s2, s12, 1
	s_addc_u32 s30, s15, 0
	s_add_u32 s3, s12, 2
	s_addc_u32 s33, s15, 0
	v_mov_b32_e32 v23, s2
	v_mov_b32_e32 v24, s3
	v_cmp_ne_u32_e64 s[2:3], 0, v19
	v_cndmask_b32_e64 v19, v23, v24, s[2:3]
	v_mov_b32_e32 v23, s30
	v_mov_b32_e32 v24, s33
	s_cmp_lg_u64 vcc, 0
	v_cndmask_b32_e64 v23, v23, v24, s[2:3]
	s_subb_u32 s2, s31, s19
	s_cmp_ge_u32 s2, s27
	s_cselect_b32 s3, -1, 0
	v_cmp_le_u32_e32 vcc, s26, v18
	s_cmp_eq_u32 s2, s27
	v_cndmask_b32_e64 v18, 0, -1, vcc
	v_mov_b32_e32 v24, s3
	s_cselect_b64 vcc, -1, 0
	v_cndmask_b32_e32 v18, v24, v18, vcc
	v_mov_b32_e32 v24, s15
	v_cmp_ne_u32_e32 vcc, 0, v18
	v_cndmask_b32_e32 v18, v24, v23, vcc
	v_mov_b32_e32 v23, s12
	v_cndmask_b32_e32 v19, v23, v19, vcc
	s_xor_b64 s[2:3], s[28:29], s[24:25]
	v_xor_b32_e32 v19, s2, v19
	v_xor_b32_e32 v23, s3, v18
	v_mov_b32_e32 v24, s3
	v_subrev_co_u32_e32 v18, vcc, s2, v19
	v_subb_co_u32_e32 v19, vcc, v23, v24, vcc
	s_cbranch_execnz .LBB60_38
.LBB60_37:
	v_cvt_f32_u32_e32 v18, s14
	s_sub_i32 s2, 0, s14
	s_mov_b32 s3, 0
	v_rcp_iflag_f32_e32 v18, v18
	v_mul_f32_e32 v18, 0x4f7ffffe, v18
	v_cvt_u32_f32_e32 v18, v18
	v_readfirstlane_b32 s12, v18
	s_mul_i32 s2, s2, s12
	s_mul_hi_u32 s2, s12, s2
	s_add_i32 s12, s12, s2
	s_mul_hi_u32 s2, s18, s12
	s_mul_i32 s15, s2, s14
	s_sub_i32 s15, s18, s15
	s_add_i32 s12, s2, 1
	s_sub_i32 s18, s15, s14
	s_cmp_ge_u32 s15, s14
	s_cselect_b32 s2, s12, s2
	s_cselect_b32 s15, s18, s15
	s_add_i32 s12, s2, 1
	s_cmp_ge_u32 s15, s14
	s_cselect_b32 s2, s12, s2
	v_pk_mov_b32 v[18:19], s[2:3], s[2:3] op_sel:[0,1]
.LBB60_38:
	v_add_co_u32_e32 v18, vcc, v18, v22
	v_addc_co_u32_e32 v19, vcc, 0, v19, vcc
	s_branch .LBB60_41
.LBB60_39:
                                        ; implicit-def: $vgpr18_vgpr19
	s_cbranch_execz .LBB60_41
; %bb.40:
	v_mul_lo_u32 v18, v22, s8
	v_ashrrev_i32_e32 v19, 31, v18
	v_mov_b32_e32 v22, s7
	v_add_co_u32_e32 v18, vcc, s6, v18
	v_addc_co_u32_e32 v19, vcc, v19, v22, vcc
.LBB60_41:
	s_mov_b64 s[2:3], exec
.LBB60_42:
	s_or_b64 exec, exec, s[10:11]
	s_and_b64 vcc, exec, s[4:5]
	s_cbranch_vccz .LBB60_46
.LBB60_43:
	v_mov_b32_dpp v18, v20 quad_perm:[1,0,3,2] row_mask:0xf bank_mask:0xf
	v_cmp_gt_f32_e32 vcc, v20, v18
	v_cndmask_b32_e32 v18, v18, v20, vcc
	s_nop 1
	v_mov_b32_dpp v19, v18 quad_perm:[2,3,0,1] row_mask:0xf bank_mask:0xf
	v_cmp_gt_f32_e32 vcc, v18, v19
	v_cndmask_b32_e32 v18, v19, v18, vcc
	s_nop 1
	v_mov_b32_dpp v19, v18 row_half_mirror row_mask:0xf bank_mask:0xf
	v_cmp_gt_f32_e32 vcc, v18, v19
	v_cndmask_b32_e32 v18, v19, v18, vcc
	s_nop 1
	v_mov_b32_dpp v19, v18 row_mirror row_mask:0xf bank_mask:0xf
	v_cmp_gt_f32_e32 vcc, v18, v19
	v_cndmask_b32_e32 v18, v19, v18, vcc
	s_nop 1
	v_mov_b32_dpp v19, v18 row_bcast:15 row_mask:0xf bank_mask:0xf
	v_cmp_gt_f32_e32 vcc, v18, v19
	v_cndmask_b32_e32 v18, v19, v18, vcc
	s_nop 1
	v_mov_b32_dpp v19, v18 row_bcast:31 row_mask:0xf bank_mask:0xf
	s_and_saveexec_b64 s[2:3], s[0:1]
	s_cbranch_execz .LBB60_45
; %bb.44:
	v_lshrrev_b32_e32 v20, 4, v0
	v_cmp_gt_f32_e32 vcc, v18, v19
	v_and_b32_e32 v20, 60, v20
	v_cndmask_b32_e32 v18, v19, v18, vcc
	ds_write_b32 v20, v18
.LBB60_45:
	s_or_b64 exec, exec, s[2:3]
	s_waitcnt lgkmcnt(0)
	s_barrier
	ds_read_b32 v18, v26
	v_cmp_eq_u32_e64 s[2:3], 0, v0
	s_waitcnt lgkmcnt(0)
	v_mov_b32_dpp v19, v18 quad_perm:[1,0,3,2] row_mask:0xf bank_mask:0xf
	v_cmp_gt_f32_e32 vcc, v18, v19
	v_cndmask_b32_e32 v18, v19, v18, vcc
	s_nop 1
	v_mov_b32_dpp v19, v18 quad_perm:[2,3,0,1] row_mask:0xf bank_mask:0xf
	v_cmp_gt_f32_e32 vcc, v18, v19
	v_cndmask_b32_e32 v18, v19, v18, vcc
	s_nop 1
	v_mov_b32_dpp v19, v18 row_half_mirror row_mask:0xf bank_mask:0xf
	v_cmp_gt_f32_e32 vcc, v18, v19
	v_cndmask_b32_e32 v18, v19, v18, vcc
	v_mul_f32_e32 v21, 0x3c010204, v18
	v_pk_mov_b32 v[18:19], s[6:7], s[6:7] op_sel:[0,1]
.LBB60_46:
	s_and_saveexec_b64 s[0:1], s[2:3]
	s_cbranch_execz .LBB60_48
; %bb.47:
	v_lshlrev_b64 v[18:19], 2, v[18:19]
	v_mov_b32_e32 v0, s21
	v_add_co_u32_e32 v18, vcc, s20, v18
	v_addc_co_u32_e32 v19, vcc, v0, v19, vcc
	global_store_dword v[18:19], v21, off
.LBB60_48:
	s_or_b64 exec, exec, s[0:1]
	s_add_i32 s0, s9, 3
	;;#ASMSTART
	v_rcp_f32 v18, v21
	;;#ASMEND
	v_mov_b32_e32 v19, v18
	;;#ASMSTART
	v_pk_mul_f32 v[12:13], v[12:13], v[18:19]
	;;#ASMEND
	;;#ASMSTART
	v_pk_mul_f32 v[10:11], v[10:11], v[18:19]
	;;#ASMEND
	;; [unrolled: 3-line block ×4, first 2 shown]
	s_ashr_i32 s1, s0, 31
	v_cvt_i32_f32_e32 v0, v12
	v_cvt_i32_f32_sdwa v12, v13 dst_sel:BYTE_1 dst_unused:UNUSED_PAD src0_sel:DWORD
	v_cvt_i32_f32_e32 v10, v10
	v_cvt_i32_f32_sdwa v11, v11 dst_sel:BYTE_1 dst_unused:UNUSED_PAD src0_sel:DWORD
	;; [unrolled: 2-line block ×3, first 2 shown]
	;;#ASMSTART
	v_pk_mul_f32 v[6:7], v[16:17], v[18:19]
	;;#ASMEND
	s_lshr_b32 s1, s1, 30
	v_cvt_i32_f32_e32 v8, v8
	v_cvt_i32_f32_sdwa v9, v9 dst_sel:BYTE_1 dst_unused:UNUSED_PAD src0_sel:DWORD
	v_cvt_i32_f32_e32 v16, v6
	v_cvt_i32_f32_sdwa v17, v7 dst_sel:BYTE_1 dst_unused:UNUSED_PAD src0_sel:DWORD
	;;#ASMSTART
	v_pk_mul_f32 v[6:7], v[14:15], v[18:19]
	;;#ASMEND
	s_add_i32 s0, s0, s1
	v_cvt_i32_f32_e32 v6, v6
	v_cvt_i32_f32_sdwa v7, v7 dst_sel:BYTE_1 dst_unused:UNUSED_PAD src0_sel:DWORD
	;;#ASMSTART
	v_pk_mul_f32 v[4:5], v[4:5], v[18:19]
	;;#ASMEND
	s_and_b32 s2, s0, -4
	s_ashr_i32 s0, s13, 31
	v_cvt_i32_f32_e32 v14, v4
	v_cvt_i32_f32_sdwa v5, v5 dst_sel:BYTE_1 dst_unused:UNUSED_PAD src0_sel:DWORD
	;;#ASMSTART
	v_pk_mul_f32 v[2:3], v[2:3], v[18:19]
	;;#ASMEND
	v_cvt_i32_f32_e32 v15, v2
	v_cvt_i32_f32_sdwa v18, v3 dst_sel:BYTE_1 dst_unused:UNUSED_PAD src0_sel:DWORD
	s_mul_hi_u32 s1, s13, s6
	s_mul_i32 s0, s0, s6
	v_or_b32_sdwa v0, v0, v12 dst_sel:DWORD dst_unused:UNUSED_PAD src0_sel:BYTE_0 src1_sel:DWORD
	v_or_b32_sdwa v2, v10, v11 dst_sel:WORD_1 dst_unused:UNUSED_PAD src0_sel:BYTE_0 src1_sel:DWORD
	s_add_i32 s1, s1, s0
	s_mul_i32 s0, s13, s6
	v_or_b32_sdwa v2, v0, v2 dst_sel:DWORD dst_unused:UNUSED_PAD src0_sel:WORD_0 src1_sel:DWORD
	v_or_b32_sdwa v0, v8, v9 dst_sel:DWORD dst_unused:UNUSED_PAD src0_sel:BYTE_0 src1_sel:DWORD
	v_or_b32_sdwa v3, v13, v20 dst_sel:WORD_1 dst_unused:UNUSED_PAD src0_sel:BYTE_0 src1_sel:DWORD
	s_add_u32 s0, s16, s0
	v_or_b32_sdwa v3, v0, v3 dst_sel:DWORD dst_unused:UNUSED_PAD src0_sel:WORD_0 src1_sel:DWORD
	v_or_b32_sdwa v0, v16, v17 dst_sel:DWORD dst_unused:UNUSED_PAD src0_sel:BYTE_0 src1_sel:DWORD
	v_or_b32_sdwa v4, v6, v7 dst_sel:WORD_1 dst_unused:UNUSED_PAD src0_sel:BYTE_0 src1_sel:DWORD
	s_addc_u32 s1, s17, s1
	v_or_b32_sdwa v4, v0, v4 dst_sel:DWORD dst_unused:UNUSED_PAD src0_sel:WORD_0 src1_sel:DWORD
	v_or_b32_sdwa v0, v14, v5 dst_sel:DWORD dst_unused:UNUSED_PAD src0_sel:BYTE_0 src1_sel:DWORD
	v_or_b32_sdwa v5, v15, v18 dst_sel:WORD_1 dst_unused:UNUSED_PAD src0_sel:BYTE_0 src1_sel:DWORD
	s_and_b32 s1, s1, 0xffff
	s_mov_b32 s3, 0x20000
	v_or_b32_sdwa v5, v0, v5 dst_sel:DWORD dst_unused:UNUSED_PAD src0_sel:WORD_0 src1_sel:DWORD
	buffer_store_dwordx4 v[2:5], v1, s[0:3], 0 offen
	;;#ASMSTART
	s_nop 0
	;;#ASMEND
.LBB60_49:
	s_endpgm
.LBB60_50:
                                        ; implicit-def: $vgpr18_vgpr19
	s_branch .LBB60_37
	.section	.rodata,"a",@progbits
	.p2align	6, 0x0
	.amdhsa_kernel _ZN5aiter24add_rmsnorm_quant_kernelItaLi512ELi16ELb1ELb1ELb0ELi1EEEvPT0_PT_PfS4_S4_S4_diiiiiiib
		.amdhsa_group_segment_fixed_size 64
		.amdhsa_private_segment_fixed_size 0
		.amdhsa_kernarg_size 88
		.amdhsa_user_sgpr_count 6
		.amdhsa_user_sgpr_private_segment_buffer 1
		.amdhsa_user_sgpr_dispatch_ptr 0
		.amdhsa_user_sgpr_queue_ptr 0
		.amdhsa_user_sgpr_kernarg_segment_ptr 1
		.amdhsa_user_sgpr_dispatch_id 0
		.amdhsa_user_sgpr_flat_scratch_init 0
		.amdhsa_user_sgpr_kernarg_preload_length 0
		.amdhsa_user_sgpr_kernarg_preload_offset 0
		.amdhsa_user_sgpr_private_segment_size 0
		.amdhsa_uses_dynamic_stack 0
		.amdhsa_system_sgpr_private_segment_wavefront_offset 0
		.amdhsa_system_sgpr_workgroup_id_x 1
		.amdhsa_system_sgpr_workgroup_id_y 0
		.amdhsa_system_sgpr_workgroup_id_z 0
		.amdhsa_system_sgpr_workgroup_info 0
		.amdhsa_system_vgpr_workitem_id 0
		.amdhsa_next_free_vgpr 46
		.amdhsa_next_free_sgpr 40
		.amdhsa_accum_offset 48
		.amdhsa_reserve_vcc 1
		.amdhsa_reserve_flat_scratch 0
		.amdhsa_float_round_mode_32 0
		.amdhsa_float_round_mode_16_64 0
		.amdhsa_float_denorm_mode_32 3
		.amdhsa_float_denorm_mode_16_64 3
		.amdhsa_dx10_clamp 1
		.amdhsa_ieee_mode 1
		.amdhsa_fp16_overflow 0
		.amdhsa_tg_split 0
		.amdhsa_exception_fp_ieee_invalid_op 0
		.amdhsa_exception_fp_denorm_src 0
		.amdhsa_exception_fp_ieee_div_zero 0
		.amdhsa_exception_fp_ieee_overflow 0
		.amdhsa_exception_fp_ieee_underflow 0
		.amdhsa_exception_fp_ieee_inexact 0
		.amdhsa_exception_int_div_zero 0
	.end_amdhsa_kernel
	.section	.text._ZN5aiter24add_rmsnorm_quant_kernelItaLi512ELi16ELb1ELb1ELb0ELi1EEEvPT0_PT_PfS4_S4_S4_diiiiiiib,"axG",@progbits,_ZN5aiter24add_rmsnorm_quant_kernelItaLi512ELi16ELb1ELb1ELb0ELi1EEEvPT0_PT_PfS4_S4_S4_diiiiiiib,comdat
.Lfunc_end60:
	.size	_ZN5aiter24add_rmsnorm_quant_kernelItaLi512ELi16ELb1ELb1ELb0ELi1EEEvPT0_PT_PfS4_S4_S4_diiiiiiib, .Lfunc_end60-_ZN5aiter24add_rmsnorm_quant_kernelItaLi512ELi16ELb1ELb1ELb0ELi1EEEvPT0_PT_PfS4_S4_S4_diiiiiiib
                                        ; -- End function
	.section	.AMDGPU.csdata,"",@progbits
; Kernel info:
; codeLenInByte = 4012
; NumSgprs: 44
; NumVgprs: 46
; NumAgprs: 0
; TotalNumVgprs: 46
; ScratchSize: 0
; MemoryBound: 0
; FloatMode: 240
; IeeeMode: 1
; LDSByteSize: 64 bytes/workgroup (compile time only)
; SGPRBlocks: 5
; VGPRBlocks: 5
; NumSGPRsForWavesPerEU: 44
; NumVGPRsForWavesPerEU: 46
; AccumOffset: 48
; Occupancy: 8
; WaveLimiterHint : 0
; COMPUTE_PGM_RSRC2:SCRATCH_EN: 0
; COMPUTE_PGM_RSRC2:USER_SGPR: 6
; COMPUTE_PGM_RSRC2:TRAP_HANDLER: 0
; COMPUTE_PGM_RSRC2:TGID_X_EN: 1
; COMPUTE_PGM_RSRC2:TGID_Y_EN: 0
; COMPUTE_PGM_RSRC2:TGID_Z_EN: 0
; COMPUTE_PGM_RSRC2:TIDIG_COMP_CNT: 0
; COMPUTE_PGM_RSRC3_GFX90A:ACCUM_OFFSET: 11
; COMPUTE_PGM_RSRC3_GFX90A:TG_SPLIT: 0
	.section	.text._ZN5aiter24add_rmsnorm_quant_kernelIDF16_aLi1024ELi8ELb1ELb1ELb1ELi1EEEvPT0_PT_PfS4_S4_S4_diiiiiiib,"axG",@progbits,_ZN5aiter24add_rmsnorm_quant_kernelIDF16_aLi1024ELi8ELb1ELb1ELb1ELi1EEEvPT0_PT_PfS4_S4_S4_diiiiiiib,comdat
	.protected	_ZN5aiter24add_rmsnorm_quant_kernelIDF16_aLi1024ELi8ELb1ELb1ELb1ELi1EEEvPT0_PT_PfS4_S4_S4_diiiiiiib ; -- Begin function _ZN5aiter24add_rmsnorm_quant_kernelIDF16_aLi1024ELi8ELb1ELb1ELb1ELi1EEEvPT0_PT_PfS4_S4_S4_diiiiiiib
	.globl	_ZN5aiter24add_rmsnorm_quant_kernelIDF16_aLi1024ELi8ELb1ELb1ELb1ELi1EEEvPT0_PT_PfS4_S4_S4_diiiiiiib
	.p2align	8
	.type	_ZN5aiter24add_rmsnorm_quant_kernelIDF16_aLi1024ELi8ELb1ELb1ELb1ELi1EEEvPT0_PT_PfS4_S4_S4_diiiiiiib,@function
_ZN5aiter24add_rmsnorm_quant_kernelIDF16_aLi1024ELi8ELb1ELb1ELb1ELi1EEEvPT0_PT_PfS4_S4_S4_diiiiiiib: ; @_ZN5aiter24add_rmsnorm_quant_kernelIDF16_aLi1024ELi8ELb1ELb1ELb1ELi1EEEvPT0_PT_PfS4_S4_S4_diiiiiiib
; %bb.0:
	s_load_dwordx8 s[8:15], s[4:5], 0x38
	s_mov_b32 s7, 0
	s_waitcnt lgkmcnt(0)
	s_ashr_i32 s0, s8, 31
	v_mov_b32_e32 v2, s8
	v_mov_b32_e32 v3, s0
	v_cmp_ge_i64_e32 vcc, s[6:7], v[2:3]
	s_cbranch_vccnz .LBB61_49
; %bb.1:
	s_load_dwordx8 s[16:23], s[4:5], 0x0
	s_load_dwordx8 s[24:31], s[4:5], 0x20
	s_ashr_i32 s0, s10, 31
	s_mul_hi_u32 s1, s10, s6
	s_mul_i32 s0, s0, s6
	s_add_i32 s1, s1, s0
	s_mul_i32 s0, s10, s6
	s_lshl_b64 s[0:1], s[0:1], 1
	s_waitcnt lgkmcnt(0)
	s_add_u32 s0, s22, s0
	s_addc_u32 s1, s23, s1
	s_add_i32 s2, s9, 1
	s_lshr_b32 s3, s2, 31
	s_add_i32 s2, s2, s3
	s_lshl_b32 s2, s2, 1
	s_and_b32 s2, s2, -4
	s_and_b32 s1, s1, 0xffff
	s_mov_b32 s3, 0x20000
	v_lshlrev_b32_e32 v1, 4, v0
	buffer_load_dwordx4 v[6:9], v1, s[0:3], 0 offen glc slc
	s_ashr_i32 s0, s11, 31
	s_mul_hi_u32 s1, s11, s6
	s_mul_i32 s0, s0, s6
	s_add_i32 s1, s1, s0
	s_mul_i32 s0, s11, s6
	s_and_b32 s37, s27, 0xffff
	s_lshl_b64 s[0:1], s[0:1], 1
	s_add_u32 s0, s24, s0
	s_addc_u32 s1, s25, s1
	s_and_b32 s1, s1, 0xffff
	buffer_load_dwordx4 v[10:13], v1, s[0:3], 0 offen glc slc
	s_mov_b32 s39, s3
	s_mov_b32 s36, s26
	;; [unrolled: 1-line block ×3, first 2 shown]
	buffer_load_dwordx4 v[2:5], v1, s[36:39], 0 offen
	s_ashr_i32 s4, s12, 31
	s_mul_hi_u32 s1, s12, s6
	s_mul_i32 s4, s4, s6
	s_mul_i32 s0, s12, s6
	s_add_i32 s1, s1, s4
	s_lshl_b64 s[0:1], s[0:1], 1
	s_add_u32 s0, s18, s0
	s_addc_u32 s1, s19, s1
	s_and_b32 s1, s1, 0xffff
	v_and_b32_e32 v24, 63, v0
	s_waitcnt vmcnt(2)
	v_cvt_f32_f16_e32 v14, v6
	v_cvt_f32_f16_sdwa v15, v6 dst_sel:DWORD dst_unused:UNUSED_PAD src0_sel:WORD_1
	v_cvt_f32_f16_e32 v6, v7
	v_cvt_f32_f16_sdwa v7, v7 dst_sel:DWORD dst_unused:UNUSED_PAD src0_sel:WORD_1
	;; [unrolled: 2-line block ×4, first 2 shown]
	s_waitcnt vmcnt(1)
	v_cvt_f32_f16_e32 v8, v10
	v_cvt_f32_f16_sdwa v9, v10 dst_sel:DWORD dst_unused:UNUSED_PAD src0_sel:WORD_1
	v_cvt_f32_f16_e32 v10, v11
	v_cvt_f32_f16_sdwa v11, v11 dst_sel:DWORD dst_unused:UNUSED_PAD src0_sel:WORD_1
	;; [unrolled: 2-line block ×4, first 2 shown]
	v_pk_add_f32 v[12:13], v[14:15], v[8:9]
	v_pk_add_f32 v[10:11], v[6:7], v[10:11]
	;; [unrolled: 1-line block ×4, first 2 shown]
	v_cvt_f16_f32_e32 v22, v13
	v_cvt_f16_f32_e32 v23, v12
	;; [unrolled: 1-line block ×8, first 2 shown]
	v_pk_mul_f32 v[14:15], v[12:13], v[12:13]
	v_pk_mul_f32 v[16:17], v[10:11], v[10:11]
	v_add_f32_e32 v14, v14, v15
	v_add_f32_e32 v14, v16, v14
	v_pk_mul_f32 v[18:19], v[8:9], v[8:9]
	v_add_f32_e32 v31, v17, v14
	v_pack_b32_f16 v17, v30, v29
	v_pack_b32_f16 v16, v28, v27
	;; [unrolled: 1-line block ×4, first 2 shown]
	v_add_f32_e32 v18, v18, v31
	v_pk_mul_f32 v[20:21], v[6:7], v[6:7]
	buffer_store_dwordx4 v[14:17], v1, s[0:3], 0 offen glc slc
	v_add_f32_e32 v1, v19, v18
	v_add_f32_e32 v1, v20, v1
	;; [unrolled: 1-line block ×3, first 2 shown]
	v_cmp_eq_u32_e64 s[0:1], 63, v24
	;;#ASMSTART
	s_nop 0
	;;#ASMEND
	s_nop 0
	v_mov_b32_dpp v14, v1 quad_perm:[1,0,3,2] row_mask:0xf bank_mask:0xf
	v_add_f32_e32 v1, v1, v14
	s_nop 1
	v_mov_b32_dpp v14, v1 quad_perm:[2,3,0,1] row_mask:0xf bank_mask:0xf
	v_add_f32_e32 v1, v1, v14
	s_nop 1
	v_mov_b32_dpp v14, v1 row_half_mirror row_mask:0xf bank_mask:0xf
	v_add_f32_e32 v1, v1, v14
	s_nop 1
	v_mov_b32_dpp v14, v1 row_mirror row_mask:0xf bank_mask:0xf
	v_add_f32_e32 v1, v1, v14
	s_nop 1
	v_mov_b32_dpp v14, v1 row_bcast:15 row_mask:0xf bank_mask:0xf
	v_add_f32_e32 v1, v1, v14
	s_nop 1
	v_mov_b32_dpp v14, v1 row_bcast:31 row_mask:0xf bank_mask:0xf
	s_and_saveexec_b64 s[2:3], s[0:1]
	s_cbranch_execz .LBB61_3
; %bb.2:
	v_lshrrev_b32_e32 v15, 4, v0
	v_and_b32_e32 v15, 60, v15
	v_add_f32_e32 v1, v1, v14
	ds_write_b32 v15, v1 offset:64
.LBB61_3:
	s_or_b64 exec, exec, s[2:3]
	v_and_b32_e32 v1, 15, v0
	v_lshlrev_b32_e32 v14, 2, v1
	s_waitcnt lgkmcnt(0)
	s_barrier
	ds_read_b32 v1, v14 offset:64
	v_cvt_f32_i32_e32 v15, s9
	s_waitcnt vmcnt(1)
	v_cvt_f32_f16_sdwa v21, v3 dst_sel:DWORD dst_unused:UNUSED_PAD src0_sel:WORD_1
	v_cvt_f32_f16_sdwa v23, v5 dst_sel:DWORD dst_unused:UNUSED_PAD src0_sel:WORD_1
	v_cvt_f32_f16_e32 v22, v5
	s_waitcnt lgkmcnt(0)
	v_mov_b32_dpp v16, v1 quad_perm:[1,0,3,2] row_mask:0xf bank_mask:0xf
	v_add_f32_e32 v1, v1, v16
	s_cmp_lg_u32 s14, 0
	s_nop 0
	v_mov_b32_dpp v16, v1 quad_perm:[2,3,0,1] row_mask:0xf bank_mask:0xf
	v_add_f32_e32 v1, v1, v16
	s_nop 1
	v_mov_b32_dpp v16, v1 row_half_mirror row_mask:0xf bank_mask:0xf
	v_add_f32_e32 v1, v1, v16
	s_nop 1
	v_mov_b32_dpp v16, v1 row_mirror row_mask:0xf bank_mask:0xf
	v_add_f32_e32 v1, v1, v16
	v_div_scale_f32 v16, s[2:3], v15, v15, v1
	v_rcp_f32_e32 v17, v16
	v_div_scale_f32 v18, vcc, v1, v15, v1
	s_mov_b32 s2, 0x800000
	v_fma_f32 v19, -v16, v17, 1.0
	v_fmac_f32_e32 v17, v19, v17
	v_mul_f32_e32 v19, v18, v17
	v_fma_f32 v20, -v16, v19, v18
	v_fmac_f32_e32 v19, v20, v17
	v_fma_f32 v16, -v16, v19, v18
	v_div_fmas_f32 v16, v16, v17, v19
	v_div_fixup_f32 v1, v16, v15, v1
	v_cvt_f64_f32_e32 v[16:17], v1
	v_add_f64 v[16:17], v[16:17], s[28:29]
	v_cvt_f32_f64_e32 v1, v[16:17]
	v_mul_f32_e32 v15, 0x4b800000, v1
	v_cmp_gt_f32_e32 vcc, s2, v1
	v_cndmask_b32_e32 v1, v1, v15, vcc
	v_rsq_f32_e32 v15, v1
	v_cvt_f32_f16_e32 v20, v3
	v_cvt_f32_f16_sdwa v3, v4 dst_sel:DWORD dst_unused:UNUSED_PAD src0_sel:WORD_1
	v_lshlrev_b32_e32 v1, 3, v0
	v_mul_f32_e32 v16, 0x45800000, v15
	v_cndmask_b32_e32 v16, v15, v16, vcc
	v_mov_b32_e32 v17, v16
	;;#ASMSTART
	v_pk_mul_f32 v[12:13], v[12:13], v[16:17]
	;;#ASMEND
	;;#ASMSTART
	v_pk_mul_f32 v[10:11], v[10:11], v[16:17]
	;;#ASMEND
	;; [unrolled: 3-line block ×4, first 2 shown]
	v_cvt_f32_f16_sdwa v7, v2 dst_sel:DWORD dst_unused:UNUSED_PAD src0_sel:WORD_1
	v_cvt_f32_f16_e32 v6, v2
	v_cvt_f32_f16_e32 v2, v4
	;;#ASMSTART
	v_pk_mul_f32 v[8:9], v[12:13], v[6:7]
	;;#ASMEND
	;;#ASMSTART
	v_pk_mul_f32 v[6:7], v[10:11], v[20:21]
	;;#ASMEND
	v_and_b32_e32 v10, 0x7fffffff, v8
	v_mov_b32_e32 v12, 0x2edbe6ff
	;;#ASMSTART
	v_pk_mul_f32 v[4:5], v[18:19], v[2:3]
	;;#ASMEND
	;;#ASMSTART
	v_pk_mul_f32 v[2:3], v[16:17], v[22:23]
	;;#ASMEND
	v_and_b32_e32 v11, 0x7fffffff, v9
	;;#ASMSTART
	v_max3_f32 v10, v12, v10, v11

	;;#ASMEND
	v_and_b32_e32 v12, 0x7fffffff, v7
	v_and_b32_e32 v11, 0x7fffffff, v6
	;;#ASMSTART
	v_max3_f32 v10, v10, v11, v12

	;;#ASMEND
	v_and_b32_e32 v12, 0x7fffffff, v5
	;; [unrolled: 6-line block ×3, first 2 shown]
	v_and_b32_e32 v11, 0x7fffffff, v2
	;;#ASMSTART
	v_max3_f32 v12, v10, v11, v12

	;;#ASMEND
	s_cbranch_scc0 .LBB61_10
; %bb.4:
	s_ashr_i32 s12, s14, 31
	s_lshr_b32 s2, s12, 29
	s_add_i32 s2, s14, s2
	s_ashr_i32 s10, s2, 3
	s_cmp_lt_i32 s10, 16
	s_cbranch_scc1 .LBB61_11
; %bb.5:
	s_cmp_lt_i32 s10, 32
	s_cbranch_scc1 .LBB61_12
; %bb.6:
	;; [unrolled: 3-line block ×3, first 2 shown]
	s_cmp_eq_u32 s10, 64
	v_mov_b32_e32 v10, v12
	s_cbranch_scc0 .LBB61_9
; %bb.8:
	s_nop 0
	v_mov_b32_dpp v10, v12 quad_perm:[1,0,3,2] row_mask:0xf bank_mask:0xf
	v_cmp_gt_f32_e32 vcc, v12, v10
	v_cndmask_b32_e32 v10, v10, v12, vcc
	v_bfrev_b32_e32 v13, 0.5
	s_nop 0
	v_mov_b32_dpp v11, v10 quad_perm:[2,3,0,1] row_mask:0xf bank_mask:0xf
	v_cmp_gt_f32_e32 vcc, v10, v11
	v_cndmask_b32_e32 v10, v11, v10, vcc
	s_nop 1
	v_mov_b32_dpp v11, v10 row_ror:4 row_mask:0xf bank_mask:0xf
	v_cmp_gt_f32_e32 vcc, v10, v11
	v_cndmask_b32_e32 v10, v11, v10, vcc
	s_nop 1
	v_mov_b32_dpp v11, v10 row_ror:8 row_mask:0xf bank_mask:0xf
	v_cmp_gt_f32_e32 vcc, v10, v11
	v_cndmask_b32_e32 v10, v11, v10, vcc
	s_nop 1
	v_mov_b32_dpp v11, v10 row_bcast:15 row_mask:0xf bank_mask:0xf
	v_cmp_gt_f32_e32 vcc, v10, v11
	v_cndmask_b32_e32 v10, v11, v10, vcc
	s_nop 1
	v_mov_b32_dpp v11, v10 row_bcast:31 row_mask:0xf bank_mask:0xf
	v_cmp_gt_f32_e32 vcc, v10, v11
	v_cndmask_b32_e32 v10, v11, v10, vcc
	v_mbcnt_lo_u32_b32 v11, -1, 0
	v_mbcnt_hi_u32_b32 v11, -1, v11
	v_lshl_or_b32 v11, v11, 2, v13
	ds_bpermute_b32 v10, v11, v10
.LBB61_9:
	s_mov_b64 s[2:3], 0
	s_branch .LBB61_14
.LBB61_10:
	s_mov_b64 s[2:3], 0
                                        ; implicit-def: $vgpr13
                                        ; implicit-def: $vgpr10_vgpr11
	s_cbranch_execnz .LBB61_43
	s_branch .LBB61_46
.LBB61_11:
                                        ; implicit-def: $vgpr10
	s_branch .LBB61_21
.LBB61_12:
                                        ; implicit-def: $vgpr10
	s_branch .LBB61_18
.LBB61_13:
	s_mov_b64 s[2:3], -1
                                        ; implicit-def: $vgpr10
.LBB61_14:
	s_andn2_b64 vcc, exec, s[2:3]
	s_cbranch_vccnz .LBB61_17
; %bb.15:
	s_cmp_eq_u32 s10, 32
	s_waitcnt lgkmcnt(0)
	v_mov_b32_e32 v10, v12
	s_cbranch_scc0 .LBB61_17
; %bb.16:
	s_nop 0
	v_mov_b32_dpp v10, v12 quad_perm:[1,0,3,2] row_mask:0xf bank_mask:0xf
	v_cmp_gt_f32_e32 vcc, v12, v10
	v_cndmask_b32_e32 v10, v10, v12, vcc
	v_mov_b32_e32 v13, 0x7c
	s_nop 0
	v_mov_b32_dpp v11, v10 quad_perm:[2,3,0,1] row_mask:0xf bank_mask:0xf
	v_cmp_gt_f32_e32 vcc, v10, v11
	v_cndmask_b32_e32 v10, v11, v10, vcc
	s_nop 1
	v_mov_b32_dpp v11, v10 row_half_mirror row_mask:0xf bank_mask:0xf
	v_cmp_gt_f32_e32 vcc, v10, v11
	v_cndmask_b32_e32 v10, v11, v10, vcc
	s_nop 1
	v_mov_b32_dpp v11, v10 row_mirror row_mask:0xf bank_mask:0xf
	v_cmp_gt_f32_e32 vcc, v10, v11
	v_cndmask_b32_e32 v10, v11, v10, vcc
	s_nop 1
	v_mov_b32_dpp v11, v10 row_bcast:15 row_mask:0xa bank_mask:0xf
	v_cmp_gt_f32_e32 vcc, v10, v11
	v_cndmask_b32_e32 v10, v11, v10, vcc
	v_mbcnt_lo_u32_b32 v11, -1, 0
	v_mbcnt_hi_u32_b32 v11, -1, v11
	v_lshl_or_b32 v11, v11, 2, v13
	ds_bpermute_b32 v10, v11, v10
.LBB61_17:
	s_cbranch_execnz .LBB61_20
.LBB61_18:
	s_cmp_eq_u32 s10, 16
	s_waitcnt lgkmcnt(0)
	v_mov_b32_e32 v10, v12
	s_cbranch_scc0 .LBB61_20
; %bb.19:
	s_nop 0
	v_mov_b32_dpp v10, v12 quad_perm:[1,0,3,2] row_mask:0xf bank_mask:0xf
	v_cmp_gt_f32_e32 vcc, v12, v10
	v_cndmask_b32_e32 v10, v10, v12, vcc
	s_nop 1
	v_mov_b32_dpp v11, v10 quad_perm:[2,3,0,1] row_mask:0xf bank_mask:0xf
	v_cmp_gt_f32_e32 vcc, v10, v11
	v_cndmask_b32_e32 v10, v11, v10, vcc
	s_nop 1
	v_mov_b32_dpp v11, v10 row_half_mirror row_mask:0xf bank_mask:0xf
	v_cmp_gt_f32_e32 vcc, v10, v11
	v_cndmask_b32_e32 v10, v11, v10, vcc
	s_nop 1
	v_mov_b32_dpp v11, v10 row_mirror row_mask:0xf bank_mask:0xf
	v_cmp_gt_f32_e32 vcc, v10, v11
	v_cndmask_b32_e32 v10, v11, v10, vcc
.LBB61_20:
	s_cbranch_execnz .LBB61_33
.LBB61_21:
	s_cmp_lt_i32 s10, 4
	s_cbranch_scc1 .LBB61_25
; %bb.22:
	s_cmp_lt_i32 s10, 8
	s_cbranch_scc1 .LBB61_26
; %bb.23:
	s_cmp_eq_u32 s10, 8
	s_waitcnt lgkmcnt(0)
	v_mov_b32_e32 v10, v12
	s_cbranch_scc0 .LBB61_27
; %bb.24:
	s_nop 0
	v_mov_b32_dpp v10, v12 quad_perm:[1,0,3,2] row_mask:0xf bank_mask:0xf
	v_cmp_gt_f32_e32 vcc, v12, v10
	v_cndmask_b32_e32 v10, v10, v12, vcc
	s_nop 1
	v_mov_b32_dpp v11, v10 quad_perm:[2,3,0,1] row_mask:0xf bank_mask:0xf
	v_cmp_gt_f32_e32 vcc, v10, v11
	v_cndmask_b32_e32 v10, v11, v10, vcc
	s_nop 1
	v_mov_b32_dpp v11, v10 row_half_mirror row_mask:0xf bank_mask:0xf
	v_cmp_gt_f32_e32 vcc, v10, v11
	v_cndmask_b32_e32 v10, v11, v10, vcc
	s_cbranch_execz .LBB61_28
	s_branch .LBB61_30
.LBB61_25:
                                        ; implicit-def: $vgpr10
	s_branch .LBB61_31
.LBB61_26:
                                        ; implicit-def: $vgpr10
	s_branch .LBB61_28
.LBB61_27:
	s_cbranch_execnz .LBB61_30
.LBB61_28:
	s_cmp_eq_u32 s10, 4
	s_waitcnt lgkmcnt(0)
	v_mov_b32_e32 v10, v12
	s_cbranch_scc0 .LBB61_30
; %bb.29:
	s_nop 0
	v_mov_b32_dpp v10, v12 quad_perm:[1,0,3,2] row_mask:0xf bank_mask:0xf
	v_cmp_gt_f32_e32 vcc, v12, v10
	v_cndmask_b32_e32 v10, v10, v12, vcc
	s_nop 1
	v_mov_b32_dpp v11, v10 quad_perm:[2,3,0,1] row_mask:0xf bank_mask:0xf
	v_cmp_gt_f32_e32 vcc, v10, v11
	v_cndmask_b32_e32 v10, v11, v10, vcc
.LBB61_30:
	s_cbranch_execnz .LBB61_33
.LBB61_31:
	s_cmp_lg_u32 s10, 2
	s_waitcnt lgkmcnt(0)
	v_mov_b32_e32 v10, v12
	s_cbranch_scc1 .LBB61_33
; %bb.32:
	s_nop 0
	v_mov_b32_dpp v10, v12 quad_perm:[1,0,3,2] row_mask:0xf bank_mask:0xf
	v_cmp_gt_f32_e32 vcc, v12, v10
	v_cndmask_b32_e32 v10, v10, v12, vcc
.LBB61_33:
	v_cvt_f32_u32_e32 v11, s10
	s_waitcnt lgkmcnt(0)
	v_mul_f32_e32 v13, 0x3c010204, v10
	s_sub_i32 s2, 0, s10
	v_cmp_gt_u32_e32 vcc, s9, v1
	v_rcp_iflag_f32_e32 v11, v11
	s_mov_b64 s[4:5], 0
	v_mul_f32_e32 v10, 0x4f7ffffe, v11
	v_cvt_u32_f32_e32 v10, v10
	v_mul_lo_u32 v11, s2, v10
	v_mul_hi_u32 v11, v10, v11
	v_add_u32_e32 v10, v10, v11
	v_mul_hi_u32 v10, v0, v10
	v_mul_lo_u32 v11, v10, s10
	v_sub_u32_e32 v11, v0, v11
	v_add_u32_e32 v15, 1, v10
	v_cmp_le_u32_e64 s[2:3], s10, v11
	v_cndmask_b32_e64 v10, v10, v15, s[2:3]
	v_subrev_u32_e32 v15, s10, v11
	v_cndmask_b32_e64 v11, v11, v15, s[2:3]
	v_add_u32_e32 v15, 1, v10
	v_cmp_le_u32_e64 s[2:3], s10, v11
	v_cndmask_b32_e64 v15, v10, v15, s[2:3]
	v_mul_lo_u32 v10, v15, s10
	v_sub_u32_e32 v10, v0, v10
	v_cmp_eq_u32_e64 s[2:3], 0, v10
	s_and_b64 s[10:11], s[2:3], vcc
	s_mov_b64 s[2:3], 0
                                        ; implicit-def: $vgpr10_vgpr11
	s_and_saveexec_b64 s[18:19], s[10:11]
	s_xor_b64 s[10:11], exec, s[18:19]
	s_cbranch_execz .LBB61_42
; %bb.34:
	s_bitcmp0_b32 s15, 0
	s_cbranch_scc0 .LBB61_39
; %bb.35:
	s_ashr_i32 s2, s9, 31
	s_mul_hi_u32 s3, s9, s6
	s_mul_i32 s2, s2, s6
	s_add_i32 s19, s3, s2
	s_mul_i32 s18, s9, s6
	s_mov_b32 s15, s12
	s_or_b64 s[2:3], s[18:19], s[14:15]
	s_mov_b32 s2, 0
	s_cmp_lg_u64 s[2:3], 0
	s_cbranch_scc0 .LBB61_50
; %bb.36:
	s_add_u32 s2, s14, s15
	s_mov_b32 s24, s15
	s_mov_b32 s25, s15
	s_addc_u32 s3, s15, s15
	s_xor_b64 s[26:27], s[2:3], s[24:25]
	v_cvt_f32_u32_e32 v10, s26
	v_cvt_f32_u32_e32 v11, s27
	s_sub_u32 s2, 0, s26
	s_subb_u32 s3, 0, s27
	v_madmk_f32 v10, v11, 0x4f800000, v10
	v_rcp_f32_e32 v10, v10
	v_mul_f32_e32 v10, 0x5f7ffffc, v10
	v_mul_f32_e32 v11, 0x2f800000, v10
	v_trunc_f32_e32 v11, v11
	v_madmk_f32 v10, v11, 0xcf800000, v10
	v_cvt_u32_f32_e32 v11, v11
	v_cvt_u32_f32_e32 v10, v10
	v_readfirstlane_b32 s12, v11
	v_readfirstlane_b32 s15, v10
	s_mul_i32 s28, s2, s12
	s_mul_hi_u32 s30, s2, s15
	s_mul_i32 s29, s3, s15
	s_add_i32 s28, s30, s28
	s_add_i32 s28, s28, s29
	s_mul_i32 s31, s2, s15
	s_mul_hi_u32 s29, s15, s28
	s_mul_i32 s30, s15, s28
	s_mul_hi_u32 s15, s15, s31
	s_add_u32 s15, s15, s30
	s_addc_u32 s29, 0, s29
	s_mul_hi_u32 s33, s12, s31
	s_mul_i32 s31, s12, s31
	s_add_u32 s15, s15, s31
	s_mul_hi_u32 s30, s12, s28
	s_addc_u32 s15, s29, s33
	s_addc_u32 s29, s30, 0
	s_mul_i32 s28, s12, s28
	s_add_u32 s15, s15, s28
	s_addc_u32 s28, 0, s29
	v_add_co_u32_e32 v10, vcc, s15, v10
	s_cmp_lg_u64 vcc, 0
	s_addc_u32 s12, s12, s28
	v_readfirstlane_b32 s28, v10
	s_mul_i32 s15, s2, s12
	s_mul_hi_u32 s29, s2, s28
	s_add_i32 s15, s29, s15
	s_mul_i32 s3, s3, s28
	s_add_i32 s15, s15, s3
	s_mul_i32 s2, s2, s28
	s_mul_hi_u32 s29, s12, s2
	s_mul_i32 s30, s12, s2
	s_mul_i32 s33, s28, s15
	s_mul_hi_u32 s2, s28, s2
	s_mul_hi_u32 s31, s28, s15
	s_add_u32 s2, s2, s33
	s_addc_u32 s28, 0, s31
	s_add_u32 s2, s2, s30
	s_mul_hi_u32 s3, s12, s15
	s_addc_u32 s2, s28, s29
	s_addc_u32 s3, s3, 0
	s_mul_i32 s15, s12, s15
	s_add_u32 s2, s2, s15
	s_addc_u32 s3, 0, s3
	v_add_co_u32_e32 v10, vcc, s2, v10
	s_cmp_lg_u64 vcc, 0
	s_addc_u32 s12, s12, s3
	s_ashr_i32 s28, s19, 31
	s_add_u32 s2, s18, s28
	s_mov_b32 s29, s28
	s_addc_u32 s3, s19, s28
	s_xor_b64 s[30:31], s[2:3], s[28:29]
	v_readfirstlane_b32 s15, v10
	s_mul_i32 s3, s30, s12
	s_mul_hi_u32 s19, s30, s15
	s_mul_hi_u32 s2, s30, s12
	s_add_u32 s3, s19, s3
	s_addc_u32 s2, 0, s2
	s_mul_hi_u32 s33, s31, s15
	s_mul_i32 s15, s31, s15
	s_add_u32 s3, s3, s15
	s_mul_hi_u32 s19, s31, s12
	s_addc_u32 s2, s2, s33
	s_addc_u32 s3, s19, 0
	s_mul_i32 s12, s31, s12
	s_add_u32 s12, s2, s12
	s_addc_u32 s15, 0, s3
	s_mul_i32 s2, s26, s15
	s_mul_hi_u32 s3, s26, s12
	s_add_i32 s2, s3, s2
	s_mul_i32 s3, s27, s12
	s_add_i32 s19, s2, s3
	s_mul_i32 s3, s26, s12
	v_mov_b32_e32 v10, s3
	s_sub_i32 s2, s31, s19
	v_sub_co_u32_e32 v10, vcc, s30, v10
	s_cmp_lg_u64 vcc, 0
	s_subb_u32 s30, s2, s27
	v_subrev_co_u32_e64 v11, s[2:3], s26, v10
	s_cmp_lg_u64 s[2:3], 0
	s_subb_u32 s30, s30, 0
	s_cmp_ge_u32 s30, s27
	s_cselect_b32 s33, -1, 0
	v_cmp_le_u32_e64 s[2:3], s26, v11
	s_cmp_eq_u32 s30, s27
	v_cndmask_b32_e64 v11, 0, -1, s[2:3]
	v_mov_b32_e32 v16, s33
	s_cselect_b64 s[2:3], -1, 0
	v_cndmask_b32_e64 v11, v16, v11, s[2:3]
	s_add_u32 s2, s12, 1
	s_addc_u32 s30, s15, 0
	s_add_u32 s3, s12, 2
	s_addc_u32 s33, s15, 0
	v_mov_b32_e32 v16, s2
	v_mov_b32_e32 v17, s3
	v_cmp_ne_u32_e64 s[2:3], 0, v11
	v_cndmask_b32_e64 v11, v16, v17, s[2:3]
	v_mov_b32_e32 v16, s30
	v_mov_b32_e32 v17, s33
	s_cmp_lg_u64 vcc, 0
	v_cndmask_b32_e64 v16, v16, v17, s[2:3]
	s_subb_u32 s2, s31, s19
	s_cmp_ge_u32 s2, s27
	s_cselect_b32 s3, -1, 0
	v_cmp_le_u32_e32 vcc, s26, v10
	s_cmp_eq_u32 s2, s27
	v_cndmask_b32_e64 v10, 0, -1, vcc
	v_mov_b32_e32 v17, s3
	s_cselect_b64 vcc, -1, 0
	v_cndmask_b32_e32 v10, v17, v10, vcc
	v_mov_b32_e32 v17, s15
	v_cmp_ne_u32_e32 vcc, 0, v10
	v_cndmask_b32_e32 v10, v17, v16, vcc
	v_mov_b32_e32 v16, s12
	v_cndmask_b32_e32 v11, v16, v11, vcc
	s_xor_b64 s[2:3], s[28:29], s[24:25]
	v_xor_b32_e32 v11, s2, v11
	v_xor_b32_e32 v16, s3, v10
	v_mov_b32_e32 v17, s3
	v_subrev_co_u32_e32 v10, vcc, s2, v11
	v_subb_co_u32_e32 v11, vcc, v16, v17, vcc
	s_cbranch_execnz .LBB61_38
.LBB61_37:
	v_cvt_f32_u32_e32 v10, s14
	s_sub_i32 s2, 0, s14
	s_mov_b32 s3, 0
	v_rcp_iflag_f32_e32 v10, v10
	v_mul_f32_e32 v10, 0x4f7ffffe, v10
	v_cvt_u32_f32_e32 v10, v10
	v_readfirstlane_b32 s12, v10
	s_mul_i32 s2, s2, s12
	s_mul_hi_u32 s2, s12, s2
	s_add_i32 s12, s12, s2
	s_mul_hi_u32 s2, s18, s12
	s_mul_i32 s15, s2, s14
	s_sub_i32 s15, s18, s15
	s_add_i32 s12, s2, 1
	s_sub_i32 s18, s15, s14
	s_cmp_ge_u32 s15, s14
	s_cselect_b32 s2, s12, s2
	s_cselect_b32 s15, s18, s15
	s_add_i32 s12, s2, 1
	s_cmp_ge_u32 s15, s14
	s_cselect_b32 s2, s12, s2
	v_pk_mov_b32 v[10:11], s[2:3], s[2:3] op_sel:[0,1]
.LBB61_38:
	v_add_co_u32_e32 v10, vcc, v10, v15
	v_addc_co_u32_e32 v11, vcc, 0, v11, vcc
	s_branch .LBB61_41
.LBB61_39:
                                        ; implicit-def: $vgpr10_vgpr11
	s_cbranch_execz .LBB61_41
; %bb.40:
	v_mul_lo_u32 v10, v15, s8
	v_ashrrev_i32_e32 v11, 31, v10
	v_mov_b32_e32 v15, s7
	v_add_co_u32_e32 v10, vcc, s6, v10
	v_addc_co_u32_e32 v11, vcc, v11, v15, vcc
.LBB61_41:
	s_mov_b64 s[2:3], exec
.LBB61_42:
	s_or_b64 exec, exec, s[10:11]
	s_and_b64 vcc, exec, s[4:5]
	s_cbranch_vccz .LBB61_46
.LBB61_43:
	v_mov_b32_dpp v10, v12 quad_perm:[1,0,3,2] row_mask:0xf bank_mask:0xf
	v_cmp_gt_f32_e32 vcc, v12, v10
	v_cndmask_b32_e32 v10, v10, v12, vcc
	s_nop 1
	v_mov_b32_dpp v11, v10 quad_perm:[2,3,0,1] row_mask:0xf bank_mask:0xf
	v_cmp_gt_f32_e32 vcc, v10, v11
	v_cndmask_b32_e32 v10, v11, v10, vcc
	s_nop 1
	v_mov_b32_dpp v11, v10 row_half_mirror row_mask:0xf bank_mask:0xf
	v_cmp_gt_f32_e32 vcc, v10, v11
	v_cndmask_b32_e32 v10, v11, v10, vcc
	s_nop 1
	v_mov_b32_dpp v11, v10 row_mirror row_mask:0xf bank_mask:0xf
	v_cmp_gt_f32_e32 vcc, v10, v11
	v_cndmask_b32_e32 v10, v11, v10, vcc
	s_nop 1
	v_mov_b32_dpp v11, v10 row_bcast:15 row_mask:0xf bank_mask:0xf
	v_cmp_gt_f32_e32 vcc, v10, v11
	v_cndmask_b32_e32 v10, v11, v10, vcc
	s_nop 1
	v_mov_b32_dpp v11, v10 row_bcast:31 row_mask:0xf bank_mask:0xf
	s_and_saveexec_b64 s[2:3], s[0:1]
	s_cbranch_execz .LBB61_45
; %bb.44:
	v_lshrrev_b32_e32 v12, 4, v0
	v_cmp_gt_f32_e32 vcc, v10, v11
	v_and_b32_e32 v12, 60, v12
	v_cndmask_b32_e32 v10, v11, v10, vcc
	ds_write_b32 v12, v10
.LBB61_45:
	s_or_b64 exec, exec, s[2:3]
	s_waitcnt lgkmcnt(0)
	s_barrier
	ds_read_b32 v10, v14
	v_cmp_eq_u32_e64 s[2:3], 0, v0
	s_waitcnt lgkmcnt(0)
	v_mov_b32_dpp v11, v10 quad_perm:[1,0,3,2] row_mask:0xf bank_mask:0xf
	v_cmp_gt_f32_e32 vcc, v10, v11
	v_cndmask_b32_e32 v10, v11, v10, vcc
	s_nop 1
	v_mov_b32_dpp v11, v10 quad_perm:[2,3,0,1] row_mask:0xf bank_mask:0xf
	v_cmp_gt_f32_e32 vcc, v10, v11
	v_cndmask_b32_e32 v10, v11, v10, vcc
	s_nop 1
	v_mov_b32_dpp v11, v10 row_half_mirror row_mask:0xf bank_mask:0xf
	v_cmp_gt_f32_e32 vcc, v10, v11
	v_cndmask_b32_e32 v10, v11, v10, vcc
	s_nop 1
	v_mov_b32_dpp v11, v10 row_mirror row_mask:0xf bank_mask:0xf
	v_cmp_gt_f32_e32 vcc, v10, v11
	v_cndmask_b32_e32 v10, v11, v10, vcc
	v_mul_f32_e32 v13, 0x3c010204, v10
	v_pk_mov_b32 v[10:11], s[6:7], s[6:7] op_sel:[0,1]
.LBB61_46:
	s_and_saveexec_b64 s[0:1], s[2:3]
	s_cbranch_execz .LBB61_48
; %bb.47:
	v_lshlrev_b64 v[10:11], 2, v[10:11]
	v_mov_b32_e32 v0, s21
	v_add_co_u32_e32 v10, vcc, s20, v10
	v_addc_co_u32_e32 v11, vcc, v0, v11, vcc
	global_store_dword v[10:11], v13, off
.LBB61_48:
	s_or_b64 exec, exec, s[0:1]
	s_add_i32 s0, s9, 3
	s_ashr_i32 s1, s0, 31
	s_lshr_b32 s1, s1, 30
	;;#ASMSTART
	v_rcp_f32 v10, v13
	;;#ASMEND
	v_mov_b32_e32 v11, v10
	;;#ASMSTART
	v_pk_mul_f32 v[8:9], v[8:9], v[10:11]
	;;#ASMEND
	;;#ASMSTART
	v_pk_mul_f32 v[6:7], v[6:7], v[10:11]
	;;#ASMEND
	s_add_i32 s0, s0, s1
	v_cvt_i32_f32_e32 v0, v8
	v_cvt_i32_f32_sdwa v8, v9 dst_sel:BYTE_1 dst_unused:UNUSED_PAD src0_sel:DWORD
	v_cvt_i32_f32_e32 v6, v6
	v_cvt_i32_f32_sdwa v7, v7 dst_sel:BYTE_1 dst_unused:UNUSED_PAD src0_sel:DWORD
	;;#ASMSTART
	v_pk_mul_f32 v[4:5], v[4:5], v[10:11]
	;;#ASMEND
	;;#ASMSTART
	v_pk_mul_f32 v[2:3], v[2:3], v[10:11]
	;;#ASMEND
	s_and_b32 s2, s0, -4
	s_ashr_i32 s0, s13, 31
	v_cvt_i32_f32_e32 v4, v4
	v_cvt_i32_f32_sdwa v5, v5 dst_sel:BYTE_1 dst_unused:UNUSED_PAD src0_sel:DWORD
	v_cvt_i32_f32_e32 v9, v2
	v_cvt_i32_f32_sdwa v3, v3 dst_sel:BYTE_1 dst_unused:UNUSED_PAD src0_sel:DWORD
	s_mul_hi_u32 s1, s13, s6
	s_mul_i32 s0, s0, s6
	s_add_i32 s1, s1, s0
	s_mul_i32 s0, s13, s6
	s_add_u32 s0, s16, s0
	v_or_b32_sdwa v0, v0, v8 dst_sel:DWORD dst_unused:UNUSED_PAD src0_sel:BYTE_0 src1_sel:DWORD
	v_or_b32_sdwa v2, v6, v7 dst_sel:WORD_1 dst_unused:UNUSED_PAD src0_sel:BYTE_0 src1_sel:DWORD
	s_addc_u32 s1, s17, s1
	v_or_b32_sdwa v2, v0, v2 dst_sel:DWORD dst_unused:UNUSED_PAD src0_sel:WORD_0 src1_sel:DWORD
	v_or_b32_sdwa v0, v4, v5 dst_sel:DWORD dst_unused:UNUSED_PAD src0_sel:BYTE_0 src1_sel:DWORD
	v_or_b32_sdwa v3, v9, v3 dst_sel:WORD_1 dst_unused:UNUSED_PAD src0_sel:BYTE_0 src1_sel:DWORD
	s_and_b32 s1, s1, 0xffff
	s_mov_b32 s3, 0x20000
	v_or_b32_sdwa v3, v0, v3 dst_sel:DWORD dst_unused:UNUSED_PAD src0_sel:WORD_0 src1_sel:DWORD
	buffer_store_dwordx2 v[2:3], v1, s[0:3], 0 offen
	;;#ASMSTART
	s_nop 0
	;;#ASMEND
.LBB61_49:
	s_endpgm
.LBB61_50:
                                        ; implicit-def: $vgpr10_vgpr11
	s_branch .LBB61_37
	.section	.rodata,"a",@progbits
	.p2align	6, 0x0
	.amdhsa_kernel _ZN5aiter24add_rmsnorm_quant_kernelIDF16_aLi1024ELi8ELb1ELb1ELb1ELi1EEEvPT0_PT_PfS4_S4_S4_diiiiiiib
		.amdhsa_group_segment_fixed_size 128
		.amdhsa_private_segment_fixed_size 0
		.amdhsa_kernarg_size 88
		.amdhsa_user_sgpr_count 6
		.amdhsa_user_sgpr_private_segment_buffer 1
		.amdhsa_user_sgpr_dispatch_ptr 0
		.amdhsa_user_sgpr_queue_ptr 0
		.amdhsa_user_sgpr_kernarg_segment_ptr 1
		.amdhsa_user_sgpr_dispatch_id 0
		.amdhsa_user_sgpr_flat_scratch_init 0
		.amdhsa_user_sgpr_kernarg_preload_length 0
		.amdhsa_user_sgpr_kernarg_preload_offset 0
		.amdhsa_user_sgpr_private_segment_size 0
		.amdhsa_uses_dynamic_stack 0
		.amdhsa_system_sgpr_private_segment_wavefront_offset 0
		.amdhsa_system_sgpr_workgroup_id_x 1
		.amdhsa_system_sgpr_workgroup_id_y 0
		.amdhsa_system_sgpr_workgroup_id_z 0
		.amdhsa_system_sgpr_workgroup_info 0
		.amdhsa_system_vgpr_workitem_id 0
		.amdhsa_next_free_vgpr 32
		.amdhsa_next_free_sgpr 40
		.amdhsa_accum_offset 32
		.amdhsa_reserve_vcc 1
		.amdhsa_reserve_flat_scratch 0
		.amdhsa_float_round_mode_32 0
		.amdhsa_float_round_mode_16_64 0
		.amdhsa_float_denorm_mode_32 3
		.amdhsa_float_denorm_mode_16_64 3
		.amdhsa_dx10_clamp 1
		.amdhsa_ieee_mode 1
		.amdhsa_fp16_overflow 0
		.amdhsa_tg_split 0
		.amdhsa_exception_fp_ieee_invalid_op 0
		.amdhsa_exception_fp_denorm_src 0
		.amdhsa_exception_fp_ieee_div_zero 0
		.amdhsa_exception_fp_ieee_overflow 0
		.amdhsa_exception_fp_ieee_underflow 0
		.amdhsa_exception_fp_ieee_inexact 0
		.amdhsa_exception_int_div_zero 0
	.end_amdhsa_kernel
	.section	.text._ZN5aiter24add_rmsnorm_quant_kernelIDF16_aLi1024ELi8ELb1ELb1ELb1ELi1EEEvPT0_PT_PfS4_S4_S4_diiiiiiib,"axG",@progbits,_ZN5aiter24add_rmsnorm_quant_kernelIDF16_aLi1024ELi8ELb1ELb1ELb1ELi1EEEvPT0_PT_PfS4_S4_S4_diiiiiiib,comdat
.Lfunc_end61:
	.size	_ZN5aiter24add_rmsnorm_quant_kernelIDF16_aLi1024ELi8ELb1ELb1ELb1ELi1EEEvPT0_PT_PfS4_S4_S4_diiiiiiib, .Lfunc_end61-_ZN5aiter24add_rmsnorm_quant_kernelIDF16_aLi1024ELi8ELb1ELb1ELb1ELi1EEEvPT0_PT_PfS4_S4_S4_diiiiiiib
                                        ; -- End function
	.section	.AMDGPU.csdata,"",@progbits
; Kernel info:
; codeLenInByte = 3364
; NumSgprs: 44
; NumVgprs: 32
; NumAgprs: 0
; TotalNumVgprs: 32
; ScratchSize: 0
; MemoryBound: 0
; FloatMode: 240
; IeeeMode: 1
; LDSByteSize: 128 bytes/workgroup (compile time only)
; SGPRBlocks: 5
; VGPRBlocks: 3
; NumSGPRsForWavesPerEU: 44
; NumVGPRsForWavesPerEU: 32
; AccumOffset: 32
; Occupancy: 8
; WaveLimiterHint : 0
; COMPUTE_PGM_RSRC2:SCRATCH_EN: 0
; COMPUTE_PGM_RSRC2:USER_SGPR: 6
; COMPUTE_PGM_RSRC2:TRAP_HANDLER: 0
; COMPUTE_PGM_RSRC2:TGID_X_EN: 1
; COMPUTE_PGM_RSRC2:TGID_Y_EN: 0
; COMPUTE_PGM_RSRC2:TGID_Z_EN: 0
; COMPUTE_PGM_RSRC2:TIDIG_COMP_CNT: 0
; COMPUTE_PGM_RSRC3_GFX90A:ACCUM_OFFSET: 7
; COMPUTE_PGM_RSRC3_GFX90A:TG_SPLIT: 0
	.section	.text._ZN5aiter24add_rmsnorm_quant_kernelItaLi1024ELi8ELb1ELb1ELb1ELi1EEEvPT0_PT_PfS4_S4_S4_diiiiiiib,"axG",@progbits,_ZN5aiter24add_rmsnorm_quant_kernelItaLi1024ELi8ELb1ELb1ELb1ELi1EEEvPT0_PT_PfS4_S4_S4_diiiiiiib,comdat
	.protected	_ZN5aiter24add_rmsnorm_quant_kernelItaLi1024ELi8ELb1ELb1ELb1ELi1EEEvPT0_PT_PfS4_S4_S4_diiiiiiib ; -- Begin function _ZN5aiter24add_rmsnorm_quant_kernelItaLi1024ELi8ELb1ELb1ELb1ELi1EEEvPT0_PT_PfS4_S4_S4_diiiiiiib
	.globl	_ZN5aiter24add_rmsnorm_quant_kernelItaLi1024ELi8ELb1ELb1ELb1ELi1EEEvPT0_PT_PfS4_S4_S4_diiiiiiib
	.p2align	8
	.type	_ZN5aiter24add_rmsnorm_quant_kernelItaLi1024ELi8ELb1ELb1ELb1ELi1EEEvPT0_PT_PfS4_S4_S4_diiiiiiib,@function
_ZN5aiter24add_rmsnorm_quant_kernelItaLi1024ELi8ELb1ELb1ELb1ELi1EEEvPT0_PT_PfS4_S4_S4_diiiiiiib: ; @_ZN5aiter24add_rmsnorm_quant_kernelItaLi1024ELi8ELb1ELb1ELb1ELi1EEEvPT0_PT_PfS4_S4_S4_diiiiiiib
; %bb.0:
	s_load_dwordx8 s[8:15], s[4:5], 0x38
	s_mov_b32 s7, 0
	s_waitcnt lgkmcnt(0)
	s_ashr_i32 s0, s8, 31
	v_mov_b32_e32 v2, s8
	v_mov_b32_e32 v3, s0
	v_cmp_ge_i64_e32 vcc, s[6:7], v[2:3]
	s_cbranch_vccnz .LBB62_49
; %bb.1:
	s_load_dwordx8 s[16:23], s[4:5], 0x0
	s_load_dwordx8 s[24:31], s[4:5], 0x20
	s_ashr_i32 s0, s10, 31
	s_mul_hi_u32 s1, s10, s6
	s_mul_i32 s0, s0, s6
	s_add_i32 s1, s1, s0
	s_mul_i32 s0, s10, s6
	s_lshl_b64 s[0:1], s[0:1], 1
	s_waitcnt lgkmcnt(0)
	s_add_u32 s0, s22, s0
	s_addc_u32 s1, s23, s1
	s_add_i32 s2, s9, 1
	s_lshr_b32 s3, s2, 31
	s_add_i32 s2, s2, s3
	s_lshl_b32 s2, s2, 1
	s_and_b32 s2, s2, -4
	s_and_b32 s1, s1, 0xffff
	s_mov_b32 s3, 0x20000
	v_lshlrev_b32_e32 v1, 4, v0
	buffer_load_dwordx4 v[6:9], v1, s[0:3], 0 offen glc slc
	s_ashr_i32 s0, s11, 31
	s_mul_hi_u32 s1, s11, s6
	s_mul_i32 s0, s0, s6
	s_add_i32 s1, s1, s0
	s_mul_i32 s0, s11, s6
	s_and_b32 s37, s27, 0xffff
	s_lshl_b64 s[0:1], s[0:1], 1
	s_add_u32 s0, s24, s0
	s_addc_u32 s1, s25, s1
	s_and_b32 s1, s1, 0xffff
	buffer_load_dwordx4 v[10:13], v1, s[0:3], 0 offen glc slc
	s_mov_b32 s39, s3
	s_mov_b32 s36, s26
	;; [unrolled: 1-line block ×3, first 2 shown]
	buffer_load_dwordx4 v[2:5], v1, s[36:39], 0 offen
	s_ashr_i32 s5, s12, 31
	s_mul_hi_u32 s1, s12, s6
	s_mul_i32 s5, s5, s6
	s_mul_i32 s0, s12, s6
	s_add_i32 s1, s1, s5
	s_lshl_b64 s[0:1], s[0:1], 1
	s_add_u32 s0, s18, s0
	s_mov_b32 s4, 0x7060302
	s_addc_u32 s1, s19, s1
	s_and_b32 s1, s1, 0xffff
	v_and_b32_e32 v26, 63, v0
	s_waitcnt vmcnt(2)
	v_cvt_f32_u32_sdwa v15, v6 dst_sel:DWORD dst_unused:UNUSED_PAD src0_sel:WORD_1
	v_cvt_f32_u32_sdwa v14, v6 dst_sel:DWORD dst_unused:UNUSED_PAD src0_sel:WORD_0
	v_cvt_f32_u32_sdwa v17, v7 dst_sel:DWORD dst_unused:UNUSED_PAD src0_sel:WORD_1
	v_cvt_f32_u32_sdwa v16, v7 dst_sel:DWORD dst_unused:UNUSED_PAD src0_sel:WORD_0
	;; [unrolled: 2-line block ×4, first 2 shown]
	s_waitcnt vmcnt(1)
	v_cvt_f32_u32_sdwa v9, v10 dst_sel:DWORD dst_unused:UNUSED_PAD src0_sel:WORD_1
	v_cvt_f32_u32_sdwa v8, v10 dst_sel:DWORD dst_unused:UNUSED_PAD src0_sel:WORD_0
	v_cvt_f32_u32_sdwa v21, v11 dst_sel:DWORD dst_unused:UNUSED_PAD src0_sel:WORD_1
	v_cvt_f32_u32_sdwa v20, v11 dst_sel:DWORD dst_unused:UNUSED_PAD src0_sel:WORD_0
	;; [unrolled: 2-line block ×4, first 2 shown]
	v_pk_add_f32 v[12:13], v[14:15], v[8:9]
	v_pk_add_f32 v[10:11], v[16:17], v[20:21]
	;; [unrolled: 1-line block ×4, first 2 shown]
	v_perm_b32 v17, v7, v6, s4
	v_perm_b32 v16, v9, v8, s4
	;; [unrolled: 1-line block ×4, first 2 shown]
	v_pk_mul_f32 v[18:19], v[12:13], v[12:13]
	v_pk_mul_f32 v[20:21], v[10:11], v[10:11]
	buffer_store_dwordx4 v[14:17], v1, s[0:3], 0 offen glc slc
	v_add_f32_e32 v1, v18, v19
	v_add_f32_e32 v1, v20, v1
	v_pk_mul_f32 v[22:23], v[8:9], v[8:9]
	v_add_f32_e32 v1, v21, v1
	v_add_f32_e32 v1, v22, v1
	v_pk_mul_f32 v[24:25], v[6:7], v[6:7]
	v_add_f32_e32 v1, v23, v1
	v_add_f32_e32 v1, v24, v1
	;; [unrolled: 1-line block ×3, first 2 shown]
	v_cmp_eq_u32_e64 s[0:1], 63, v26
	;;#ASMSTART
	s_nop 0
	;;#ASMEND
	s_nop 0
	v_mov_b32_dpp v14, v1 quad_perm:[1,0,3,2] row_mask:0xf bank_mask:0xf
	v_add_f32_e32 v1, v1, v14
	s_nop 1
	v_mov_b32_dpp v14, v1 quad_perm:[2,3,0,1] row_mask:0xf bank_mask:0xf
	v_add_f32_e32 v1, v1, v14
	s_nop 1
	v_mov_b32_dpp v14, v1 row_half_mirror row_mask:0xf bank_mask:0xf
	v_add_f32_e32 v1, v1, v14
	s_nop 1
	v_mov_b32_dpp v14, v1 row_mirror row_mask:0xf bank_mask:0xf
	v_add_f32_e32 v1, v1, v14
	s_nop 1
	v_mov_b32_dpp v14, v1 row_bcast:15 row_mask:0xf bank_mask:0xf
	v_add_f32_e32 v1, v1, v14
	s_nop 1
	v_mov_b32_dpp v14, v1 row_bcast:31 row_mask:0xf bank_mask:0xf
	s_and_saveexec_b64 s[2:3], s[0:1]
	s_cbranch_execz .LBB62_3
; %bb.2:
	v_lshrrev_b32_e32 v15, 4, v0
	v_and_b32_e32 v15, 60, v15
	v_add_f32_e32 v1, v1, v14
	ds_write_b32 v15, v1 offset:64
.LBB62_3:
	s_or_b64 exec, exec, s[2:3]
	v_and_b32_e32 v1, 15, v0
	v_lshlrev_b32_e32 v14, 2, v1
	s_waitcnt lgkmcnt(0)
	s_barrier
	ds_read_b32 v1, v14 offset:64
	v_cvt_f32_i32_e32 v15, s9
	s_waitcnt vmcnt(1)
	v_cvt_f32_u32_sdwa v21, v3 dst_sel:DWORD dst_unused:UNUSED_PAD src0_sel:WORD_1
	v_cvt_f32_u32_sdwa v23, v5 dst_sel:DWORD dst_unused:UNUSED_PAD src0_sel:WORD_1
	v_cvt_f32_u32_sdwa v22, v5 dst_sel:DWORD dst_unused:UNUSED_PAD src0_sel:WORD_0
	s_waitcnt lgkmcnt(0)
	v_mov_b32_dpp v16, v1 quad_perm:[1,0,3,2] row_mask:0xf bank_mask:0xf
	v_add_f32_e32 v1, v1, v16
	s_cmp_lg_u32 s14, 0
	s_nop 0
	v_mov_b32_dpp v16, v1 quad_perm:[2,3,0,1] row_mask:0xf bank_mask:0xf
	v_add_f32_e32 v1, v1, v16
	s_nop 1
	v_mov_b32_dpp v16, v1 row_half_mirror row_mask:0xf bank_mask:0xf
	v_add_f32_e32 v1, v1, v16
	s_nop 1
	v_mov_b32_dpp v16, v1 row_mirror row_mask:0xf bank_mask:0xf
	v_add_f32_e32 v1, v1, v16
	v_div_scale_f32 v16, s[2:3], v15, v15, v1
	v_rcp_f32_e32 v17, v16
	v_div_scale_f32 v18, vcc, v1, v15, v1
	s_mov_b32 s2, 0x800000
	v_fma_f32 v19, -v16, v17, 1.0
	v_fmac_f32_e32 v17, v19, v17
	v_mul_f32_e32 v19, v18, v17
	v_fma_f32 v20, -v16, v19, v18
	v_fmac_f32_e32 v19, v20, v17
	v_fma_f32 v16, -v16, v19, v18
	v_div_fmas_f32 v16, v16, v17, v19
	v_div_fixup_f32 v1, v16, v15, v1
	v_cvt_f64_f32_e32 v[16:17], v1
	v_add_f64 v[16:17], v[16:17], s[28:29]
	v_cvt_f32_f64_e32 v1, v[16:17]
	v_mul_f32_e32 v15, 0x4b800000, v1
	v_cmp_gt_f32_e32 vcc, s2, v1
	v_cndmask_b32_e32 v1, v1, v15, vcc
	v_rsq_f32_e32 v15, v1
	v_cvt_f32_u32_sdwa v20, v3 dst_sel:DWORD dst_unused:UNUSED_PAD src0_sel:WORD_0
	v_cvt_f32_u32_sdwa v3, v4 dst_sel:DWORD dst_unused:UNUSED_PAD src0_sel:WORD_1
	v_lshlrev_b32_e32 v1, 3, v0
	v_mul_f32_e32 v16, 0x45800000, v15
	v_cndmask_b32_e32 v16, v15, v16, vcc
	v_mov_b32_e32 v17, v16
	;;#ASMSTART
	v_pk_mul_f32 v[12:13], v[12:13], v[16:17]
	;;#ASMEND
	;;#ASMSTART
	v_pk_mul_f32 v[10:11], v[10:11], v[16:17]
	;;#ASMEND
	;; [unrolled: 3-line block ×4, first 2 shown]
	v_cvt_f32_u32_sdwa v7, v2 dst_sel:DWORD dst_unused:UNUSED_PAD src0_sel:WORD_1
	v_cvt_f32_u32_sdwa v6, v2 dst_sel:DWORD dst_unused:UNUSED_PAD src0_sel:WORD_0
	v_cvt_f32_u32_sdwa v2, v4 dst_sel:DWORD dst_unused:UNUSED_PAD src0_sel:WORD_0
	;;#ASMSTART
	v_pk_mul_f32 v[8:9], v[12:13], v[6:7]
	;;#ASMEND
	;;#ASMSTART
	v_pk_mul_f32 v[6:7], v[10:11], v[20:21]
	;;#ASMEND
	v_and_b32_e32 v10, 0x7fffffff, v8
	v_mov_b32_e32 v12, 0x2edbe6ff
	;;#ASMSTART
	v_pk_mul_f32 v[4:5], v[18:19], v[2:3]
	;;#ASMEND
	;;#ASMSTART
	v_pk_mul_f32 v[2:3], v[16:17], v[22:23]
	;;#ASMEND
	v_and_b32_e32 v11, 0x7fffffff, v9
	;;#ASMSTART
	v_max3_f32 v10, v12, v10, v11

	;;#ASMEND
	v_and_b32_e32 v12, 0x7fffffff, v7
	v_and_b32_e32 v11, 0x7fffffff, v6
	;;#ASMSTART
	v_max3_f32 v10, v10, v11, v12

	;;#ASMEND
	v_and_b32_e32 v12, 0x7fffffff, v5
	;; [unrolled: 6-line block ×3, first 2 shown]
	v_and_b32_e32 v11, 0x7fffffff, v2
	;;#ASMSTART
	v_max3_f32 v12, v10, v11, v12

	;;#ASMEND
	s_cbranch_scc0 .LBB62_10
; %bb.4:
	s_ashr_i32 s12, s14, 31
	s_lshr_b32 s2, s12, 29
	s_add_i32 s2, s14, s2
	s_ashr_i32 s10, s2, 3
	s_cmp_lt_i32 s10, 16
	s_cbranch_scc1 .LBB62_11
; %bb.5:
	s_cmp_lt_i32 s10, 32
	s_cbranch_scc1 .LBB62_12
; %bb.6:
	;; [unrolled: 3-line block ×3, first 2 shown]
	s_cmp_eq_u32 s10, 64
	v_mov_b32_e32 v10, v12
	s_cbranch_scc0 .LBB62_9
; %bb.8:
	s_nop 0
	v_mov_b32_dpp v10, v12 quad_perm:[1,0,3,2] row_mask:0xf bank_mask:0xf
	v_cmp_gt_f32_e32 vcc, v12, v10
	v_cndmask_b32_e32 v10, v10, v12, vcc
	v_bfrev_b32_e32 v13, 0.5
	s_nop 0
	v_mov_b32_dpp v11, v10 quad_perm:[2,3,0,1] row_mask:0xf bank_mask:0xf
	v_cmp_gt_f32_e32 vcc, v10, v11
	v_cndmask_b32_e32 v10, v11, v10, vcc
	s_nop 1
	v_mov_b32_dpp v11, v10 row_ror:4 row_mask:0xf bank_mask:0xf
	v_cmp_gt_f32_e32 vcc, v10, v11
	v_cndmask_b32_e32 v10, v11, v10, vcc
	s_nop 1
	v_mov_b32_dpp v11, v10 row_ror:8 row_mask:0xf bank_mask:0xf
	v_cmp_gt_f32_e32 vcc, v10, v11
	v_cndmask_b32_e32 v10, v11, v10, vcc
	s_nop 1
	v_mov_b32_dpp v11, v10 row_bcast:15 row_mask:0xf bank_mask:0xf
	v_cmp_gt_f32_e32 vcc, v10, v11
	v_cndmask_b32_e32 v10, v11, v10, vcc
	s_nop 1
	v_mov_b32_dpp v11, v10 row_bcast:31 row_mask:0xf bank_mask:0xf
	v_cmp_gt_f32_e32 vcc, v10, v11
	v_cndmask_b32_e32 v10, v11, v10, vcc
	v_mbcnt_lo_u32_b32 v11, -1, 0
	v_mbcnt_hi_u32_b32 v11, -1, v11
	v_lshl_or_b32 v11, v11, 2, v13
	ds_bpermute_b32 v10, v11, v10
.LBB62_9:
	s_mov_b64 s[2:3], 0
	s_branch .LBB62_14
.LBB62_10:
	s_mov_b64 s[2:3], 0
                                        ; implicit-def: $vgpr13
                                        ; implicit-def: $vgpr10_vgpr11
	s_cbranch_execnz .LBB62_43
	s_branch .LBB62_46
.LBB62_11:
                                        ; implicit-def: $vgpr10
	s_branch .LBB62_21
.LBB62_12:
                                        ; implicit-def: $vgpr10
	s_branch .LBB62_18
.LBB62_13:
	s_mov_b64 s[2:3], -1
                                        ; implicit-def: $vgpr10
.LBB62_14:
	s_andn2_b64 vcc, exec, s[2:3]
	s_cbranch_vccnz .LBB62_17
; %bb.15:
	s_cmp_eq_u32 s10, 32
	s_waitcnt lgkmcnt(0)
	v_mov_b32_e32 v10, v12
	s_cbranch_scc0 .LBB62_17
; %bb.16:
	s_nop 0
	v_mov_b32_dpp v10, v12 quad_perm:[1,0,3,2] row_mask:0xf bank_mask:0xf
	v_cmp_gt_f32_e32 vcc, v12, v10
	v_cndmask_b32_e32 v10, v10, v12, vcc
	v_mov_b32_e32 v13, 0x7c
	s_nop 0
	v_mov_b32_dpp v11, v10 quad_perm:[2,3,0,1] row_mask:0xf bank_mask:0xf
	v_cmp_gt_f32_e32 vcc, v10, v11
	v_cndmask_b32_e32 v10, v11, v10, vcc
	s_nop 1
	v_mov_b32_dpp v11, v10 row_half_mirror row_mask:0xf bank_mask:0xf
	v_cmp_gt_f32_e32 vcc, v10, v11
	v_cndmask_b32_e32 v10, v11, v10, vcc
	s_nop 1
	v_mov_b32_dpp v11, v10 row_mirror row_mask:0xf bank_mask:0xf
	v_cmp_gt_f32_e32 vcc, v10, v11
	v_cndmask_b32_e32 v10, v11, v10, vcc
	s_nop 1
	v_mov_b32_dpp v11, v10 row_bcast:15 row_mask:0xa bank_mask:0xf
	v_cmp_gt_f32_e32 vcc, v10, v11
	v_cndmask_b32_e32 v10, v11, v10, vcc
	v_mbcnt_lo_u32_b32 v11, -1, 0
	v_mbcnt_hi_u32_b32 v11, -1, v11
	v_lshl_or_b32 v11, v11, 2, v13
	ds_bpermute_b32 v10, v11, v10
.LBB62_17:
	s_cbranch_execnz .LBB62_20
.LBB62_18:
	s_cmp_eq_u32 s10, 16
	s_waitcnt lgkmcnt(0)
	v_mov_b32_e32 v10, v12
	s_cbranch_scc0 .LBB62_20
; %bb.19:
	s_nop 0
	v_mov_b32_dpp v10, v12 quad_perm:[1,0,3,2] row_mask:0xf bank_mask:0xf
	v_cmp_gt_f32_e32 vcc, v12, v10
	v_cndmask_b32_e32 v10, v10, v12, vcc
	s_nop 1
	v_mov_b32_dpp v11, v10 quad_perm:[2,3,0,1] row_mask:0xf bank_mask:0xf
	v_cmp_gt_f32_e32 vcc, v10, v11
	v_cndmask_b32_e32 v10, v11, v10, vcc
	s_nop 1
	v_mov_b32_dpp v11, v10 row_half_mirror row_mask:0xf bank_mask:0xf
	v_cmp_gt_f32_e32 vcc, v10, v11
	v_cndmask_b32_e32 v10, v11, v10, vcc
	s_nop 1
	v_mov_b32_dpp v11, v10 row_mirror row_mask:0xf bank_mask:0xf
	v_cmp_gt_f32_e32 vcc, v10, v11
	v_cndmask_b32_e32 v10, v11, v10, vcc
.LBB62_20:
	s_cbranch_execnz .LBB62_33
.LBB62_21:
	s_cmp_lt_i32 s10, 4
	s_cbranch_scc1 .LBB62_25
; %bb.22:
	s_cmp_lt_i32 s10, 8
	s_cbranch_scc1 .LBB62_26
; %bb.23:
	s_cmp_eq_u32 s10, 8
	s_waitcnt lgkmcnt(0)
	v_mov_b32_e32 v10, v12
	s_cbranch_scc0 .LBB62_27
; %bb.24:
	s_nop 0
	v_mov_b32_dpp v10, v12 quad_perm:[1,0,3,2] row_mask:0xf bank_mask:0xf
	v_cmp_gt_f32_e32 vcc, v12, v10
	v_cndmask_b32_e32 v10, v10, v12, vcc
	s_nop 1
	v_mov_b32_dpp v11, v10 quad_perm:[2,3,0,1] row_mask:0xf bank_mask:0xf
	v_cmp_gt_f32_e32 vcc, v10, v11
	v_cndmask_b32_e32 v10, v11, v10, vcc
	s_nop 1
	v_mov_b32_dpp v11, v10 row_half_mirror row_mask:0xf bank_mask:0xf
	v_cmp_gt_f32_e32 vcc, v10, v11
	v_cndmask_b32_e32 v10, v11, v10, vcc
	s_cbranch_execz .LBB62_28
	s_branch .LBB62_30
.LBB62_25:
                                        ; implicit-def: $vgpr10
	s_branch .LBB62_31
.LBB62_26:
                                        ; implicit-def: $vgpr10
	s_branch .LBB62_28
.LBB62_27:
	s_cbranch_execnz .LBB62_30
.LBB62_28:
	s_cmp_eq_u32 s10, 4
	s_waitcnt lgkmcnt(0)
	v_mov_b32_e32 v10, v12
	s_cbranch_scc0 .LBB62_30
; %bb.29:
	s_nop 0
	v_mov_b32_dpp v10, v12 quad_perm:[1,0,3,2] row_mask:0xf bank_mask:0xf
	v_cmp_gt_f32_e32 vcc, v12, v10
	v_cndmask_b32_e32 v10, v10, v12, vcc
	s_nop 1
	v_mov_b32_dpp v11, v10 quad_perm:[2,3,0,1] row_mask:0xf bank_mask:0xf
	v_cmp_gt_f32_e32 vcc, v10, v11
	v_cndmask_b32_e32 v10, v11, v10, vcc
.LBB62_30:
	s_cbranch_execnz .LBB62_33
.LBB62_31:
	s_cmp_lg_u32 s10, 2
	s_waitcnt lgkmcnt(0)
	v_mov_b32_e32 v10, v12
	s_cbranch_scc1 .LBB62_33
; %bb.32:
	s_nop 0
	v_mov_b32_dpp v10, v12 quad_perm:[1,0,3,2] row_mask:0xf bank_mask:0xf
	v_cmp_gt_f32_e32 vcc, v12, v10
	v_cndmask_b32_e32 v10, v10, v12, vcc
.LBB62_33:
	v_cvt_f32_u32_e32 v11, s10
	s_waitcnt lgkmcnt(0)
	v_mul_f32_e32 v13, 0x3c010204, v10
	s_sub_i32 s2, 0, s10
	v_cmp_gt_u32_e32 vcc, s9, v1
	v_rcp_iflag_f32_e32 v11, v11
	s_mov_b64 s[4:5], 0
	v_mul_f32_e32 v10, 0x4f7ffffe, v11
	v_cvt_u32_f32_e32 v10, v10
	v_mul_lo_u32 v11, s2, v10
	v_mul_hi_u32 v11, v10, v11
	v_add_u32_e32 v10, v10, v11
	v_mul_hi_u32 v10, v0, v10
	v_mul_lo_u32 v11, v10, s10
	v_sub_u32_e32 v11, v0, v11
	v_add_u32_e32 v15, 1, v10
	v_cmp_le_u32_e64 s[2:3], s10, v11
	v_cndmask_b32_e64 v10, v10, v15, s[2:3]
	v_subrev_u32_e32 v15, s10, v11
	v_cndmask_b32_e64 v11, v11, v15, s[2:3]
	v_add_u32_e32 v15, 1, v10
	v_cmp_le_u32_e64 s[2:3], s10, v11
	v_cndmask_b32_e64 v15, v10, v15, s[2:3]
	v_mul_lo_u32 v10, v15, s10
	v_sub_u32_e32 v10, v0, v10
	v_cmp_eq_u32_e64 s[2:3], 0, v10
	s_and_b64 s[10:11], s[2:3], vcc
	s_mov_b64 s[2:3], 0
                                        ; implicit-def: $vgpr10_vgpr11
	s_and_saveexec_b64 s[18:19], s[10:11]
	s_xor_b64 s[10:11], exec, s[18:19]
	s_cbranch_execz .LBB62_42
; %bb.34:
	s_bitcmp0_b32 s15, 0
	s_cbranch_scc0 .LBB62_39
; %bb.35:
	s_ashr_i32 s2, s9, 31
	s_mul_hi_u32 s3, s9, s6
	s_mul_i32 s2, s2, s6
	s_add_i32 s19, s3, s2
	s_mul_i32 s18, s9, s6
	s_mov_b32 s15, s12
	s_or_b64 s[2:3], s[18:19], s[14:15]
	s_mov_b32 s2, 0
	s_cmp_lg_u64 s[2:3], 0
	s_cbranch_scc0 .LBB62_50
; %bb.36:
	s_add_u32 s2, s14, s15
	s_mov_b32 s24, s15
	s_mov_b32 s25, s15
	s_addc_u32 s3, s15, s15
	s_xor_b64 s[26:27], s[2:3], s[24:25]
	v_cvt_f32_u32_e32 v10, s26
	v_cvt_f32_u32_e32 v11, s27
	s_sub_u32 s2, 0, s26
	s_subb_u32 s3, 0, s27
	v_madmk_f32 v10, v11, 0x4f800000, v10
	v_rcp_f32_e32 v10, v10
	v_mul_f32_e32 v10, 0x5f7ffffc, v10
	v_mul_f32_e32 v11, 0x2f800000, v10
	v_trunc_f32_e32 v11, v11
	v_madmk_f32 v10, v11, 0xcf800000, v10
	v_cvt_u32_f32_e32 v11, v11
	v_cvt_u32_f32_e32 v10, v10
	v_readfirstlane_b32 s12, v11
	v_readfirstlane_b32 s15, v10
	s_mul_i32 s28, s2, s12
	s_mul_hi_u32 s30, s2, s15
	s_mul_i32 s29, s3, s15
	s_add_i32 s28, s30, s28
	s_add_i32 s28, s28, s29
	s_mul_i32 s31, s2, s15
	s_mul_hi_u32 s29, s15, s28
	s_mul_i32 s30, s15, s28
	s_mul_hi_u32 s15, s15, s31
	s_add_u32 s15, s15, s30
	s_addc_u32 s29, 0, s29
	s_mul_hi_u32 s33, s12, s31
	s_mul_i32 s31, s12, s31
	s_add_u32 s15, s15, s31
	s_mul_hi_u32 s30, s12, s28
	s_addc_u32 s15, s29, s33
	s_addc_u32 s29, s30, 0
	s_mul_i32 s28, s12, s28
	s_add_u32 s15, s15, s28
	s_addc_u32 s28, 0, s29
	v_add_co_u32_e32 v10, vcc, s15, v10
	s_cmp_lg_u64 vcc, 0
	s_addc_u32 s12, s12, s28
	v_readfirstlane_b32 s28, v10
	s_mul_i32 s15, s2, s12
	s_mul_hi_u32 s29, s2, s28
	s_add_i32 s15, s29, s15
	s_mul_i32 s3, s3, s28
	s_add_i32 s15, s15, s3
	s_mul_i32 s2, s2, s28
	s_mul_hi_u32 s29, s12, s2
	s_mul_i32 s30, s12, s2
	s_mul_i32 s33, s28, s15
	s_mul_hi_u32 s2, s28, s2
	s_mul_hi_u32 s31, s28, s15
	s_add_u32 s2, s2, s33
	s_addc_u32 s28, 0, s31
	s_add_u32 s2, s2, s30
	s_mul_hi_u32 s3, s12, s15
	s_addc_u32 s2, s28, s29
	s_addc_u32 s3, s3, 0
	s_mul_i32 s15, s12, s15
	s_add_u32 s2, s2, s15
	s_addc_u32 s3, 0, s3
	v_add_co_u32_e32 v10, vcc, s2, v10
	s_cmp_lg_u64 vcc, 0
	s_addc_u32 s12, s12, s3
	s_ashr_i32 s28, s19, 31
	s_add_u32 s2, s18, s28
	s_mov_b32 s29, s28
	s_addc_u32 s3, s19, s28
	s_xor_b64 s[30:31], s[2:3], s[28:29]
	v_readfirstlane_b32 s15, v10
	s_mul_i32 s3, s30, s12
	s_mul_hi_u32 s19, s30, s15
	s_mul_hi_u32 s2, s30, s12
	s_add_u32 s3, s19, s3
	s_addc_u32 s2, 0, s2
	s_mul_hi_u32 s33, s31, s15
	s_mul_i32 s15, s31, s15
	s_add_u32 s3, s3, s15
	s_mul_hi_u32 s19, s31, s12
	s_addc_u32 s2, s2, s33
	s_addc_u32 s3, s19, 0
	s_mul_i32 s12, s31, s12
	s_add_u32 s12, s2, s12
	s_addc_u32 s15, 0, s3
	s_mul_i32 s2, s26, s15
	s_mul_hi_u32 s3, s26, s12
	s_add_i32 s2, s3, s2
	s_mul_i32 s3, s27, s12
	s_add_i32 s19, s2, s3
	s_mul_i32 s3, s26, s12
	v_mov_b32_e32 v10, s3
	s_sub_i32 s2, s31, s19
	v_sub_co_u32_e32 v10, vcc, s30, v10
	s_cmp_lg_u64 vcc, 0
	s_subb_u32 s30, s2, s27
	v_subrev_co_u32_e64 v11, s[2:3], s26, v10
	s_cmp_lg_u64 s[2:3], 0
	s_subb_u32 s30, s30, 0
	s_cmp_ge_u32 s30, s27
	s_cselect_b32 s33, -1, 0
	v_cmp_le_u32_e64 s[2:3], s26, v11
	s_cmp_eq_u32 s30, s27
	v_cndmask_b32_e64 v11, 0, -1, s[2:3]
	v_mov_b32_e32 v16, s33
	s_cselect_b64 s[2:3], -1, 0
	v_cndmask_b32_e64 v11, v16, v11, s[2:3]
	s_add_u32 s2, s12, 1
	s_addc_u32 s30, s15, 0
	s_add_u32 s3, s12, 2
	s_addc_u32 s33, s15, 0
	v_mov_b32_e32 v16, s2
	v_mov_b32_e32 v17, s3
	v_cmp_ne_u32_e64 s[2:3], 0, v11
	v_cndmask_b32_e64 v11, v16, v17, s[2:3]
	v_mov_b32_e32 v16, s30
	v_mov_b32_e32 v17, s33
	s_cmp_lg_u64 vcc, 0
	v_cndmask_b32_e64 v16, v16, v17, s[2:3]
	s_subb_u32 s2, s31, s19
	s_cmp_ge_u32 s2, s27
	s_cselect_b32 s3, -1, 0
	v_cmp_le_u32_e32 vcc, s26, v10
	s_cmp_eq_u32 s2, s27
	v_cndmask_b32_e64 v10, 0, -1, vcc
	v_mov_b32_e32 v17, s3
	s_cselect_b64 vcc, -1, 0
	v_cndmask_b32_e32 v10, v17, v10, vcc
	v_mov_b32_e32 v17, s15
	v_cmp_ne_u32_e32 vcc, 0, v10
	v_cndmask_b32_e32 v10, v17, v16, vcc
	v_mov_b32_e32 v16, s12
	v_cndmask_b32_e32 v11, v16, v11, vcc
	s_xor_b64 s[2:3], s[28:29], s[24:25]
	v_xor_b32_e32 v11, s2, v11
	v_xor_b32_e32 v16, s3, v10
	v_mov_b32_e32 v17, s3
	v_subrev_co_u32_e32 v10, vcc, s2, v11
	v_subb_co_u32_e32 v11, vcc, v16, v17, vcc
	s_cbranch_execnz .LBB62_38
.LBB62_37:
	v_cvt_f32_u32_e32 v10, s14
	s_sub_i32 s2, 0, s14
	s_mov_b32 s3, 0
	v_rcp_iflag_f32_e32 v10, v10
	v_mul_f32_e32 v10, 0x4f7ffffe, v10
	v_cvt_u32_f32_e32 v10, v10
	v_readfirstlane_b32 s12, v10
	s_mul_i32 s2, s2, s12
	s_mul_hi_u32 s2, s12, s2
	s_add_i32 s12, s12, s2
	s_mul_hi_u32 s2, s18, s12
	s_mul_i32 s15, s2, s14
	s_sub_i32 s15, s18, s15
	s_add_i32 s12, s2, 1
	s_sub_i32 s18, s15, s14
	s_cmp_ge_u32 s15, s14
	s_cselect_b32 s2, s12, s2
	s_cselect_b32 s15, s18, s15
	s_add_i32 s12, s2, 1
	s_cmp_ge_u32 s15, s14
	s_cselect_b32 s2, s12, s2
	v_pk_mov_b32 v[10:11], s[2:3], s[2:3] op_sel:[0,1]
.LBB62_38:
	v_add_co_u32_e32 v10, vcc, v10, v15
	v_addc_co_u32_e32 v11, vcc, 0, v11, vcc
	s_branch .LBB62_41
.LBB62_39:
                                        ; implicit-def: $vgpr10_vgpr11
	s_cbranch_execz .LBB62_41
; %bb.40:
	v_mul_lo_u32 v10, v15, s8
	v_ashrrev_i32_e32 v11, 31, v10
	v_mov_b32_e32 v15, s7
	v_add_co_u32_e32 v10, vcc, s6, v10
	v_addc_co_u32_e32 v11, vcc, v11, v15, vcc
.LBB62_41:
	s_mov_b64 s[2:3], exec
.LBB62_42:
	s_or_b64 exec, exec, s[10:11]
	s_and_b64 vcc, exec, s[4:5]
	s_cbranch_vccz .LBB62_46
.LBB62_43:
	v_mov_b32_dpp v10, v12 quad_perm:[1,0,3,2] row_mask:0xf bank_mask:0xf
	v_cmp_gt_f32_e32 vcc, v12, v10
	v_cndmask_b32_e32 v10, v10, v12, vcc
	s_nop 1
	v_mov_b32_dpp v11, v10 quad_perm:[2,3,0,1] row_mask:0xf bank_mask:0xf
	v_cmp_gt_f32_e32 vcc, v10, v11
	v_cndmask_b32_e32 v10, v11, v10, vcc
	s_nop 1
	v_mov_b32_dpp v11, v10 row_half_mirror row_mask:0xf bank_mask:0xf
	v_cmp_gt_f32_e32 vcc, v10, v11
	v_cndmask_b32_e32 v10, v11, v10, vcc
	s_nop 1
	v_mov_b32_dpp v11, v10 row_mirror row_mask:0xf bank_mask:0xf
	v_cmp_gt_f32_e32 vcc, v10, v11
	v_cndmask_b32_e32 v10, v11, v10, vcc
	s_nop 1
	v_mov_b32_dpp v11, v10 row_bcast:15 row_mask:0xf bank_mask:0xf
	v_cmp_gt_f32_e32 vcc, v10, v11
	v_cndmask_b32_e32 v10, v11, v10, vcc
	s_nop 1
	v_mov_b32_dpp v11, v10 row_bcast:31 row_mask:0xf bank_mask:0xf
	s_and_saveexec_b64 s[2:3], s[0:1]
	s_cbranch_execz .LBB62_45
; %bb.44:
	v_lshrrev_b32_e32 v12, 4, v0
	v_cmp_gt_f32_e32 vcc, v10, v11
	v_and_b32_e32 v12, 60, v12
	v_cndmask_b32_e32 v10, v11, v10, vcc
	ds_write_b32 v12, v10
.LBB62_45:
	s_or_b64 exec, exec, s[2:3]
	s_waitcnt lgkmcnt(0)
	s_barrier
	ds_read_b32 v10, v14
	v_cmp_eq_u32_e64 s[2:3], 0, v0
	s_waitcnt lgkmcnt(0)
	v_mov_b32_dpp v11, v10 quad_perm:[1,0,3,2] row_mask:0xf bank_mask:0xf
	v_cmp_gt_f32_e32 vcc, v10, v11
	v_cndmask_b32_e32 v10, v11, v10, vcc
	s_nop 1
	v_mov_b32_dpp v11, v10 quad_perm:[2,3,0,1] row_mask:0xf bank_mask:0xf
	v_cmp_gt_f32_e32 vcc, v10, v11
	v_cndmask_b32_e32 v10, v11, v10, vcc
	s_nop 1
	v_mov_b32_dpp v11, v10 row_half_mirror row_mask:0xf bank_mask:0xf
	v_cmp_gt_f32_e32 vcc, v10, v11
	v_cndmask_b32_e32 v10, v11, v10, vcc
	s_nop 1
	v_mov_b32_dpp v11, v10 row_mirror row_mask:0xf bank_mask:0xf
	v_cmp_gt_f32_e32 vcc, v10, v11
	v_cndmask_b32_e32 v10, v11, v10, vcc
	v_mul_f32_e32 v13, 0x3c010204, v10
	v_pk_mov_b32 v[10:11], s[6:7], s[6:7] op_sel:[0,1]
.LBB62_46:
	s_and_saveexec_b64 s[0:1], s[2:3]
	s_cbranch_execz .LBB62_48
; %bb.47:
	v_lshlrev_b64 v[10:11], 2, v[10:11]
	v_mov_b32_e32 v0, s21
	v_add_co_u32_e32 v10, vcc, s20, v10
	v_addc_co_u32_e32 v11, vcc, v0, v11, vcc
	global_store_dword v[10:11], v13, off
.LBB62_48:
	s_or_b64 exec, exec, s[0:1]
	s_add_i32 s0, s9, 3
	s_ashr_i32 s1, s0, 31
	s_lshr_b32 s1, s1, 30
	;;#ASMSTART
	v_rcp_f32 v10, v13
	;;#ASMEND
	v_mov_b32_e32 v11, v10
	;;#ASMSTART
	v_pk_mul_f32 v[8:9], v[8:9], v[10:11]
	;;#ASMEND
	;;#ASMSTART
	v_pk_mul_f32 v[6:7], v[6:7], v[10:11]
	;;#ASMEND
	s_add_i32 s0, s0, s1
	v_cvt_i32_f32_e32 v0, v8
	v_cvt_i32_f32_sdwa v8, v9 dst_sel:BYTE_1 dst_unused:UNUSED_PAD src0_sel:DWORD
	v_cvt_i32_f32_e32 v6, v6
	v_cvt_i32_f32_sdwa v7, v7 dst_sel:BYTE_1 dst_unused:UNUSED_PAD src0_sel:DWORD
	;;#ASMSTART
	v_pk_mul_f32 v[4:5], v[4:5], v[10:11]
	;;#ASMEND
	;;#ASMSTART
	v_pk_mul_f32 v[2:3], v[2:3], v[10:11]
	;;#ASMEND
	s_and_b32 s2, s0, -4
	s_ashr_i32 s0, s13, 31
	v_cvt_i32_f32_e32 v4, v4
	v_cvt_i32_f32_sdwa v5, v5 dst_sel:BYTE_1 dst_unused:UNUSED_PAD src0_sel:DWORD
	v_cvt_i32_f32_e32 v9, v2
	v_cvt_i32_f32_sdwa v3, v3 dst_sel:BYTE_1 dst_unused:UNUSED_PAD src0_sel:DWORD
	s_mul_hi_u32 s1, s13, s6
	s_mul_i32 s0, s0, s6
	s_add_i32 s1, s1, s0
	s_mul_i32 s0, s13, s6
	s_add_u32 s0, s16, s0
	v_or_b32_sdwa v0, v0, v8 dst_sel:DWORD dst_unused:UNUSED_PAD src0_sel:BYTE_0 src1_sel:DWORD
	v_or_b32_sdwa v2, v6, v7 dst_sel:WORD_1 dst_unused:UNUSED_PAD src0_sel:BYTE_0 src1_sel:DWORD
	s_addc_u32 s1, s17, s1
	v_or_b32_sdwa v2, v0, v2 dst_sel:DWORD dst_unused:UNUSED_PAD src0_sel:WORD_0 src1_sel:DWORD
	v_or_b32_sdwa v0, v4, v5 dst_sel:DWORD dst_unused:UNUSED_PAD src0_sel:BYTE_0 src1_sel:DWORD
	v_or_b32_sdwa v3, v9, v3 dst_sel:WORD_1 dst_unused:UNUSED_PAD src0_sel:BYTE_0 src1_sel:DWORD
	s_and_b32 s1, s1, 0xffff
	s_mov_b32 s3, 0x20000
	v_or_b32_sdwa v3, v0, v3 dst_sel:DWORD dst_unused:UNUSED_PAD src0_sel:WORD_0 src1_sel:DWORD
	buffer_store_dwordx2 v[2:3], v1, s[0:3], 0 offen
	;;#ASMSTART
	s_nop 0
	;;#ASMEND
.LBB62_49:
	s_endpgm
.LBB62_50:
                                        ; implicit-def: $vgpr10_vgpr11
	s_branch .LBB62_37
	.section	.rodata,"a",@progbits
	.p2align	6, 0x0
	.amdhsa_kernel _ZN5aiter24add_rmsnorm_quant_kernelItaLi1024ELi8ELb1ELb1ELb1ELi1EEEvPT0_PT_PfS4_S4_S4_diiiiiiib
		.amdhsa_group_segment_fixed_size 128
		.amdhsa_private_segment_fixed_size 0
		.amdhsa_kernarg_size 88
		.amdhsa_user_sgpr_count 6
		.amdhsa_user_sgpr_private_segment_buffer 1
		.amdhsa_user_sgpr_dispatch_ptr 0
		.amdhsa_user_sgpr_queue_ptr 0
		.amdhsa_user_sgpr_kernarg_segment_ptr 1
		.amdhsa_user_sgpr_dispatch_id 0
		.amdhsa_user_sgpr_flat_scratch_init 0
		.amdhsa_user_sgpr_kernarg_preload_length 0
		.amdhsa_user_sgpr_kernarg_preload_offset 0
		.amdhsa_user_sgpr_private_segment_size 0
		.amdhsa_uses_dynamic_stack 0
		.amdhsa_system_sgpr_private_segment_wavefront_offset 0
		.amdhsa_system_sgpr_workgroup_id_x 1
		.amdhsa_system_sgpr_workgroup_id_y 0
		.amdhsa_system_sgpr_workgroup_id_z 0
		.amdhsa_system_sgpr_workgroup_info 0
		.amdhsa_system_vgpr_workitem_id 0
		.amdhsa_next_free_vgpr 27
		.amdhsa_next_free_sgpr 40
		.amdhsa_accum_offset 28
		.amdhsa_reserve_vcc 1
		.amdhsa_reserve_flat_scratch 0
		.amdhsa_float_round_mode_32 0
		.amdhsa_float_round_mode_16_64 0
		.amdhsa_float_denorm_mode_32 3
		.amdhsa_float_denorm_mode_16_64 3
		.amdhsa_dx10_clamp 1
		.amdhsa_ieee_mode 1
		.amdhsa_fp16_overflow 0
		.amdhsa_tg_split 0
		.amdhsa_exception_fp_ieee_invalid_op 0
		.amdhsa_exception_fp_denorm_src 0
		.amdhsa_exception_fp_ieee_div_zero 0
		.amdhsa_exception_fp_ieee_overflow 0
		.amdhsa_exception_fp_ieee_underflow 0
		.amdhsa_exception_fp_ieee_inexact 0
		.amdhsa_exception_int_div_zero 0
	.end_amdhsa_kernel
	.section	.text._ZN5aiter24add_rmsnorm_quant_kernelItaLi1024ELi8ELb1ELb1ELb1ELi1EEEvPT0_PT_PfS4_S4_S4_diiiiiiib,"axG",@progbits,_ZN5aiter24add_rmsnorm_quant_kernelItaLi1024ELi8ELb1ELb1ELb1ELi1EEEvPT0_PT_PfS4_S4_S4_diiiiiiib,comdat
.Lfunc_end62:
	.size	_ZN5aiter24add_rmsnorm_quant_kernelItaLi1024ELi8ELb1ELb1ELb1ELi1EEEvPT0_PT_PfS4_S4_S4_diiiiiiib, .Lfunc_end62-_ZN5aiter24add_rmsnorm_quant_kernelItaLi1024ELi8ELb1ELb1ELb1ELi1EEEvPT0_PT_PfS4_S4_S4_diiiiiiib
                                        ; -- End function
	.section	.AMDGPU.csdata,"",@progbits
; Kernel info:
; codeLenInByte = 3388
; NumSgprs: 44
; NumVgprs: 27
; NumAgprs: 0
; TotalNumVgprs: 27
; ScratchSize: 0
; MemoryBound: 0
; FloatMode: 240
; IeeeMode: 1
; LDSByteSize: 128 bytes/workgroup (compile time only)
; SGPRBlocks: 5
; VGPRBlocks: 3
; NumSGPRsForWavesPerEU: 44
; NumVGPRsForWavesPerEU: 27
; AccumOffset: 28
; Occupancy: 8
; WaveLimiterHint : 0
; COMPUTE_PGM_RSRC2:SCRATCH_EN: 0
; COMPUTE_PGM_RSRC2:USER_SGPR: 6
; COMPUTE_PGM_RSRC2:TRAP_HANDLER: 0
; COMPUTE_PGM_RSRC2:TGID_X_EN: 1
; COMPUTE_PGM_RSRC2:TGID_Y_EN: 0
; COMPUTE_PGM_RSRC2:TGID_Z_EN: 0
; COMPUTE_PGM_RSRC2:TIDIG_COMP_CNT: 0
; COMPUTE_PGM_RSRC3_GFX90A:ACCUM_OFFSET: 6
; COMPUTE_PGM_RSRC3_GFX90A:TG_SPLIT: 0
	.section	.text._ZN5aiter24add_rmsnorm_quant_kernelIDF16_aLi1024ELi8ELb1ELb1ELb0ELi1EEEvPT0_PT_PfS4_S4_S4_diiiiiiib,"axG",@progbits,_ZN5aiter24add_rmsnorm_quant_kernelIDF16_aLi1024ELi8ELb1ELb1ELb0ELi1EEEvPT0_PT_PfS4_S4_S4_diiiiiiib,comdat
	.protected	_ZN5aiter24add_rmsnorm_quant_kernelIDF16_aLi1024ELi8ELb1ELb1ELb0ELi1EEEvPT0_PT_PfS4_S4_S4_diiiiiiib ; -- Begin function _ZN5aiter24add_rmsnorm_quant_kernelIDF16_aLi1024ELi8ELb1ELb1ELb0ELi1EEEvPT0_PT_PfS4_S4_S4_diiiiiiib
	.globl	_ZN5aiter24add_rmsnorm_quant_kernelIDF16_aLi1024ELi8ELb1ELb1ELb0ELi1EEEvPT0_PT_PfS4_S4_S4_diiiiiiib
	.p2align	8
	.type	_ZN5aiter24add_rmsnorm_quant_kernelIDF16_aLi1024ELi8ELb1ELb1ELb0ELi1EEEvPT0_PT_PfS4_S4_S4_diiiiiiib,@function
_ZN5aiter24add_rmsnorm_quant_kernelIDF16_aLi1024ELi8ELb1ELb1ELb0ELi1EEEvPT0_PT_PfS4_S4_S4_diiiiiiib: ; @_ZN5aiter24add_rmsnorm_quant_kernelIDF16_aLi1024ELi8ELb1ELb1ELb0ELi1EEEvPT0_PT_PfS4_S4_S4_diiiiiiib
; %bb.0:
	s_load_dwordx8 s[8:15], s[4:5], 0x38
	s_mov_b32 s7, 0
	s_waitcnt lgkmcnt(0)
	s_ashr_i32 s0, s8, 31
	v_mov_b32_e32 v2, s8
	v_mov_b32_e32 v3, s0
	v_cmp_ge_i64_e32 vcc, s[6:7], v[2:3]
	s_cbranch_vccnz .LBB63_49
; %bb.1:
	s_load_dwordx8 s[16:23], s[4:5], 0x0
	s_load_dwordx8 s[24:31], s[4:5], 0x20
	s_ashr_i32 s0, s10, 31
	s_mul_hi_u32 s1, s10, s6
	s_mul_i32 s0, s0, s6
	s_add_i32 s1, s1, s0
	s_mul_i32 s0, s10, s6
	s_lshl_b64 s[0:1], s[0:1], 1
	s_waitcnt lgkmcnt(0)
	s_add_u32 s0, s22, s0
	s_addc_u32 s1, s23, s1
	s_add_i32 s2, s9, 1
	s_lshr_b32 s3, s2, 31
	s_add_i32 s2, s2, s3
	s_lshl_b32 s2, s2, 1
	s_and_b32 s2, s2, -4
	s_and_b32 s1, s1, 0xffff
	s_mov_b32 s3, 0x20000
	v_lshlrev_b32_e32 v1, 4, v0
	buffer_load_dwordx4 v[6:9], v1, s[0:3], 0 offen glc slc
	s_ashr_i32 s0, s11, 31
	s_mul_hi_u32 s1, s11, s6
	s_mul_i32 s0, s0, s6
	s_add_i32 s1, s1, s0
	s_mul_i32 s0, s11, s6
	s_and_b32 s37, s27, 0xffff
	s_lshl_b64 s[0:1], s[0:1], 1
	s_add_u32 s0, s24, s0
	s_addc_u32 s1, s25, s1
	s_and_b32 s1, s1, 0xffff
	buffer_load_dwordx4 v[10:13], v1, s[0:3], 0 offen glc slc
	s_mov_b32 s39, s3
	s_mov_b32 s36, s26
	;; [unrolled: 1-line block ×3, first 2 shown]
	buffer_load_dwordx4 v[2:5], v1, s[36:39], 0 offen
	s_ashr_i32 s4, s12, 31
	s_mul_hi_u32 s1, s12, s6
	s_mul_i32 s4, s4, s6
	s_mul_i32 s0, s12, s6
	s_add_i32 s1, s1, s4
	s_lshl_b64 s[0:1], s[0:1], 1
	s_add_u32 s0, s18, s0
	s_addc_u32 s1, s19, s1
	s_and_b32 s1, s1, 0xffff
	v_and_b32_e32 v24, 63, v0
	s_waitcnt vmcnt(2)
	v_cvt_f32_f16_e32 v14, v6
	v_cvt_f32_f16_sdwa v15, v6 dst_sel:DWORD dst_unused:UNUSED_PAD src0_sel:WORD_1
	v_cvt_f32_f16_e32 v6, v7
	v_cvt_f32_f16_sdwa v7, v7 dst_sel:DWORD dst_unused:UNUSED_PAD src0_sel:WORD_1
	;; [unrolled: 2-line block ×4, first 2 shown]
	s_waitcnt vmcnt(1)
	v_cvt_f32_f16_e32 v8, v10
	v_cvt_f32_f16_sdwa v9, v10 dst_sel:DWORD dst_unused:UNUSED_PAD src0_sel:WORD_1
	v_cvt_f32_f16_e32 v10, v11
	v_cvt_f32_f16_sdwa v11, v11 dst_sel:DWORD dst_unused:UNUSED_PAD src0_sel:WORD_1
	;; [unrolled: 2-line block ×4, first 2 shown]
	v_pk_add_f32 v[12:13], v[14:15], v[8:9]
	v_pk_add_f32 v[10:11], v[6:7], v[10:11]
	;; [unrolled: 1-line block ×4, first 2 shown]
	v_cvt_f16_f32_e32 v22, v13
	v_cvt_f16_f32_e32 v23, v12
	;; [unrolled: 1-line block ×8, first 2 shown]
	v_pk_mul_f32 v[14:15], v[12:13], v[12:13]
	v_pk_mul_f32 v[16:17], v[10:11], v[10:11]
	v_add_f32_e32 v14, v14, v15
	v_add_f32_e32 v14, v16, v14
	v_pk_mul_f32 v[18:19], v[8:9], v[8:9]
	v_add_f32_e32 v31, v17, v14
	v_pack_b32_f16 v17, v30, v29
	v_pack_b32_f16 v16, v28, v27
	;; [unrolled: 1-line block ×4, first 2 shown]
	v_add_f32_e32 v18, v18, v31
	v_pk_mul_f32 v[20:21], v[6:7], v[6:7]
	buffer_store_dwordx4 v[14:17], v1, s[0:3], 0 offen glc slc
	v_add_f32_e32 v1, v19, v18
	v_add_f32_e32 v1, v20, v1
	;; [unrolled: 1-line block ×3, first 2 shown]
	v_cmp_eq_u32_e64 s[0:1], 63, v24
	;;#ASMSTART
	s_nop 0
	;;#ASMEND
	s_nop 0
	v_mov_b32_dpp v14, v1 quad_perm:[1,0,3,2] row_mask:0xf bank_mask:0xf
	v_add_f32_e32 v1, v1, v14
	s_nop 1
	v_mov_b32_dpp v14, v1 quad_perm:[2,3,0,1] row_mask:0xf bank_mask:0xf
	v_add_f32_e32 v1, v1, v14
	s_nop 1
	v_mov_b32_dpp v14, v1 row_half_mirror row_mask:0xf bank_mask:0xf
	v_add_f32_e32 v1, v1, v14
	s_nop 1
	v_mov_b32_dpp v14, v1 row_mirror row_mask:0xf bank_mask:0xf
	v_add_f32_e32 v1, v1, v14
	s_nop 1
	v_mov_b32_dpp v14, v1 row_bcast:15 row_mask:0xf bank_mask:0xf
	v_add_f32_e32 v1, v1, v14
	s_nop 1
	v_mov_b32_dpp v14, v1 row_bcast:31 row_mask:0xf bank_mask:0xf
	s_and_saveexec_b64 s[2:3], s[0:1]
	s_cbranch_execz .LBB63_3
; %bb.2:
	v_lshrrev_b32_e32 v15, 4, v0
	v_and_b32_e32 v15, 60, v15
	v_add_f32_e32 v1, v1, v14
	ds_write_b32 v15, v1 offset:64
.LBB63_3:
	s_or_b64 exec, exec, s[2:3]
	v_and_b32_e32 v1, 15, v0
	v_lshlrev_b32_e32 v14, 2, v1
	s_waitcnt lgkmcnt(0)
	s_barrier
	ds_read_b32 v1, v14 offset:64
	v_cvt_f32_i32_e32 v15, s9
	s_waitcnt vmcnt(1)
	v_cvt_f32_f16_sdwa v21, v3 dst_sel:DWORD dst_unused:UNUSED_PAD src0_sel:WORD_1
	v_cvt_f32_f16_sdwa v23, v5 dst_sel:DWORD dst_unused:UNUSED_PAD src0_sel:WORD_1
	v_cvt_f32_f16_e32 v22, v5
	s_waitcnt lgkmcnt(0)
	v_mov_b32_dpp v16, v1 quad_perm:[1,0,3,2] row_mask:0xf bank_mask:0xf
	v_add_f32_e32 v1, v1, v16
	s_cmp_lg_u32 s14, 0
	s_nop 0
	v_mov_b32_dpp v16, v1 quad_perm:[2,3,0,1] row_mask:0xf bank_mask:0xf
	v_add_f32_e32 v1, v1, v16
	s_nop 1
	v_mov_b32_dpp v16, v1 row_half_mirror row_mask:0xf bank_mask:0xf
	v_add_f32_e32 v1, v1, v16
	s_nop 1
	v_mov_b32_dpp v16, v1 row_mirror row_mask:0xf bank_mask:0xf
	v_add_f32_e32 v1, v1, v16
	v_div_scale_f32 v16, s[2:3], v15, v15, v1
	v_rcp_f32_e32 v17, v16
	v_div_scale_f32 v18, vcc, v1, v15, v1
	s_mov_b32 s2, 0x800000
	v_fma_f32 v19, -v16, v17, 1.0
	v_fmac_f32_e32 v17, v19, v17
	v_mul_f32_e32 v19, v18, v17
	v_fma_f32 v20, -v16, v19, v18
	v_fmac_f32_e32 v19, v20, v17
	v_fma_f32 v16, -v16, v19, v18
	v_div_fmas_f32 v16, v16, v17, v19
	v_div_fixup_f32 v1, v16, v15, v1
	v_cvt_f64_f32_e32 v[16:17], v1
	v_add_f64 v[16:17], v[16:17], s[28:29]
	v_cvt_f32_f64_e32 v1, v[16:17]
	v_mul_f32_e32 v15, 0x4b800000, v1
	v_cmp_gt_f32_e32 vcc, s2, v1
	v_cndmask_b32_e32 v1, v1, v15, vcc
	v_rsq_f32_e32 v15, v1
	v_cvt_f32_f16_e32 v20, v3
	v_cvt_f32_f16_sdwa v3, v4 dst_sel:DWORD dst_unused:UNUSED_PAD src0_sel:WORD_1
	v_lshlrev_b32_e32 v1, 3, v0
	v_mul_f32_e32 v16, 0x45800000, v15
	v_cndmask_b32_e32 v16, v15, v16, vcc
	v_mov_b32_e32 v17, v16
	;;#ASMSTART
	v_pk_mul_f32 v[12:13], v[12:13], v[16:17]
	;;#ASMEND
	;;#ASMSTART
	v_pk_mul_f32 v[10:11], v[10:11], v[16:17]
	;;#ASMEND
	;; [unrolled: 3-line block ×4, first 2 shown]
	v_cvt_f32_f16_sdwa v7, v2 dst_sel:DWORD dst_unused:UNUSED_PAD src0_sel:WORD_1
	v_cvt_f32_f16_e32 v6, v2
	v_cvt_f32_f16_e32 v2, v4
	;;#ASMSTART
	v_pk_mul_f32 v[8:9], v[12:13], v[6:7]
	;;#ASMEND
	;;#ASMSTART
	v_pk_mul_f32 v[6:7], v[10:11], v[20:21]
	;;#ASMEND
	v_and_b32_e32 v10, 0x7fffffff, v8
	v_mov_b32_e32 v12, 0x2edbe6ff
	;;#ASMSTART
	v_pk_mul_f32 v[4:5], v[18:19], v[2:3]
	;;#ASMEND
	;;#ASMSTART
	v_pk_mul_f32 v[2:3], v[16:17], v[22:23]
	;;#ASMEND
	v_and_b32_e32 v11, 0x7fffffff, v9
	;;#ASMSTART
	v_max3_f32 v10, v12, v10, v11

	;;#ASMEND
	v_and_b32_e32 v12, 0x7fffffff, v7
	v_and_b32_e32 v11, 0x7fffffff, v6
	;;#ASMSTART
	v_max3_f32 v10, v10, v11, v12

	;;#ASMEND
	v_and_b32_e32 v12, 0x7fffffff, v5
	;; [unrolled: 6-line block ×3, first 2 shown]
	v_and_b32_e32 v11, 0x7fffffff, v2
	;;#ASMSTART
	v_max3_f32 v12, v10, v11, v12

	;;#ASMEND
	s_cbranch_scc0 .LBB63_10
; %bb.4:
	s_ashr_i32 s12, s14, 31
	s_lshr_b32 s2, s12, 29
	s_add_i32 s2, s14, s2
	s_ashr_i32 s10, s2, 3
	s_cmp_lt_i32 s10, 16
	s_cbranch_scc1 .LBB63_11
; %bb.5:
	s_cmp_lt_i32 s10, 32
	s_cbranch_scc1 .LBB63_12
; %bb.6:
	;; [unrolled: 3-line block ×3, first 2 shown]
	s_cmp_eq_u32 s10, 64
	v_mov_b32_e32 v10, v12
	s_cbranch_scc0 .LBB63_9
; %bb.8:
	s_nop 0
	v_mov_b32_dpp v10, v12 quad_perm:[1,0,3,2] row_mask:0xf bank_mask:0xf
	v_cmp_gt_f32_e32 vcc, v12, v10
	v_cndmask_b32_e32 v10, v10, v12, vcc
	v_bfrev_b32_e32 v13, 0.5
	s_nop 0
	v_mov_b32_dpp v11, v10 quad_perm:[2,3,0,1] row_mask:0xf bank_mask:0xf
	v_cmp_gt_f32_e32 vcc, v10, v11
	v_cndmask_b32_e32 v10, v11, v10, vcc
	s_nop 1
	v_mov_b32_dpp v11, v10 row_ror:4 row_mask:0xf bank_mask:0xf
	v_cmp_gt_f32_e32 vcc, v10, v11
	v_cndmask_b32_e32 v10, v11, v10, vcc
	s_nop 1
	v_mov_b32_dpp v11, v10 row_ror:8 row_mask:0xf bank_mask:0xf
	v_cmp_gt_f32_e32 vcc, v10, v11
	v_cndmask_b32_e32 v10, v11, v10, vcc
	s_nop 1
	v_mov_b32_dpp v11, v10 row_bcast:15 row_mask:0xf bank_mask:0xf
	v_cmp_gt_f32_e32 vcc, v10, v11
	v_cndmask_b32_e32 v10, v11, v10, vcc
	s_nop 1
	v_mov_b32_dpp v11, v10 row_bcast:31 row_mask:0xf bank_mask:0xf
	v_cmp_gt_f32_e32 vcc, v10, v11
	v_cndmask_b32_e32 v10, v11, v10, vcc
	v_mbcnt_lo_u32_b32 v11, -1, 0
	v_mbcnt_hi_u32_b32 v11, -1, v11
	v_lshl_or_b32 v11, v11, 2, v13
	ds_bpermute_b32 v10, v11, v10
.LBB63_9:
	s_mov_b64 s[2:3], 0
	s_branch .LBB63_14
.LBB63_10:
	s_mov_b64 s[2:3], 0
                                        ; implicit-def: $vgpr13
                                        ; implicit-def: $vgpr10_vgpr11
	s_cbranch_execnz .LBB63_43
	s_branch .LBB63_46
.LBB63_11:
                                        ; implicit-def: $vgpr10
	s_branch .LBB63_21
.LBB63_12:
                                        ; implicit-def: $vgpr10
	s_branch .LBB63_18
.LBB63_13:
	s_mov_b64 s[2:3], -1
                                        ; implicit-def: $vgpr10
.LBB63_14:
	s_andn2_b64 vcc, exec, s[2:3]
	s_cbranch_vccnz .LBB63_17
; %bb.15:
	s_cmp_eq_u32 s10, 32
	s_waitcnt lgkmcnt(0)
	v_mov_b32_e32 v10, v12
	s_cbranch_scc0 .LBB63_17
; %bb.16:
	s_nop 0
	v_mov_b32_dpp v10, v12 quad_perm:[1,0,3,2] row_mask:0xf bank_mask:0xf
	v_cmp_gt_f32_e32 vcc, v12, v10
	v_cndmask_b32_e32 v10, v10, v12, vcc
	v_mov_b32_e32 v13, 0x7c
	s_nop 0
	v_mov_b32_dpp v11, v10 quad_perm:[2,3,0,1] row_mask:0xf bank_mask:0xf
	v_cmp_gt_f32_e32 vcc, v10, v11
	v_cndmask_b32_e32 v10, v11, v10, vcc
	s_nop 1
	v_mov_b32_dpp v11, v10 row_half_mirror row_mask:0xf bank_mask:0xf
	v_cmp_gt_f32_e32 vcc, v10, v11
	v_cndmask_b32_e32 v10, v11, v10, vcc
	s_nop 1
	v_mov_b32_dpp v11, v10 row_mirror row_mask:0xf bank_mask:0xf
	v_cmp_gt_f32_e32 vcc, v10, v11
	v_cndmask_b32_e32 v10, v11, v10, vcc
	s_nop 1
	v_mov_b32_dpp v11, v10 row_bcast:15 row_mask:0xa bank_mask:0xf
	v_cmp_gt_f32_e32 vcc, v10, v11
	v_cndmask_b32_e32 v10, v11, v10, vcc
	v_mbcnt_lo_u32_b32 v11, -1, 0
	v_mbcnt_hi_u32_b32 v11, -1, v11
	v_lshl_or_b32 v11, v11, 2, v13
	ds_bpermute_b32 v10, v11, v10
.LBB63_17:
	s_cbranch_execnz .LBB63_20
.LBB63_18:
	s_cmp_eq_u32 s10, 16
	s_waitcnt lgkmcnt(0)
	v_mov_b32_e32 v10, v12
	s_cbranch_scc0 .LBB63_20
; %bb.19:
	s_nop 0
	v_mov_b32_dpp v10, v12 quad_perm:[1,0,3,2] row_mask:0xf bank_mask:0xf
	v_cmp_gt_f32_e32 vcc, v12, v10
	v_cndmask_b32_e32 v10, v10, v12, vcc
	s_nop 1
	v_mov_b32_dpp v11, v10 quad_perm:[2,3,0,1] row_mask:0xf bank_mask:0xf
	v_cmp_gt_f32_e32 vcc, v10, v11
	v_cndmask_b32_e32 v10, v11, v10, vcc
	s_nop 1
	v_mov_b32_dpp v11, v10 row_half_mirror row_mask:0xf bank_mask:0xf
	v_cmp_gt_f32_e32 vcc, v10, v11
	v_cndmask_b32_e32 v10, v11, v10, vcc
	s_nop 1
	v_mov_b32_dpp v11, v10 row_mirror row_mask:0xf bank_mask:0xf
	v_cmp_gt_f32_e32 vcc, v10, v11
	v_cndmask_b32_e32 v10, v11, v10, vcc
.LBB63_20:
	s_cbranch_execnz .LBB63_33
.LBB63_21:
	s_cmp_lt_i32 s10, 4
	s_cbranch_scc1 .LBB63_25
; %bb.22:
	s_cmp_lt_i32 s10, 8
	s_cbranch_scc1 .LBB63_26
; %bb.23:
	s_cmp_eq_u32 s10, 8
	s_waitcnt lgkmcnt(0)
	v_mov_b32_e32 v10, v12
	s_cbranch_scc0 .LBB63_27
; %bb.24:
	s_nop 0
	v_mov_b32_dpp v10, v12 quad_perm:[1,0,3,2] row_mask:0xf bank_mask:0xf
	v_cmp_gt_f32_e32 vcc, v12, v10
	v_cndmask_b32_e32 v10, v10, v12, vcc
	s_nop 1
	v_mov_b32_dpp v11, v10 quad_perm:[2,3,0,1] row_mask:0xf bank_mask:0xf
	v_cmp_gt_f32_e32 vcc, v10, v11
	v_cndmask_b32_e32 v10, v11, v10, vcc
	s_nop 1
	v_mov_b32_dpp v11, v10 row_half_mirror row_mask:0xf bank_mask:0xf
	v_cmp_gt_f32_e32 vcc, v10, v11
	v_cndmask_b32_e32 v10, v11, v10, vcc
	s_cbranch_execz .LBB63_28
	s_branch .LBB63_30
.LBB63_25:
                                        ; implicit-def: $vgpr10
	s_branch .LBB63_31
.LBB63_26:
                                        ; implicit-def: $vgpr10
	s_branch .LBB63_28
.LBB63_27:
	s_cbranch_execnz .LBB63_30
.LBB63_28:
	s_cmp_eq_u32 s10, 4
	s_waitcnt lgkmcnt(0)
	v_mov_b32_e32 v10, v12
	s_cbranch_scc0 .LBB63_30
; %bb.29:
	s_nop 0
	v_mov_b32_dpp v10, v12 quad_perm:[1,0,3,2] row_mask:0xf bank_mask:0xf
	v_cmp_gt_f32_e32 vcc, v12, v10
	v_cndmask_b32_e32 v10, v10, v12, vcc
	s_nop 1
	v_mov_b32_dpp v11, v10 quad_perm:[2,3,0,1] row_mask:0xf bank_mask:0xf
	v_cmp_gt_f32_e32 vcc, v10, v11
	v_cndmask_b32_e32 v10, v11, v10, vcc
.LBB63_30:
	s_cbranch_execnz .LBB63_33
.LBB63_31:
	s_cmp_lg_u32 s10, 2
	s_waitcnt lgkmcnt(0)
	v_mov_b32_e32 v10, v12
	s_cbranch_scc1 .LBB63_33
; %bb.32:
	s_nop 0
	v_mov_b32_dpp v10, v12 quad_perm:[1,0,3,2] row_mask:0xf bank_mask:0xf
	v_cmp_gt_f32_e32 vcc, v12, v10
	v_cndmask_b32_e32 v10, v10, v12, vcc
.LBB63_33:
	v_cvt_f32_u32_e32 v11, s10
	s_waitcnt lgkmcnt(0)
	v_mul_f32_e32 v13, 0x3c010204, v10
	s_sub_i32 s2, 0, s10
	v_cmp_gt_u32_e32 vcc, s9, v1
	v_rcp_iflag_f32_e32 v11, v11
	s_mov_b64 s[4:5], 0
	v_mul_f32_e32 v10, 0x4f7ffffe, v11
	v_cvt_u32_f32_e32 v10, v10
	v_mul_lo_u32 v11, s2, v10
	v_mul_hi_u32 v11, v10, v11
	v_add_u32_e32 v10, v10, v11
	v_mul_hi_u32 v10, v0, v10
	v_mul_lo_u32 v11, v10, s10
	v_sub_u32_e32 v11, v0, v11
	v_add_u32_e32 v15, 1, v10
	v_cmp_le_u32_e64 s[2:3], s10, v11
	v_cndmask_b32_e64 v10, v10, v15, s[2:3]
	v_subrev_u32_e32 v15, s10, v11
	v_cndmask_b32_e64 v11, v11, v15, s[2:3]
	v_add_u32_e32 v15, 1, v10
	v_cmp_le_u32_e64 s[2:3], s10, v11
	v_cndmask_b32_e64 v15, v10, v15, s[2:3]
	v_mul_lo_u32 v10, v15, s10
	v_sub_u32_e32 v10, v0, v10
	v_cmp_eq_u32_e64 s[2:3], 0, v10
	s_and_b64 s[10:11], s[2:3], vcc
	s_mov_b64 s[2:3], 0
                                        ; implicit-def: $vgpr10_vgpr11
	s_and_saveexec_b64 s[18:19], s[10:11]
	s_xor_b64 s[10:11], exec, s[18:19]
	s_cbranch_execz .LBB63_42
; %bb.34:
	s_bitcmp0_b32 s15, 0
	s_cbranch_scc0 .LBB63_39
; %bb.35:
	s_ashr_i32 s2, s9, 31
	s_mul_hi_u32 s3, s9, s6
	s_mul_i32 s2, s2, s6
	s_add_i32 s19, s3, s2
	s_mul_i32 s18, s9, s6
	s_mov_b32 s15, s12
	s_or_b64 s[2:3], s[18:19], s[14:15]
	s_mov_b32 s2, 0
	s_cmp_lg_u64 s[2:3], 0
	s_cbranch_scc0 .LBB63_50
; %bb.36:
	s_add_u32 s2, s14, s15
	s_mov_b32 s24, s15
	s_mov_b32 s25, s15
	s_addc_u32 s3, s15, s15
	s_xor_b64 s[26:27], s[2:3], s[24:25]
	v_cvt_f32_u32_e32 v10, s26
	v_cvt_f32_u32_e32 v11, s27
	s_sub_u32 s2, 0, s26
	s_subb_u32 s3, 0, s27
	v_madmk_f32 v10, v11, 0x4f800000, v10
	v_rcp_f32_e32 v10, v10
	v_mul_f32_e32 v10, 0x5f7ffffc, v10
	v_mul_f32_e32 v11, 0x2f800000, v10
	v_trunc_f32_e32 v11, v11
	v_madmk_f32 v10, v11, 0xcf800000, v10
	v_cvt_u32_f32_e32 v11, v11
	v_cvt_u32_f32_e32 v10, v10
	v_readfirstlane_b32 s12, v11
	v_readfirstlane_b32 s15, v10
	s_mul_i32 s28, s2, s12
	s_mul_hi_u32 s30, s2, s15
	s_mul_i32 s29, s3, s15
	s_add_i32 s28, s30, s28
	s_add_i32 s28, s28, s29
	s_mul_i32 s31, s2, s15
	s_mul_hi_u32 s29, s15, s28
	s_mul_i32 s30, s15, s28
	s_mul_hi_u32 s15, s15, s31
	s_add_u32 s15, s15, s30
	s_addc_u32 s29, 0, s29
	s_mul_hi_u32 s33, s12, s31
	s_mul_i32 s31, s12, s31
	s_add_u32 s15, s15, s31
	s_mul_hi_u32 s30, s12, s28
	s_addc_u32 s15, s29, s33
	s_addc_u32 s29, s30, 0
	s_mul_i32 s28, s12, s28
	s_add_u32 s15, s15, s28
	s_addc_u32 s28, 0, s29
	v_add_co_u32_e32 v10, vcc, s15, v10
	s_cmp_lg_u64 vcc, 0
	s_addc_u32 s12, s12, s28
	v_readfirstlane_b32 s28, v10
	s_mul_i32 s15, s2, s12
	s_mul_hi_u32 s29, s2, s28
	s_add_i32 s15, s29, s15
	s_mul_i32 s3, s3, s28
	s_add_i32 s15, s15, s3
	s_mul_i32 s2, s2, s28
	s_mul_hi_u32 s29, s12, s2
	s_mul_i32 s30, s12, s2
	s_mul_i32 s33, s28, s15
	s_mul_hi_u32 s2, s28, s2
	s_mul_hi_u32 s31, s28, s15
	s_add_u32 s2, s2, s33
	s_addc_u32 s28, 0, s31
	s_add_u32 s2, s2, s30
	s_mul_hi_u32 s3, s12, s15
	s_addc_u32 s2, s28, s29
	s_addc_u32 s3, s3, 0
	s_mul_i32 s15, s12, s15
	s_add_u32 s2, s2, s15
	s_addc_u32 s3, 0, s3
	v_add_co_u32_e32 v10, vcc, s2, v10
	s_cmp_lg_u64 vcc, 0
	s_addc_u32 s12, s12, s3
	s_ashr_i32 s28, s19, 31
	s_add_u32 s2, s18, s28
	s_mov_b32 s29, s28
	s_addc_u32 s3, s19, s28
	s_xor_b64 s[30:31], s[2:3], s[28:29]
	v_readfirstlane_b32 s15, v10
	s_mul_i32 s3, s30, s12
	s_mul_hi_u32 s19, s30, s15
	s_mul_hi_u32 s2, s30, s12
	s_add_u32 s3, s19, s3
	s_addc_u32 s2, 0, s2
	s_mul_hi_u32 s33, s31, s15
	s_mul_i32 s15, s31, s15
	s_add_u32 s3, s3, s15
	s_mul_hi_u32 s19, s31, s12
	s_addc_u32 s2, s2, s33
	s_addc_u32 s3, s19, 0
	s_mul_i32 s12, s31, s12
	s_add_u32 s12, s2, s12
	s_addc_u32 s15, 0, s3
	s_mul_i32 s2, s26, s15
	s_mul_hi_u32 s3, s26, s12
	s_add_i32 s2, s3, s2
	s_mul_i32 s3, s27, s12
	s_add_i32 s19, s2, s3
	s_mul_i32 s3, s26, s12
	v_mov_b32_e32 v10, s3
	s_sub_i32 s2, s31, s19
	v_sub_co_u32_e32 v10, vcc, s30, v10
	s_cmp_lg_u64 vcc, 0
	s_subb_u32 s30, s2, s27
	v_subrev_co_u32_e64 v11, s[2:3], s26, v10
	s_cmp_lg_u64 s[2:3], 0
	s_subb_u32 s30, s30, 0
	s_cmp_ge_u32 s30, s27
	s_cselect_b32 s33, -1, 0
	v_cmp_le_u32_e64 s[2:3], s26, v11
	s_cmp_eq_u32 s30, s27
	v_cndmask_b32_e64 v11, 0, -1, s[2:3]
	v_mov_b32_e32 v16, s33
	s_cselect_b64 s[2:3], -1, 0
	v_cndmask_b32_e64 v11, v16, v11, s[2:3]
	s_add_u32 s2, s12, 1
	s_addc_u32 s30, s15, 0
	s_add_u32 s3, s12, 2
	s_addc_u32 s33, s15, 0
	v_mov_b32_e32 v16, s2
	v_mov_b32_e32 v17, s3
	v_cmp_ne_u32_e64 s[2:3], 0, v11
	v_cndmask_b32_e64 v11, v16, v17, s[2:3]
	v_mov_b32_e32 v16, s30
	v_mov_b32_e32 v17, s33
	s_cmp_lg_u64 vcc, 0
	v_cndmask_b32_e64 v16, v16, v17, s[2:3]
	s_subb_u32 s2, s31, s19
	s_cmp_ge_u32 s2, s27
	s_cselect_b32 s3, -1, 0
	v_cmp_le_u32_e32 vcc, s26, v10
	s_cmp_eq_u32 s2, s27
	v_cndmask_b32_e64 v10, 0, -1, vcc
	v_mov_b32_e32 v17, s3
	s_cselect_b64 vcc, -1, 0
	v_cndmask_b32_e32 v10, v17, v10, vcc
	v_mov_b32_e32 v17, s15
	v_cmp_ne_u32_e32 vcc, 0, v10
	v_cndmask_b32_e32 v10, v17, v16, vcc
	v_mov_b32_e32 v16, s12
	v_cndmask_b32_e32 v11, v16, v11, vcc
	s_xor_b64 s[2:3], s[28:29], s[24:25]
	v_xor_b32_e32 v11, s2, v11
	v_xor_b32_e32 v16, s3, v10
	v_mov_b32_e32 v17, s3
	v_subrev_co_u32_e32 v10, vcc, s2, v11
	v_subb_co_u32_e32 v11, vcc, v16, v17, vcc
	s_cbranch_execnz .LBB63_38
.LBB63_37:
	v_cvt_f32_u32_e32 v10, s14
	s_sub_i32 s2, 0, s14
	s_mov_b32 s3, 0
	v_rcp_iflag_f32_e32 v10, v10
	v_mul_f32_e32 v10, 0x4f7ffffe, v10
	v_cvt_u32_f32_e32 v10, v10
	v_readfirstlane_b32 s12, v10
	s_mul_i32 s2, s2, s12
	s_mul_hi_u32 s2, s12, s2
	s_add_i32 s12, s12, s2
	s_mul_hi_u32 s2, s18, s12
	s_mul_i32 s15, s2, s14
	s_sub_i32 s15, s18, s15
	s_add_i32 s12, s2, 1
	s_sub_i32 s18, s15, s14
	s_cmp_ge_u32 s15, s14
	s_cselect_b32 s2, s12, s2
	s_cselect_b32 s15, s18, s15
	s_add_i32 s12, s2, 1
	s_cmp_ge_u32 s15, s14
	s_cselect_b32 s2, s12, s2
	v_pk_mov_b32 v[10:11], s[2:3], s[2:3] op_sel:[0,1]
.LBB63_38:
	v_add_co_u32_e32 v10, vcc, v10, v15
	v_addc_co_u32_e32 v11, vcc, 0, v11, vcc
	s_branch .LBB63_41
.LBB63_39:
                                        ; implicit-def: $vgpr10_vgpr11
	s_cbranch_execz .LBB63_41
; %bb.40:
	v_mul_lo_u32 v10, v15, s8
	v_ashrrev_i32_e32 v11, 31, v10
	v_mov_b32_e32 v15, s7
	v_add_co_u32_e32 v10, vcc, s6, v10
	v_addc_co_u32_e32 v11, vcc, v11, v15, vcc
.LBB63_41:
	s_mov_b64 s[2:3], exec
.LBB63_42:
	s_or_b64 exec, exec, s[10:11]
	s_and_b64 vcc, exec, s[4:5]
	s_cbranch_vccz .LBB63_46
.LBB63_43:
	v_mov_b32_dpp v10, v12 quad_perm:[1,0,3,2] row_mask:0xf bank_mask:0xf
	v_cmp_gt_f32_e32 vcc, v12, v10
	v_cndmask_b32_e32 v10, v10, v12, vcc
	s_nop 1
	v_mov_b32_dpp v11, v10 quad_perm:[2,3,0,1] row_mask:0xf bank_mask:0xf
	v_cmp_gt_f32_e32 vcc, v10, v11
	v_cndmask_b32_e32 v10, v11, v10, vcc
	s_nop 1
	v_mov_b32_dpp v11, v10 row_half_mirror row_mask:0xf bank_mask:0xf
	v_cmp_gt_f32_e32 vcc, v10, v11
	v_cndmask_b32_e32 v10, v11, v10, vcc
	s_nop 1
	v_mov_b32_dpp v11, v10 row_mirror row_mask:0xf bank_mask:0xf
	v_cmp_gt_f32_e32 vcc, v10, v11
	v_cndmask_b32_e32 v10, v11, v10, vcc
	s_nop 1
	v_mov_b32_dpp v11, v10 row_bcast:15 row_mask:0xf bank_mask:0xf
	v_cmp_gt_f32_e32 vcc, v10, v11
	v_cndmask_b32_e32 v10, v11, v10, vcc
	s_nop 1
	v_mov_b32_dpp v11, v10 row_bcast:31 row_mask:0xf bank_mask:0xf
	s_and_saveexec_b64 s[2:3], s[0:1]
	s_cbranch_execz .LBB63_45
; %bb.44:
	v_lshrrev_b32_e32 v12, 4, v0
	v_cmp_gt_f32_e32 vcc, v10, v11
	v_and_b32_e32 v12, 60, v12
	v_cndmask_b32_e32 v10, v11, v10, vcc
	ds_write_b32 v12, v10
.LBB63_45:
	s_or_b64 exec, exec, s[2:3]
	s_waitcnt lgkmcnt(0)
	s_barrier
	ds_read_b32 v10, v14
	v_cmp_eq_u32_e64 s[2:3], 0, v0
	s_waitcnt lgkmcnt(0)
	v_mov_b32_dpp v11, v10 quad_perm:[1,0,3,2] row_mask:0xf bank_mask:0xf
	v_cmp_gt_f32_e32 vcc, v10, v11
	v_cndmask_b32_e32 v10, v11, v10, vcc
	s_nop 1
	v_mov_b32_dpp v11, v10 quad_perm:[2,3,0,1] row_mask:0xf bank_mask:0xf
	v_cmp_gt_f32_e32 vcc, v10, v11
	v_cndmask_b32_e32 v10, v11, v10, vcc
	s_nop 1
	v_mov_b32_dpp v11, v10 row_half_mirror row_mask:0xf bank_mask:0xf
	v_cmp_gt_f32_e32 vcc, v10, v11
	v_cndmask_b32_e32 v10, v11, v10, vcc
	s_nop 1
	v_mov_b32_dpp v11, v10 row_mirror row_mask:0xf bank_mask:0xf
	v_cmp_gt_f32_e32 vcc, v10, v11
	v_cndmask_b32_e32 v10, v11, v10, vcc
	v_mul_f32_e32 v13, 0x3c010204, v10
	v_pk_mov_b32 v[10:11], s[6:7], s[6:7] op_sel:[0,1]
.LBB63_46:
	s_and_saveexec_b64 s[0:1], s[2:3]
	s_cbranch_execz .LBB63_48
; %bb.47:
	v_lshlrev_b64 v[10:11], 2, v[10:11]
	v_mov_b32_e32 v0, s21
	v_add_co_u32_e32 v10, vcc, s20, v10
	v_addc_co_u32_e32 v11, vcc, v0, v11, vcc
	global_store_dword v[10:11], v13, off
.LBB63_48:
	s_or_b64 exec, exec, s[0:1]
	s_add_i32 s0, s9, 3
	s_ashr_i32 s1, s0, 31
	s_lshr_b32 s1, s1, 30
	;;#ASMSTART
	v_rcp_f32 v10, v13
	;;#ASMEND
	v_mov_b32_e32 v11, v10
	;;#ASMSTART
	v_pk_mul_f32 v[8:9], v[8:9], v[10:11]
	;;#ASMEND
	;;#ASMSTART
	v_pk_mul_f32 v[6:7], v[6:7], v[10:11]
	;;#ASMEND
	s_add_i32 s0, s0, s1
	v_cvt_i32_f32_e32 v0, v8
	v_cvt_i32_f32_sdwa v8, v9 dst_sel:BYTE_1 dst_unused:UNUSED_PAD src0_sel:DWORD
	v_cvt_i32_f32_e32 v6, v6
	v_cvt_i32_f32_sdwa v7, v7 dst_sel:BYTE_1 dst_unused:UNUSED_PAD src0_sel:DWORD
	;;#ASMSTART
	v_pk_mul_f32 v[4:5], v[4:5], v[10:11]
	;;#ASMEND
	;;#ASMSTART
	v_pk_mul_f32 v[2:3], v[2:3], v[10:11]
	;;#ASMEND
	s_and_b32 s2, s0, -4
	s_ashr_i32 s0, s13, 31
	v_cvt_i32_f32_e32 v4, v4
	v_cvt_i32_f32_sdwa v5, v5 dst_sel:BYTE_1 dst_unused:UNUSED_PAD src0_sel:DWORD
	v_cvt_i32_f32_e32 v9, v2
	v_cvt_i32_f32_sdwa v3, v3 dst_sel:BYTE_1 dst_unused:UNUSED_PAD src0_sel:DWORD
	s_mul_hi_u32 s1, s13, s6
	s_mul_i32 s0, s0, s6
	s_add_i32 s1, s1, s0
	s_mul_i32 s0, s13, s6
	s_add_u32 s0, s16, s0
	v_or_b32_sdwa v0, v0, v8 dst_sel:DWORD dst_unused:UNUSED_PAD src0_sel:BYTE_0 src1_sel:DWORD
	v_or_b32_sdwa v2, v6, v7 dst_sel:WORD_1 dst_unused:UNUSED_PAD src0_sel:BYTE_0 src1_sel:DWORD
	s_addc_u32 s1, s17, s1
	v_or_b32_sdwa v2, v0, v2 dst_sel:DWORD dst_unused:UNUSED_PAD src0_sel:WORD_0 src1_sel:DWORD
	v_or_b32_sdwa v0, v4, v5 dst_sel:DWORD dst_unused:UNUSED_PAD src0_sel:BYTE_0 src1_sel:DWORD
	v_or_b32_sdwa v3, v9, v3 dst_sel:WORD_1 dst_unused:UNUSED_PAD src0_sel:BYTE_0 src1_sel:DWORD
	s_and_b32 s1, s1, 0xffff
	s_mov_b32 s3, 0x20000
	v_or_b32_sdwa v3, v0, v3 dst_sel:DWORD dst_unused:UNUSED_PAD src0_sel:WORD_0 src1_sel:DWORD
	buffer_store_dwordx2 v[2:3], v1, s[0:3], 0 offen
	;;#ASMSTART
	s_nop 0
	;;#ASMEND
.LBB63_49:
	s_endpgm
.LBB63_50:
                                        ; implicit-def: $vgpr10_vgpr11
	s_branch .LBB63_37
	.section	.rodata,"a",@progbits
	.p2align	6, 0x0
	.amdhsa_kernel _ZN5aiter24add_rmsnorm_quant_kernelIDF16_aLi1024ELi8ELb1ELb1ELb0ELi1EEEvPT0_PT_PfS4_S4_S4_diiiiiiib
		.amdhsa_group_segment_fixed_size 128
		.amdhsa_private_segment_fixed_size 0
		.amdhsa_kernarg_size 88
		.amdhsa_user_sgpr_count 6
		.amdhsa_user_sgpr_private_segment_buffer 1
		.amdhsa_user_sgpr_dispatch_ptr 0
		.amdhsa_user_sgpr_queue_ptr 0
		.amdhsa_user_sgpr_kernarg_segment_ptr 1
		.amdhsa_user_sgpr_dispatch_id 0
		.amdhsa_user_sgpr_flat_scratch_init 0
		.amdhsa_user_sgpr_kernarg_preload_length 0
		.amdhsa_user_sgpr_kernarg_preload_offset 0
		.amdhsa_user_sgpr_private_segment_size 0
		.amdhsa_uses_dynamic_stack 0
		.amdhsa_system_sgpr_private_segment_wavefront_offset 0
		.amdhsa_system_sgpr_workgroup_id_x 1
		.amdhsa_system_sgpr_workgroup_id_y 0
		.amdhsa_system_sgpr_workgroup_id_z 0
		.amdhsa_system_sgpr_workgroup_info 0
		.amdhsa_system_vgpr_workitem_id 0
		.amdhsa_next_free_vgpr 32
		.amdhsa_next_free_sgpr 40
		.amdhsa_accum_offset 32
		.amdhsa_reserve_vcc 1
		.amdhsa_reserve_flat_scratch 0
		.amdhsa_float_round_mode_32 0
		.amdhsa_float_round_mode_16_64 0
		.amdhsa_float_denorm_mode_32 3
		.amdhsa_float_denorm_mode_16_64 3
		.amdhsa_dx10_clamp 1
		.amdhsa_ieee_mode 1
		.amdhsa_fp16_overflow 0
		.amdhsa_tg_split 0
		.amdhsa_exception_fp_ieee_invalid_op 0
		.amdhsa_exception_fp_denorm_src 0
		.amdhsa_exception_fp_ieee_div_zero 0
		.amdhsa_exception_fp_ieee_overflow 0
		.amdhsa_exception_fp_ieee_underflow 0
		.amdhsa_exception_fp_ieee_inexact 0
		.amdhsa_exception_int_div_zero 0
	.end_amdhsa_kernel
	.section	.text._ZN5aiter24add_rmsnorm_quant_kernelIDF16_aLi1024ELi8ELb1ELb1ELb0ELi1EEEvPT0_PT_PfS4_S4_S4_diiiiiiib,"axG",@progbits,_ZN5aiter24add_rmsnorm_quant_kernelIDF16_aLi1024ELi8ELb1ELb1ELb0ELi1EEEvPT0_PT_PfS4_S4_S4_diiiiiiib,comdat
.Lfunc_end63:
	.size	_ZN5aiter24add_rmsnorm_quant_kernelIDF16_aLi1024ELi8ELb1ELb1ELb0ELi1EEEvPT0_PT_PfS4_S4_S4_diiiiiiib, .Lfunc_end63-_ZN5aiter24add_rmsnorm_quant_kernelIDF16_aLi1024ELi8ELb1ELb1ELb0ELi1EEEvPT0_PT_PfS4_S4_S4_diiiiiiib
                                        ; -- End function
	.section	.AMDGPU.csdata,"",@progbits
; Kernel info:
; codeLenInByte = 3364
; NumSgprs: 44
; NumVgprs: 32
; NumAgprs: 0
; TotalNumVgprs: 32
; ScratchSize: 0
; MemoryBound: 0
; FloatMode: 240
; IeeeMode: 1
; LDSByteSize: 128 bytes/workgroup (compile time only)
; SGPRBlocks: 5
; VGPRBlocks: 3
; NumSGPRsForWavesPerEU: 44
; NumVGPRsForWavesPerEU: 32
; AccumOffset: 32
; Occupancy: 8
; WaveLimiterHint : 0
; COMPUTE_PGM_RSRC2:SCRATCH_EN: 0
; COMPUTE_PGM_RSRC2:USER_SGPR: 6
; COMPUTE_PGM_RSRC2:TRAP_HANDLER: 0
; COMPUTE_PGM_RSRC2:TGID_X_EN: 1
; COMPUTE_PGM_RSRC2:TGID_Y_EN: 0
; COMPUTE_PGM_RSRC2:TGID_Z_EN: 0
; COMPUTE_PGM_RSRC2:TIDIG_COMP_CNT: 0
; COMPUTE_PGM_RSRC3_GFX90A:ACCUM_OFFSET: 7
; COMPUTE_PGM_RSRC3_GFX90A:TG_SPLIT: 0
	.section	.text._ZN5aiter24add_rmsnorm_quant_kernelItaLi1024ELi8ELb1ELb1ELb0ELi1EEEvPT0_PT_PfS4_S4_S4_diiiiiiib,"axG",@progbits,_ZN5aiter24add_rmsnorm_quant_kernelItaLi1024ELi8ELb1ELb1ELb0ELi1EEEvPT0_PT_PfS4_S4_S4_diiiiiiib,comdat
	.protected	_ZN5aiter24add_rmsnorm_quant_kernelItaLi1024ELi8ELb1ELb1ELb0ELi1EEEvPT0_PT_PfS4_S4_S4_diiiiiiib ; -- Begin function _ZN5aiter24add_rmsnorm_quant_kernelItaLi1024ELi8ELb1ELb1ELb0ELi1EEEvPT0_PT_PfS4_S4_S4_diiiiiiib
	.globl	_ZN5aiter24add_rmsnorm_quant_kernelItaLi1024ELi8ELb1ELb1ELb0ELi1EEEvPT0_PT_PfS4_S4_S4_diiiiiiib
	.p2align	8
	.type	_ZN5aiter24add_rmsnorm_quant_kernelItaLi1024ELi8ELb1ELb1ELb0ELi1EEEvPT0_PT_PfS4_S4_S4_diiiiiiib,@function
_ZN5aiter24add_rmsnorm_quant_kernelItaLi1024ELi8ELb1ELb1ELb0ELi1EEEvPT0_PT_PfS4_S4_S4_diiiiiiib: ; @_ZN5aiter24add_rmsnorm_quant_kernelItaLi1024ELi8ELb1ELb1ELb0ELi1EEEvPT0_PT_PfS4_S4_S4_diiiiiiib
; %bb.0:
	s_load_dwordx8 s[8:15], s[4:5], 0x38
	s_mov_b32 s7, 0
	s_waitcnt lgkmcnt(0)
	s_ashr_i32 s0, s8, 31
	v_mov_b32_e32 v2, s8
	v_mov_b32_e32 v3, s0
	v_cmp_ge_i64_e32 vcc, s[6:7], v[2:3]
	s_cbranch_vccnz .LBB64_49
; %bb.1:
	s_load_dwordx8 s[16:23], s[4:5], 0x0
	s_load_dwordx8 s[24:31], s[4:5], 0x20
	s_ashr_i32 s0, s10, 31
	s_mul_hi_u32 s1, s10, s6
	s_mul_i32 s0, s0, s6
	s_add_i32 s1, s1, s0
	s_mul_i32 s0, s10, s6
	s_lshl_b64 s[0:1], s[0:1], 1
	s_waitcnt lgkmcnt(0)
	s_add_u32 s0, s22, s0
	s_addc_u32 s1, s23, s1
	s_add_i32 s2, s9, 1
	s_lshr_b32 s3, s2, 31
	s_add_i32 s2, s2, s3
	s_lshl_b32 s2, s2, 1
	s_and_b32 s2, s2, -4
	s_and_b32 s1, s1, 0xffff
	s_mov_b32 s3, 0x20000
	v_lshlrev_b32_e32 v1, 4, v0
	buffer_load_dwordx4 v[6:9], v1, s[0:3], 0 offen glc slc
	s_ashr_i32 s0, s11, 31
	s_mul_hi_u32 s1, s11, s6
	s_mul_i32 s0, s0, s6
	s_add_i32 s1, s1, s0
	s_mul_i32 s0, s11, s6
	s_and_b32 s37, s27, 0xffff
	s_lshl_b64 s[0:1], s[0:1], 1
	s_add_u32 s0, s24, s0
	s_addc_u32 s1, s25, s1
	s_and_b32 s1, s1, 0xffff
	buffer_load_dwordx4 v[10:13], v1, s[0:3], 0 offen glc slc
	s_mov_b32 s39, s3
	s_mov_b32 s36, s26
	;; [unrolled: 1-line block ×3, first 2 shown]
	buffer_load_dwordx4 v[2:5], v1, s[36:39], 0 offen
	s_ashr_i32 s5, s12, 31
	s_mul_hi_u32 s1, s12, s6
	s_mul_i32 s5, s5, s6
	s_mul_i32 s0, s12, s6
	s_add_i32 s1, s1, s5
	s_lshl_b64 s[0:1], s[0:1], 1
	s_add_u32 s0, s18, s0
	s_mov_b32 s4, 0x7060302
	s_addc_u32 s1, s19, s1
	s_and_b32 s1, s1, 0xffff
	v_and_b32_e32 v26, 63, v0
	s_waitcnt vmcnt(2)
	v_cvt_f32_u32_sdwa v15, v6 dst_sel:DWORD dst_unused:UNUSED_PAD src0_sel:WORD_1
	v_cvt_f32_u32_sdwa v14, v6 dst_sel:DWORD dst_unused:UNUSED_PAD src0_sel:WORD_0
	v_cvt_f32_u32_sdwa v17, v7 dst_sel:DWORD dst_unused:UNUSED_PAD src0_sel:WORD_1
	v_cvt_f32_u32_sdwa v16, v7 dst_sel:DWORD dst_unused:UNUSED_PAD src0_sel:WORD_0
	;; [unrolled: 2-line block ×4, first 2 shown]
	s_waitcnt vmcnt(1)
	v_cvt_f32_u32_sdwa v9, v10 dst_sel:DWORD dst_unused:UNUSED_PAD src0_sel:WORD_1
	v_cvt_f32_u32_sdwa v8, v10 dst_sel:DWORD dst_unused:UNUSED_PAD src0_sel:WORD_0
	v_cvt_f32_u32_sdwa v21, v11 dst_sel:DWORD dst_unused:UNUSED_PAD src0_sel:WORD_1
	v_cvt_f32_u32_sdwa v20, v11 dst_sel:DWORD dst_unused:UNUSED_PAD src0_sel:WORD_0
	;; [unrolled: 2-line block ×4, first 2 shown]
	v_pk_add_f32 v[12:13], v[14:15], v[8:9]
	v_pk_add_f32 v[10:11], v[16:17], v[20:21]
	;; [unrolled: 1-line block ×4, first 2 shown]
	v_perm_b32 v17, v7, v6, s4
	v_perm_b32 v16, v9, v8, s4
	;; [unrolled: 1-line block ×4, first 2 shown]
	v_pk_mul_f32 v[18:19], v[12:13], v[12:13]
	v_pk_mul_f32 v[20:21], v[10:11], v[10:11]
	buffer_store_dwordx4 v[14:17], v1, s[0:3], 0 offen glc slc
	v_add_f32_e32 v1, v18, v19
	v_add_f32_e32 v1, v20, v1
	v_pk_mul_f32 v[22:23], v[8:9], v[8:9]
	v_add_f32_e32 v1, v21, v1
	v_add_f32_e32 v1, v22, v1
	v_pk_mul_f32 v[24:25], v[6:7], v[6:7]
	v_add_f32_e32 v1, v23, v1
	v_add_f32_e32 v1, v24, v1
	;; [unrolled: 1-line block ×3, first 2 shown]
	v_cmp_eq_u32_e64 s[0:1], 63, v26
	;;#ASMSTART
	s_nop 0
	;;#ASMEND
	s_nop 0
	v_mov_b32_dpp v14, v1 quad_perm:[1,0,3,2] row_mask:0xf bank_mask:0xf
	v_add_f32_e32 v1, v1, v14
	s_nop 1
	v_mov_b32_dpp v14, v1 quad_perm:[2,3,0,1] row_mask:0xf bank_mask:0xf
	v_add_f32_e32 v1, v1, v14
	s_nop 1
	v_mov_b32_dpp v14, v1 row_half_mirror row_mask:0xf bank_mask:0xf
	v_add_f32_e32 v1, v1, v14
	s_nop 1
	v_mov_b32_dpp v14, v1 row_mirror row_mask:0xf bank_mask:0xf
	v_add_f32_e32 v1, v1, v14
	s_nop 1
	v_mov_b32_dpp v14, v1 row_bcast:15 row_mask:0xf bank_mask:0xf
	v_add_f32_e32 v1, v1, v14
	s_nop 1
	v_mov_b32_dpp v14, v1 row_bcast:31 row_mask:0xf bank_mask:0xf
	s_and_saveexec_b64 s[2:3], s[0:1]
	s_cbranch_execz .LBB64_3
; %bb.2:
	v_lshrrev_b32_e32 v15, 4, v0
	v_and_b32_e32 v15, 60, v15
	v_add_f32_e32 v1, v1, v14
	ds_write_b32 v15, v1 offset:64
.LBB64_3:
	s_or_b64 exec, exec, s[2:3]
	v_and_b32_e32 v1, 15, v0
	v_lshlrev_b32_e32 v14, 2, v1
	s_waitcnt lgkmcnt(0)
	s_barrier
	ds_read_b32 v1, v14 offset:64
	v_cvt_f32_i32_e32 v15, s9
	s_waitcnt vmcnt(1)
	v_cvt_f32_u32_sdwa v21, v3 dst_sel:DWORD dst_unused:UNUSED_PAD src0_sel:WORD_1
	v_cvt_f32_u32_sdwa v23, v5 dst_sel:DWORD dst_unused:UNUSED_PAD src0_sel:WORD_1
	v_cvt_f32_u32_sdwa v22, v5 dst_sel:DWORD dst_unused:UNUSED_PAD src0_sel:WORD_0
	s_waitcnt lgkmcnt(0)
	v_mov_b32_dpp v16, v1 quad_perm:[1,0,3,2] row_mask:0xf bank_mask:0xf
	v_add_f32_e32 v1, v1, v16
	s_cmp_lg_u32 s14, 0
	s_nop 0
	v_mov_b32_dpp v16, v1 quad_perm:[2,3,0,1] row_mask:0xf bank_mask:0xf
	v_add_f32_e32 v1, v1, v16
	s_nop 1
	v_mov_b32_dpp v16, v1 row_half_mirror row_mask:0xf bank_mask:0xf
	v_add_f32_e32 v1, v1, v16
	s_nop 1
	v_mov_b32_dpp v16, v1 row_mirror row_mask:0xf bank_mask:0xf
	v_add_f32_e32 v1, v1, v16
	v_div_scale_f32 v16, s[2:3], v15, v15, v1
	v_rcp_f32_e32 v17, v16
	v_div_scale_f32 v18, vcc, v1, v15, v1
	s_mov_b32 s2, 0x800000
	v_fma_f32 v19, -v16, v17, 1.0
	v_fmac_f32_e32 v17, v19, v17
	v_mul_f32_e32 v19, v18, v17
	v_fma_f32 v20, -v16, v19, v18
	v_fmac_f32_e32 v19, v20, v17
	v_fma_f32 v16, -v16, v19, v18
	v_div_fmas_f32 v16, v16, v17, v19
	v_div_fixup_f32 v1, v16, v15, v1
	v_cvt_f64_f32_e32 v[16:17], v1
	v_add_f64 v[16:17], v[16:17], s[28:29]
	v_cvt_f32_f64_e32 v1, v[16:17]
	v_mul_f32_e32 v15, 0x4b800000, v1
	v_cmp_gt_f32_e32 vcc, s2, v1
	v_cndmask_b32_e32 v1, v1, v15, vcc
	v_rsq_f32_e32 v15, v1
	v_cvt_f32_u32_sdwa v20, v3 dst_sel:DWORD dst_unused:UNUSED_PAD src0_sel:WORD_0
	v_cvt_f32_u32_sdwa v3, v4 dst_sel:DWORD dst_unused:UNUSED_PAD src0_sel:WORD_1
	v_lshlrev_b32_e32 v1, 3, v0
	v_mul_f32_e32 v16, 0x45800000, v15
	v_cndmask_b32_e32 v16, v15, v16, vcc
	v_mov_b32_e32 v17, v16
	;;#ASMSTART
	v_pk_mul_f32 v[12:13], v[12:13], v[16:17]
	;;#ASMEND
	;;#ASMSTART
	v_pk_mul_f32 v[10:11], v[10:11], v[16:17]
	;;#ASMEND
	;; [unrolled: 3-line block ×4, first 2 shown]
	v_cvt_f32_u32_sdwa v7, v2 dst_sel:DWORD dst_unused:UNUSED_PAD src0_sel:WORD_1
	v_cvt_f32_u32_sdwa v6, v2 dst_sel:DWORD dst_unused:UNUSED_PAD src0_sel:WORD_0
	v_cvt_f32_u32_sdwa v2, v4 dst_sel:DWORD dst_unused:UNUSED_PAD src0_sel:WORD_0
	;;#ASMSTART
	v_pk_mul_f32 v[8:9], v[12:13], v[6:7]
	;;#ASMEND
	;;#ASMSTART
	v_pk_mul_f32 v[6:7], v[10:11], v[20:21]
	;;#ASMEND
	v_and_b32_e32 v10, 0x7fffffff, v8
	v_mov_b32_e32 v12, 0x2edbe6ff
	;;#ASMSTART
	v_pk_mul_f32 v[4:5], v[18:19], v[2:3]
	;;#ASMEND
	;;#ASMSTART
	v_pk_mul_f32 v[2:3], v[16:17], v[22:23]
	;;#ASMEND
	v_and_b32_e32 v11, 0x7fffffff, v9
	;;#ASMSTART
	v_max3_f32 v10, v12, v10, v11

	;;#ASMEND
	v_and_b32_e32 v12, 0x7fffffff, v7
	v_and_b32_e32 v11, 0x7fffffff, v6
	;;#ASMSTART
	v_max3_f32 v10, v10, v11, v12

	;;#ASMEND
	v_and_b32_e32 v12, 0x7fffffff, v5
	v_and_b32_e32 v11, 0x7fffffff, v4
	;;#ASMSTART
	v_max3_f32 v10, v10, v11, v12

	;;#ASMEND
	v_and_b32_e32 v12, 0x7fffffff, v3
	v_and_b32_e32 v11, 0x7fffffff, v2
	;;#ASMSTART
	v_max3_f32 v12, v10, v11, v12

	;;#ASMEND
	s_cbranch_scc0 .LBB64_10
; %bb.4:
	s_ashr_i32 s12, s14, 31
	s_lshr_b32 s2, s12, 29
	s_add_i32 s2, s14, s2
	s_ashr_i32 s10, s2, 3
	s_cmp_lt_i32 s10, 16
	s_cbranch_scc1 .LBB64_11
; %bb.5:
	s_cmp_lt_i32 s10, 32
	s_cbranch_scc1 .LBB64_12
; %bb.6:
	;; [unrolled: 3-line block ×3, first 2 shown]
	s_cmp_eq_u32 s10, 64
	v_mov_b32_e32 v10, v12
	s_cbranch_scc0 .LBB64_9
; %bb.8:
	s_nop 0
	v_mov_b32_dpp v10, v12 quad_perm:[1,0,3,2] row_mask:0xf bank_mask:0xf
	v_cmp_gt_f32_e32 vcc, v12, v10
	v_cndmask_b32_e32 v10, v10, v12, vcc
	v_bfrev_b32_e32 v13, 0.5
	s_nop 0
	v_mov_b32_dpp v11, v10 quad_perm:[2,3,0,1] row_mask:0xf bank_mask:0xf
	v_cmp_gt_f32_e32 vcc, v10, v11
	v_cndmask_b32_e32 v10, v11, v10, vcc
	s_nop 1
	v_mov_b32_dpp v11, v10 row_ror:4 row_mask:0xf bank_mask:0xf
	v_cmp_gt_f32_e32 vcc, v10, v11
	v_cndmask_b32_e32 v10, v11, v10, vcc
	s_nop 1
	v_mov_b32_dpp v11, v10 row_ror:8 row_mask:0xf bank_mask:0xf
	v_cmp_gt_f32_e32 vcc, v10, v11
	v_cndmask_b32_e32 v10, v11, v10, vcc
	s_nop 1
	v_mov_b32_dpp v11, v10 row_bcast:15 row_mask:0xf bank_mask:0xf
	v_cmp_gt_f32_e32 vcc, v10, v11
	v_cndmask_b32_e32 v10, v11, v10, vcc
	s_nop 1
	v_mov_b32_dpp v11, v10 row_bcast:31 row_mask:0xf bank_mask:0xf
	v_cmp_gt_f32_e32 vcc, v10, v11
	v_cndmask_b32_e32 v10, v11, v10, vcc
	v_mbcnt_lo_u32_b32 v11, -1, 0
	v_mbcnt_hi_u32_b32 v11, -1, v11
	v_lshl_or_b32 v11, v11, 2, v13
	ds_bpermute_b32 v10, v11, v10
.LBB64_9:
	s_mov_b64 s[2:3], 0
	s_branch .LBB64_14
.LBB64_10:
	s_mov_b64 s[2:3], 0
                                        ; implicit-def: $vgpr13
                                        ; implicit-def: $vgpr10_vgpr11
	s_cbranch_execnz .LBB64_43
	s_branch .LBB64_46
.LBB64_11:
                                        ; implicit-def: $vgpr10
	s_branch .LBB64_21
.LBB64_12:
                                        ; implicit-def: $vgpr10
	s_branch .LBB64_18
.LBB64_13:
	s_mov_b64 s[2:3], -1
                                        ; implicit-def: $vgpr10
.LBB64_14:
	s_andn2_b64 vcc, exec, s[2:3]
	s_cbranch_vccnz .LBB64_17
; %bb.15:
	s_cmp_eq_u32 s10, 32
	s_waitcnt lgkmcnt(0)
	v_mov_b32_e32 v10, v12
	s_cbranch_scc0 .LBB64_17
; %bb.16:
	s_nop 0
	v_mov_b32_dpp v10, v12 quad_perm:[1,0,3,2] row_mask:0xf bank_mask:0xf
	v_cmp_gt_f32_e32 vcc, v12, v10
	v_cndmask_b32_e32 v10, v10, v12, vcc
	v_mov_b32_e32 v13, 0x7c
	s_nop 0
	v_mov_b32_dpp v11, v10 quad_perm:[2,3,0,1] row_mask:0xf bank_mask:0xf
	v_cmp_gt_f32_e32 vcc, v10, v11
	v_cndmask_b32_e32 v10, v11, v10, vcc
	s_nop 1
	v_mov_b32_dpp v11, v10 row_half_mirror row_mask:0xf bank_mask:0xf
	v_cmp_gt_f32_e32 vcc, v10, v11
	v_cndmask_b32_e32 v10, v11, v10, vcc
	s_nop 1
	v_mov_b32_dpp v11, v10 row_mirror row_mask:0xf bank_mask:0xf
	v_cmp_gt_f32_e32 vcc, v10, v11
	v_cndmask_b32_e32 v10, v11, v10, vcc
	s_nop 1
	v_mov_b32_dpp v11, v10 row_bcast:15 row_mask:0xa bank_mask:0xf
	v_cmp_gt_f32_e32 vcc, v10, v11
	v_cndmask_b32_e32 v10, v11, v10, vcc
	v_mbcnt_lo_u32_b32 v11, -1, 0
	v_mbcnt_hi_u32_b32 v11, -1, v11
	v_lshl_or_b32 v11, v11, 2, v13
	ds_bpermute_b32 v10, v11, v10
.LBB64_17:
	s_cbranch_execnz .LBB64_20
.LBB64_18:
	s_cmp_eq_u32 s10, 16
	s_waitcnt lgkmcnt(0)
	v_mov_b32_e32 v10, v12
	s_cbranch_scc0 .LBB64_20
; %bb.19:
	s_nop 0
	v_mov_b32_dpp v10, v12 quad_perm:[1,0,3,2] row_mask:0xf bank_mask:0xf
	v_cmp_gt_f32_e32 vcc, v12, v10
	v_cndmask_b32_e32 v10, v10, v12, vcc
	s_nop 1
	v_mov_b32_dpp v11, v10 quad_perm:[2,3,0,1] row_mask:0xf bank_mask:0xf
	v_cmp_gt_f32_e32 vcc, v10, v11
	v_cndmask_b32_e32 v10, v11, v10, vcc
	s_nop 1
	v_mov_b32_dpp v11, v10 row_half_mirror row_mask:0xf bank_mask:0xf
	v_cmp_gt_f32_e32 vcc, v10, v11
	v_cndmask_b32_e32 v10, v11, v10, vcc
	s_nop 1
	v_mov_b32_dpp v11, v10 row_mirror row_mask:0xf bank_mask:0xf
	v_cmp_gt_f32_e32 vcc, v10, v11
	v_cndmask_b32_e32 v10, v11, v10, vcc
.LBB64_20:
	s_cbranch_execnz .LBB64_33
.LBB64_21:
	s_cmp_lt_i32 s10, 4
	s_cbranch_scc1 .LBB64_25
; %bb.22:
	s_cmp_lt_i32 s10, 8
	s_cbranch_scc1 .LBB64_26
; %bb.23:
	s_cmp_eq_u32 s10, 8
	s_waitcnt lgkmcnt(0)
	v_mov_b32_e32 v10, v12
	s_cbranch_scc0 .LBB64_27
; %bb.24:
	s_nop 0
	v_mov_b32_dpp v10, v12 quad_perm:[1,0,3,2] row_mask:0xf bank_mask:0xf
	v_cmp_gt_f32_e32 vcc, v12, v10
	v_cndmask_b32_e32 v10, v10, v12, vcc
	s_nop 1
	v_mov_b32_dpp v11, v10 quad_perm:[2,3,0,1] row_mask:0xf bank_mask:0xf
	v_cmp_gt_f32_e32 vcc, v10, v11
	v_cndmask_b32_e32 v10, v11, v10, vcc
	s_nop 1
	v_mov_b32_dpp v11, v10 row_half_mirror row_mask:0xf bank_mask:0xf
	v_cmp_gt_f32_e32 vcc, v10, v11
	v_cndmask_b32_e32 v10, v11, v10, vcc
	s_cbranch_execz .LBB64_28
	s_branch .LBB64_30
.LBB64_25:
                                        ; implicit-def: $vgpr10
	s_branch .LBB64_31
.LBB64_26:
                                        ; implicit-def: $vgpr10
	s_branch .LBB64_28
.LBB64_27:
	s_cbranch_execnz .LBB64_30
.LBB64_28:
	s_cmp_eq_u32 s10, 4
	s_waitcnt lgkmcnt(0)
	v_mov_b32_e32 v10, v12
	s_cbranch_scc0 .LBB64_30
; %bb.29:
	s_nop 0
	v_mov_b32_dpp v10, v12 quad_perm:[1,0,3,2] row_mask:0xf bank_mask:0xf
	v_cmp_gt_f32_e32 vcc, v12, v10
	v_cndmask_b32_e32 v10, v10, v12, vcc
	s_nop 1
	v_mov_b32_dpp v11, v10 quad_perm:[2,3,0,1] row_mask:0xf bank_mask:0xf
	v_cmp_gt_f32_e32 vcc, v10, v11
	v_cndmask_b32_e32 v10, v11, v10, vcc
.LBB64_30:
	s_cbranch_execnz .LBB64_33
.LBB64_31:
	s_cmp_lg_u32 s10, 2
	s_waitcnt lgkmcnt(0)
	v_mov_b32_e32 v10, v12
	s_cbranch_scc1 .LBB64_33
; %bb.32:
	s_nop 0
	v_mov_b32_dpp v10, v12 quad_perm:[1,0,3,2] row_mask:0xf bank_mask:0xf
	v_cmp_gt_f32_e32 vcc, v12, v10
	v_cndmask_b32_e32 v10, v10, v12, vcc
.LBB64_33:
	v_cvt_f32_u32_e32 v11, s10
	s_waitcnt lgkmcnt(0)
	v_mul_f32_e32 v13, 0x3c010204, v10
	s_sub_i32 s2, 0, s10
	v_cmp_gt_u32_e32 vcc, s9, v1
	v_rcp_iflag_f32_e32 v11, v11
	s_mov_b64 s[4:5], 0
	v_mul_f32_e32 v10, 0x4f7ffffe, v11
	v_cvt_u32_f32_e32 v10, v10
	v_mul_lo_u32 v11, s2, v10
	v_mul_hi_u32 v11, v10, v11
	v_add_u32_e32 v10, v10, v11
	v_mul_hi_u32 v10, v0, v10
	v_mul_lo_u32 v11, v10, s10
	v_sub_u32_e32 v11, v0, v11
	v_add_u32_e32 v15, 1, v10
	v_cmp_le_u32_e64 s[2:3], s10, v11
	v_cndmask_b32_e64 v10, v10, v15, s[2:3]
	v_subrev_u32_e32 v15, s10, v11
	v_cndmask_b32_e64 v11, v11, v15, s[2:3]
	v_add_u32_e32 v15, 1, v10
	v_cmp_le_u32_e64 s[2:3], s10, v11
	v_cndmask_b32_e64 v15, v10, v15, s[2:3]
	v_mul_lo_u32 v10, v15, s10
	v_sub_u32_e32 v10, v0, v10
	v_cmp_eq_u32_e64 s[2:3], 0, v10
	s_and_b64 s[10:11], s[2:3], vcc
	s_mov_b64 s[2:3], 0
                                        ; implicit-def: $vgpr10_vgpr11
	s_and_saveexec_b64 s[18:19], s[10:11]
	s_xor_b64 s[10:11], exec, s[18:19]
	s_cbranch_execz .LBB64_42
; %bb.34:
	s_bitcmp0_b32 s15, 0
	s_cbranch_scc0 .LBB64_39
; %bb.35:
	s_ashr_i32 s2, s9, 31
	s_mul_hi_u32 s3, s9, s6
	s_mul_i32 s2, s2, s6
	s_add_i32 s19, s3, s2
	s_mul_i32 s18, s9, s6
	s_mov_b32 s15, s12
	s_or_b64 s[2:3], s[18:19], s[14:15]
	s_mov_b32 s2, 0
	s_cmp_lg_u64 s[2:3], 0
	s_cbranch_scc0 .LBB64_50
; %bb.36:
	s_add_u32 s2, s14, s15
	s_mov_b32 s24, s15
	s_mov_b32 s25, s15
	s_addc_u32 s3, s15, s15
	s_xor_b64 s[26:27], s[2:3], s[24:25]
	v_cvt_f32_u32_e32 v10, s26
	v_cvt_f32_u32_e32 v11, s27
	s_sub_u32 s2, 0, s26
	s_subb_u32 s3, 0, s27
	v_madmk_f32 v10, v11, 0x4f800000, v10
	v_rcp_f32_e32 v10, v10
	v_mul_f32_e32 v10, 0x5f7ffffc, v10
	v_mul_f32_e32 v11, 0x2f800000, v10
	v_trunc_f32_e32 v11, v11
	v_madmk_f32 v10, v11, 0xcf800000, v10
	v_cvt_u32_f32_e32 v11, v11
	v_cvt_u32_f32_e32 v10, v10
	v_readfirstlane_b32 s12, v11
	v_readfirstlane_b32 s15, v10
	s_mul_i32 s28, s2, s12
	s_mul_hi_u32 s30, s2, s15
	s_mul_i32 s29, s3, s15
	s_add_i32 s28, s30, s28
	s_add_i32 s28, s28, s29
	s_mul_i32 s31, s2, s15
	s_mul_hi_u32 s29, s15, s28
	s_mul_i32 s30, s15, s28
	s_mul_hi_u32 s15, s15, s31
	s_add_u32 s15, s15, s30
	s_addc_u32 s29, 0, s29
	s_mul_hi_u32 s33, s12, s31
	s_mul_i32 s31, s12, s31
	s_add_u32 s15, s15, s31
	s_mul_hi_u32 s30, s12, s28
	s_addc_u32 s15, s29, s33
	s_addc_u32 s29, s30, 0
	s_mul_i32 s28, s12, s28
	s_add_u32 s15, s15, s28
	s_addc_u32 s28, 0, s29
	v_add_co_u32_e32 v10, vcc, s15, v10
	s_cmp_lg_u64 vcc, 0
	s_addc_u32 s12, s12, s28
	v_readfirstlane_b32 s28, v10
	s_mul_i32 s15, s2, s12
	s_mul_hi_u32 s29, s2, s28
	s_add_i32 s15, s29, s15
	s_mul_i32 s3, s3, s28
	s_add_i32 s15, s15, s3
	s_mul_i32 s2, s2, s28
	s_mul_hi_u32 s29, s12, s2
	s_mul_i32 s30, s12, s2
	s_mul_i32 s33, s28, s15
	s_mul_hi_u32 s2, s28, s2
	s_mul_hi_u32 s31, s28, s15
	s_add_u32 s2, s2, s33
	s_addc_u32 s28, 0, s31
	s_add_u32 s2, s2, s30
	s_mul_hi_u32 s3, s12, s15
	s_addc_u32 s2, s28, s29
	s_addc_u32 s3, s3, 0
	s_mul_i32 s15, s12, s15
	s_add_u32 s2, s2, s15
	s_addc_u32 s3, 0, s3
	v_add_co_u32_e32 v10, vcc, s2, v10
	s_cmp_lg_u64 vcc, 0
	s_addc_u32 s12, s12, s3
	s_ashr_i32 s28, s19, 31
	s_add_u32 s2, s18, s28
	s_mov_b32 s29, s28
	s_addc_u32 s3, s19, s28
	s_xor_b64 s[30:31], s[2:3], s[28:29]
	v_readfirstlane_b32 s15, v10
	s_mul_i32 s3, s30, s12
	s_mul_hi_u32 s19, s30, s15
	s_mul_hi_u32 s2, s30, s12
	s_add_u32 s3, s19, s3
	s_addc_u32 s2, 0, s2
	s_mul_hi_u32 s33, s31, s15
	s_mul_i32 s15, s31, s15
	s_add_u32 s3, s3, s15
	s_mul_hi_u32 s19, s31, s12
	s_addc_u32 s2, s2, s33
	s_addc_u32 s3, s19, 0
	s_mul_i32 s12, s31, s12
	s_add_u32 s12, s2, s12
	s_addc_u32 s15, 0, s3
	s_mul_i32 s2, s26, s15
	s_mul_hi_u32 s3, s26, s12
	s_add_i32 s2, s3, s2
	s_mul_i32 s3, s27, s12
	s_add_i32 s19, s2, s3
	s_mul_i32 s3, s26, s12
	v_mov_b32_e32 v10, s3
	s_sub_i32 s2, s31, s19
	v_sub_co_u32_e32 v10, vcc, s30, v10
	s_cmp_lg_u64 vcc, 0
	s_subb_u32 s30, s2, s27
	v_subrev_co_u32_e64 v11, s[2:3], s26, v10
	s_cmp_lg_u64 s[2:3], 0
	s_subb_u32 s30, s30, 0
	s_cmp_ge_u32 s30, s27
	s_cselect_b32 s33, -1, 0
	v_cmp_le_u32_e64 s[2:3], s26, v11
	s_cmp_eq_u32 s30, s27
	v_cndmask_b32_e64 v11, 0, -1, s[2:3]
	v_mov_b32_e32 v16, s33
	s_cselect_b64 s[2:3], -1, 0
	v_cndmask_b32_e64 v11, v16, v11, s[2:3]
	s_add_u32 s2, s12, 1
	s_addc_u32 s30, s15, 0
	s_add_u32 s3, s12, 2
	s_addc_u32 s33, s15, 0
	v_mov_b32_e32 v16, s2
	v_mov_b32_e32 v17, s3
	v_cmp_ne_u32_e64 s[2:3], 0, v11
	v_cndmask_b32_e64 v11, v16, v17, s[2:3]
	v_mov_b32_e32 v16, s30
	v_mov_b32_e32 v17, s33
	s_cmp_lg_u64 vcc, 0
	v_cndmask_b32_e64 v16, v16, v17, s[2:3]
	s_subb_u32 s2, s31, s19
	s_cmp_ge_u32 s2, s27
	s_cselect_b32 s3, -1, 0
	v_cmp_le_u32_e32 vcc, s26, v10
	s_cmp_eq_u32 s2, s27
	v_cndmask_b32_e64 v10, 0, -1, vcc
	v_mov_b32_e32 v17, s3
	s_cselect_b64 vcc, -1, 0
	v_cndmask_b32_e32 v10, v17, v10, vcc
	v_mov_b32_e32 v17, s15
	v_cmp_ne_u32_e32 vcc, 0, v10
	v_cndmask_b32_e32 v10, v17, v16, vcc
	v_mov_b32_e32 v16, s12
	v_cndmask_b32_e32 v11, v16, v11, vcc
	s_xor_b64 s[2:3], s[28:29], s[24:25]
	v_xor_b32_e32 v11, s2, v11
	v_xor_b32_e32 v16, s3, v10
	v_mov_b32_e32 v17, s3
	v_subrev_co_u32_e32 v10, vcc, s2, v11
	v_subb_co_u32_e32 v11, vcc, v16, v17, vcc
	s_cbranch_execnz .LBB64_38
.LBB64_37:
	v_cvt_f32_u32_e32 v10, s14
	s_sub_i32 s2, 0, s14
	s_mov_b32 s3, 0
	v_rcp_iflag_f32_e32 v10, v10
	v_mul_f32_e32 v10, 0x4f7ffffe, v10
	v_cvt_u32_f32_e32 v10, v10
	v_readfirstlane_b32 s12, v10
	s_mul_i32 s2, s2, s12
	s_mul_hi_u32 s2, s12, s2
	s_add_i32 s12, s12, s2
	s_mul_hi_u32 s2, s18, s12
	s_mul_i32 s15, s2, s14
	s_sub_i32 s15, s18, s15
	s_add_i32 s12, s2, 1
	s_sub_i32 s18, s15, s14
	s_cmp_ge_u32 s15, s14
	s_cselect_b32 s2, s12, s2
	s_cselect_b32 s15, s18, s15
	s_add_i32 s12, s2, 1
	s_cmp_ge_u32 s15, s14
	s_cselect_b32 s2, s12, s2
	v_pk_mov_b32 v[10:11], s[2:3], s[2:3] op_sel:[0,1]
.LBB64_38:
	v_add_co_u32_e32 v10, vcc, v10, v15
	v_addc_co_u32_e32 v11, vcc, 0, v11, vcc
	s_branch .LBB64_41
.LBB64_39:
                                        ; implicit-def: $vgpr10_vgpr11
	s_cbranch_execz .LBB64_41
; %bb.40:
	v_mul_lo_u32 v10, v15, s8
	v_ashrrev_i32_e32 v11, 31, v10
	v_mov_b32_e32 v15, s7
	v_add_co_u32_e32 v10, vcc, s6, v10
	v_addc_co_u32_e32 v11, vcc, v11, v15, vcc
.LBB64_41:
	s_mov_b64 s[2:3], exec
.LBB64_42:
	s_or_b64 exec, exec, s[10:11]
	s_and_b64 vcc, exec, s[4:5]
	s_cbranch_vccz .LBB64_46
.LBB64_43:
	v_mov_b32_dpp v10, v12 quad_perm:[1,0,3,2] row_mask:0xf bank_mask:0xf
	v_cmp_gt_f32_e32 vcc, v12, v10
	v_cndmask_b32_e32 v10, v10, v12, vcc
	s_nop 1
	v_mov_b32_dpp v11, v10 quad_perm:[2,3,0,1] row_mask:0xf bank_mask:0xf
	v_cmp_gt_f32_e32 vcc, v10, v11
	v_cndmask_b32_e32 v10, v11, v10, vcc
	s_nop 1
	v_mov_b32_dpp v11, v10 row_half_mirror row_mask:0xf bank_mask:0xf
	v_cmp_gt_f32_e32 vcc, v10, v11
	v_cndmask_b32_e32 v10, v11, v10, vcc
	s_nop 1
	v_mov_b32_dpp v11, v10 row_mirror row_mask:0xf bank_mask:0xf
	v_cmp_gt_f32_e32 vcc, v10, v11
	v_cndmask_b32_e32 v10, v11, v10, vcc
	s_nop 1
	v_mov_b32_dpp v11, v10 row_bcast:15 row_mask:0xf bank_mask:0xf
	v_cmp_gt_f32_e32 vcc, v10, v11
	v_cndmask_b32_e32 v10, v11, v10, vcc
	s_nop 1
	v_mov_b32_dpp v11, v10 row_bcast:31 row_mask:0xf bank_mask:0xf
	s_and_saveexec_b64 s[2:3], s[0:1]
	s_cbranch_execz .LBB64_45
; %bb.44:
	v_lshrrev_b32_e32 v12, 4, v0
	v_cmp_gt_f32_e32 vcc, v10, v11
	v_and_b32_e32 v12, 60, v12
	v_cndmask_b32_e32 v10, v11, v10, vcc
	ds_write_b32 v12, v10
.LBB64_45:
	s_or_b64 exec, exec, s[2:3]
	s_waitcnt lgkmcnt(0)
	s_barrier
	ds_read_b32 v10, v14
	v_cmp_eq_u32_e64 s[2:3], 0, v0
	s_waitcnt lgkmcnt(0)
	v_mov_b32_dpp v11, v10 quad_perm:[1,0,3,2] row_mask:0xf bank_mask:0xf
	v_cmp_gt_f32_e32 vcc, v10, v11
	v_cndmask_b32_e32 v10, v11, v10, vcc
	s_nop 1
	v_mov_b32_dpp v11, v10 quad_perm:[2,3,0,1] row_mask:0xf bank_mask:0xf
	v_cmp_gt_f32_e32 vcc, v10, v11
	v_cndmask_b32_e32 v10, v11, v10, vcc
	s_nop 1
	v_mov_b32_dpp v11, v10 row_half_mirror row_mask:0xf bank_mask:0xf
	v_cmp_gt_f32_e32 vcc, v10, v11
	v_cndmask_b32_e32 v10, v11, v10, vcc
	s_nop 1
	v_mov_b32_dpp v11, v10 row_mirror row_mask:0xf bank_mask:0xf
	v_cmp_gt_f32_e32 vcc, v10, v11
	v_cndmask_b32_e32 v10, v11, v10, vcc
	v_mul_f32_e32 v13, 0x3c010204, v10
	v_pk_mov_b32 v[10:11], s[6:7], s[6:7] op_sel:[0,1]
.LBB64_46:
	s_and_saveexec_b64 s[0:1], s[2:3]
	s_cbranch_execz .LBB64_48
; %bb.47:
	v_lshlrev_b64 v[10:11], 2, v[10:11]
	v_mov_b32_e32 v0, s21
	v_add_co_u32_e32 v10, vcc, s20, v10
	v_addc_co_u32_e32 v11, vcc, v0, v11, vcc
	global_store_dword v[10:11], v13, off
.LBB64_48:
	s_or_b64 exec, exec, s[0:1]
	s_add_i32 s0, s9, 3
	s_ashr_i32 s1, s0, 31
	s_lshr_b32 s1, s1, 30
	;;#ASMSTART
	v_rcp_f32 v10, v13
	;;#ASMEND
	v_mov_b32_e32 v11, v10
	;;#ASMSTART
	v_pk_mul_f32 v[8:9], v[8:9], v[10:11]
	;;#ASMEND
	;;#ASMSTART
	v_pk_mul_f32 v[6:7], v[6:7], v[10:11]
	;;#ASMEND
	s_add_i32 s0, s0, s1
	v_cvt_i32_f32_e32 v0, v8
	v_cvt_i32_f32_sdwa v8, v9 dst_sel:BYTE_1 dst_unused:UNUSED_PAD src0_sel:DWORD
	v_cvt_i32_f32_e32 v6, v6
	v_cvt_i32_f32_sdwa v7, v7 dst_sel:BYTE_1 dst_unused:UNUSED_PAD src0_sel:DWORD
	;;#ASMSTART
	v_pk_mul_f32 v[4:5], v[4:5], v[10:11]
	;;#ASMEND
	;;#ASMSTART
	v_pk_mul_f32 v[2:3], v[2:3], v[10:11]
	;;#ASMEND
	s_and_b32 s2, s0, -4
	s_ashr_i32 s0, s13, 31
	v_cvt_i32_f32_e32 v4, v4
	v_cvt_i32_f32_sdwa v5, v5 dst_sel:BYTE_1 dst_unused:UNUSED_PAD src0_sel:DWORD
	v_cvt_i32_f32_e32 v9, v2
	v_cvt_i32_f32_sdwa v3, v3 dst_sel:BYTE_1 dst_unused:UNUSED_PAD src0_sel:DWORD
	s_mul_hi_u32 s1, s13, s6
	s_mul_i32 s0, s0, s6
	s_add_i32 s1, s1, s0
	s_mul_i32 s0, s13, s6
	s_add_u32 s0, s16, s0
	v_or_b32_sdwa v0, v0, v8 dst_sel:DWORD dst_unused:UNUSED_PAD src0_sel:BYTE_0 src1_sel:DWORD
	v_or_b32_sdwa v2, v6, v7 dst_sel:WORD_1 dst_unused:UNUSED_PAD src0_sel:BYTE_0 src1_sel:DWORD
	s_addc_u32 s1, s17, s1
	v_or_b32_sdwa v2, v0, v2 dst_sel:DWORD dst_unused:UNUSED_PAD src0_sel:WORD_0 src1_sel:DWORD
	v_or_b32_sdwa v0, v4, v5 dst_sel:DWORD dst_unused:UNUSED_PAD src0_sel:BYTE_0 src1_sel:DWORD
	v_or_b32_sdwa v3, v9, v3 dst_sel:WORD_1 dst_unused:UNUSED_PAD src0_sel:BYTE_0 src1_sel:DWORD
	s_and_b32 s1, s1, 0xffff
	s_mov_b32 s3, 0x20000
	v_or_b32_sdwa v3, v0, v3 dst_sel:DWORD dst_unused:UNUSED_PAD src0_sel:WORD_0 src1_sel:DWORD
	buffer_store_dwordx2 v[2:3], v1, s[0:3], 0 offen
	;;#ASMSTART
	s_nop 0
	;;#ASMEND
.LBB64_49:
	s_endpgm
.LBB64_50:
                                        ; implicit-def: $vgpr10_vgpr11
	s_branch .LBB64_37
	.section	.rodata,"a",@progbits
	.p2align	6, 0x0
	.amdhsa_kernel _ZN5aiter24add_rmsnorm_quant_kernelItaLi1024ELi8ELb1ELb1ELb0ELi1EEEvPT0_PT_PfS4_S4_S4_diiiiiiib
		.amdhsa_group_segment_fixed_size 128
		.amdhsa_private_segment_fixed_size 0
		.amdhsa_kernarg_size 88
		.amdhsa_user_sgpr_count 6
		.amdhsa_user_sgpr_private_segment_buffer 1
		.amdhsa_user_sgpr_dispatch_ptr 0
		.amdhsa_user_sgpr_queue_ptr 0
		.amdhsa_user_sgpr_kernarg_segment_ptr 1
		.amdhsa_user_sgpr_dispatch_id 0
		.amdhsa_user_sgpr_flat_scratch_init 0
		.amdhsa_user_sgpr_kernarg_preload_length 0
		.amdhsa_user_sgpr_kernarg_preload_offset 0
		.amdhsa_user_sgpr_private_segment_size 0
		.amdhsa_uses_dynamic_stack 0
		.amdhsa_system_sgpr_private_segment_wavefront_offset 0
		.amdhsa_system_sgpr_workgroup_id_x 1
		.amdhsa_system_sgpr_workgroup_id_y 0
		.amdhsa_system_sgpr_workgroup_id_z 0
		.amdhsa_system_sgpr_workgroup_info 0
		.amdhsa_system_vgpr_workitem_id 0
		.amdhsa_next_free_vgpr 27
		.amdhsa_next_free_sgpr 40
		.amdhsa_accum_offset 28
		.amdhsa_reserve_vcc 1
		.amdhsa_reserve_flat_scratch 0
		.amdhsa_float_round_mode_32 0
		.amdhsa_float_round_mode_16_64 0
		.amdhsa_float_denorm_mode_32 3
		.amdhsa_float_denorm_mode_16_64 3
		.amdhsa_dx10_clamp 1
		.amdhsa_ieee_mode 1
		.amdhsa_fp16_overflow 0
		.amdhsa_tg_split 0
		.amdhsa_exception_fp_ieee_invalid_op 0
		.amdhsa_exception_fp_denorm_src 0
		.amdhsa_exception_fp_ieee_div_zero 0
		.amdhsa_exception_fp_ieee_overflow 0
		.amdhsa_exception_fp_ieee_underflow 0
		.amdhsa_exception_fp_ieee_inexact 0
		.amdhsa_exception_int_div_zero 0
	.end_amdhsa_kernel
	.section	.text._ZN5aiter24add_rmsnorm_quant_kernelItaLi1024ELi8ELb1ELb1ELb0ELi1EEEvPT0_PT_PfS4_S4_S4_diiiiiiib,"axG",@progbits,_ZN5aiter24add_rmsnorm_quant_kernelItaLi1024ELi8ELb1ELb1ELb0ELi1EEEvPT0_PT_PfS4_S4_S4_diiiiiiib,comdat
.Lfunc_end64:
	.size	_ZN5aiter24add_rmsnorm_quant_kernelItaLi1024ELi8ELb1ELb1ELb0ELi1EEEvPT0_PT_PfS4_S4_S4_diiiiiiib, .Lfunc_end64-_ZN5aiter24add_rmsnorm_quant_kernelItaLi1024ELi8ELb1ELb1ELb0ELi1EEEvPT0_PT_PfS4_S4_S4_diiiiiiib
                                        ; -- End function
	.section	.AMDGPU.csdata,"",@progbits
; Kernel info:
; codeLenInByte = 3388
; NumSgprs: 44
; NumVgprs: 27
; NumAgprs: 0
; TotalNumVgprs: 27
; ScratchSize: 0
; MemoryBound: 0
; FloatMode: 240
; IeeeMode: 1
; LDSByteSize: 128 bytes/workgroup (compile time only)
; SGPRBlocks: 5
; VGPRBlocks: 3
; NumSGPRsForWavesPerEU: 44
; NumVGPRsForWavesPerEU: 27
; AccumOffset: 28
; Occupancy: 8
; WaveLimiterHint : 0
; COMPUTE_PGM_RSRC2:SCRATCH_EN: 0
; COMPUTE_PGM_RSRC2:USER_SGPR: 6
; COMPUTE_PGM_RSRC2:TRAP_HANDLER: 0
; COMPUTE_PGM_RSRC2:TGID_X_EN: 1
; COMPUTE_PGM_RSRC2:TGID_Y_EN: 0
; COMPUTE_PGM_RSRC2:TGID_Z_EN: 0
; COMPUTE_PGM_RSRC2:TIDIG_COMP_CNT: 0
; COMPUTE_PGM_RSRC3_GFX90A:ACCUM_OFFSET: 6
; COMPUTE_PGM_RSRC3_GFX90A:TG_SPLIT: 0
	.section	.text._ZN5aiter24add_rmsnorm_quant_kernelIDF16_DB8_Li64ELi8ELb0ELb1ELb1ELi1EEEvPT0_PT_PfS5_S5_S5_diiiiiiib,"axG",@progbits,_ZN5aiter24add_rmsnorm_quant_kernelIDF16_DB8_Li64ELi8ELb0ELb1ELb1ELi1EEEvPT0_PT_PfS5_S5_S5_diiiiiiib,comdat
	.protected	_ZN5aiter24add_rmsnorm_quant_kernelIDF16_DB8_Li64ELi8ELb0ELb1ELb1ELi1EEEvPT0_PT_PfS5_S5_S5_diiiiiiib ; -- Begin function _ZN5aiter24add_rmsnorm_quant_kernelIDF16_DB8_Li64ELi8ELb0ELb1ELb1ELi1EEEvPT0_PT_PfS5_S5_S5_diiiiiiib
	.globl	_ZN5aiter24add_rmsnorm_quant_kernelIDF16_DB8_Li64ELi8ELb0ELb1ELb1ELi1EEEvPT0_PT_PfS5_S5_S5_diiiiiiib
	.p2align	8
	.type	_ZN5aiter24add_rmsnorm_quant_kernelIDF16_DB8_Li64ELi8ELb0ELb1ELb1ELi1EEEvPT0_PT_PfS5_S5_S5_diiiiiiib,@function
_ZN5aiter24add_rmsnorm_quant_kernelIDF16_DB8_Li64ELi8ELb0ELb1ELb1ELi1EEEvPT0_PT_PfS5_S5_S5_diiiiiiib: ; @_ZN5aiter24add_rmsnorm_quant_kernelIDF16_DB8_Li64ELi8ELb0ELb1ELb1ELi1EEEvPT0_PT_PfS5_S5_S5_diiiiiiib
; %bb.0:
	s_load_dwordx4 s[8:11], s[4:5], 0x38
	s_mov_b32 s7, 0
	s_waitcnt lgkmcnt(0)
	s_ashr_i32 s0, s8, 31
	v_mov_b32_e32 v2, s8
	v_mov_b32_e32 v3, s0
	v_cmp_ge_i64_e32 vcc, s[6:7], v[2:3]
	s_cbranch_vccnz .LBB65_45
; %bb.1:
	s_load_dwordx4 s[12:15], s[4:5], 0x10
	s_load_dwordx4 s[0:3], s[4:5], 0x28
	s_ashr_i32 s11, s10, 31
	s_mul_hi_u32 s16, s10, s6
	s_mul_i32 s11, s11, s6
	s_add_i32 s11, s16, s11
	s_mul_i32 s10, s10, s6
	s_lshl_b64 s[10:11], s[10:11], 1
	s_waitcnt lgkmcnt(0)
	s_add_u32 s16, s14, s10
	s_addc_u32 s10, s15, s11
	s_add_i32 s11, s9, 1
	s_lshr_b32 s14, s11, 31
	s_add_i32 s11, s11, s14
	s_lshl_b32 s11, s11, 1
	s_and_b32 s18, s11, -4
	s_and_b32 s17, s10, 0xffff
	s_mov_b32 s19, 0x20000
	v_lshlrev_b32_e32 v1, 4, v0
	buffer_load_dwordx4 v[6:9], v1, s[16:19], 0 offen glc slc
	s_and_b32 s17, s1, 0xffff
	s_mov_b32 s16, s0
	buffer_load_dwordx4 v[2:5], v1, s[16:19], 0 offen
	v_mbcnt_lo_u32_b32 v10, -1, 0
	v_mbcnt_hi_u32_b32 v10, -1, v10
	v_lshlrev_b32_e32 v10, 2, v10
	v_or_b32_e32 v12, 0xfc, v10
	v_cvt_f32_i32_e32 v11, s9
	s_mov_b32 s14, 0x800000
	s_load_dwordx2 s[10:11], s[4:5], 0x4c
	s_load_dword s18, s[4:5], 0x54
	v_mov_b32_e32 v13, 0x2edbe6ff
	v_lshlrev_b32_e32 v1, 3, v0
	s_waitcnt lgkmcnt(0)
	s_cmp_lg_u32 s11, 0
	s_waitcnt vmcnt(1)
	v_cvt_f32_f16_e32 v14, v6
	v_cvt_f32_f16_sdwa v15, v6 dst_sel:DWORD dst_unused:UNUSED_PAD src0_sel:WORD_1
	v_cvt_f32_f16_e32 v6, v7
	v_cvt_f32_f16_sdwa v7, v7 dst_sel:DWORD dst_unused:UNUSED_PAD src0_sel:WORD_1
	;; [unrolled: 2-line block ×3, first 2 shown]
	v_pk_mul_f32 v[20:21], v[14:15], v[14:15]
	v_cvt_f32_f16_e32 v8, v9
	v_cvt_f32_f16_sdwa v9, v9 dst_sel:DWORD dst_unused:UNUSED_PAD src0_sel:WORD_1
	v_pk_mul_f32 v[22:23], v[6:7], v[6:7]
	v_add_f32_e32 v19, v20, v21
	v_add_f32_e32 v19, v22, v19
	v_pk_mul_f32 v[24:25], v[16:17], v[16:17]
	v_add_f32_e32 v19, v23, v19
	v_add_f32_e32 v19, v24, v19
	;; [unrolled: 3-line block ×3, first 2 shown]
	v_add_f32_e32 v19, v27, v19
	s_waitcnt vmcnt(0)
	v_cvt_f32_f16_e32 v18, v2
	v_mov_b32_dpp v20, v19 quad_perm:[1,0,3,2] row_mask:0xf bank_mask:0xf
	v_add_f32_e32 v19, v19, v20
	s_nop 1
	v_mov_b32_dpp v20, v19 quad_perm:[2,3,0,1] row_mask:0xf bank_mask:0xf
	v_add_f32_e32 v19, v19, v20
	s_nop 1
	v_mov_b32_dpp v20, v19 row_half_mirror row_mask:0xf bank_mask:0xf
	v_add_f32_e32 v19, v19, v20
	s_nop 1
	v_mov_b32_dpp v20, v19 row_mirror row_mask:0xf bank_mask:0xf
	v_add_f32_e32 v19, v19, v20
	s_nop 1
	v_mov_b32_dpp v20, v19 row_bcast:15 row_mask:0xf bank_mask:0xf
	v_add_f32_e32 v19, v19, v20
	s_nop 1
	v_mov_b32_dpp v20, v19 row_bcast:31 row_mask:0xf bank_mask:0xf
	v_add_f32_e32 v19, v19, v20
	ds_bpermute_b32 v21, v12, v19
	v_cvt_f32_f16_e32 v20, v4
	v_cvt_f32_f16_sdwa v19, v2 dst_sel:DWORD dst_unused:UNUSED_PAD src0_sel:WORD_1
	v_cvt_f32_f16_e32 v2, v3
	v_cvt_f32_f16_sdwa v3, v3 dst_sel:DWORD dst_unused:UNUSED_PAD src0_sel:WORD_1
	s_waitcnt lgkmcnt(0)
	v_div_scale_f32 v22, s[0:1], v11, v11, v21
	v_rcp_f32_e32 v23, v22
	v_div_scale_f32 v24, vcc, v21, v11, v21
	v_fma_f32 v25, -v22, v23, 1.0
	v_fmac_f32_e32 v23, v25, v23
	v_mul_f32_e32 v25, v24, v23
	v_fma_f32 v26, -v22, v25, v24
	v_fmac_f32_e32 v25, v26, v23
	v_fma_f32 v22, -v22, v25, v24
	v_div_fmas_f32 v22, v22, v23, v25
	v_div_fixup_f32 v11, v22, v11, v21
	v_cvt_f64_f32_e32 v[22:23], v11
	v_add_f64 v[22:23], v[22:23], s[2:3]
	v_cvt_f32_f64_e32 v11, v[22:23]
	v_mul_f32_e32 v21, 0x4b800000, v11
	v_cmp_gt_f32_e32 vcc, s14, v11
	v_cndmask_b32_e32 v11, v11, v21, vcc
	v_rsq_f32_e32 v11, v11
	v_cvt_f32_f16_sdwa v21, v4 dst_sel:DWORD dst_unused:UNUSED_PAD src0_sel:WORD_1
	v_cvt_f32_f16_e32 v22, v5
	v_cvt_f32_f16_sdwa v23, v5 dst_sel:DWORD dst_unused:UNUSED_PAD src0_sel:WORD_1
	v_mul_f32_e32 v4, 0x45800000, v11
	v_cndmask_b32_e32 v4, v11, v4, vcc
	v_mov_b32_e32 v5, v4
	;;#ASMSTART
	v_pk_mul_f32 v[14:15], v[14:15], v[4:5]
	;;#ASMEND
	;;#ASMSTART
	v_pk_mul_f32 v[6:7], v[6:7], v[4:5]
	;;#ASMEND
	;;#ASMSTART
	v_pk_mul_f32 v[16:17], v[16:17], v[4:5]
	;;#ASMEND
	;;#ASMSTART
	v_pk_mul_f32 v[24:25], v[8:9], v[4:5]
	;;#ASMEND
	;;#ASMSTART
	v_pk_mul_f32 v[8:9], v[14:15], v[18:19]
	;;#ASMEND
	v_and_b32_e32 v11, 0x7fffffff, v8
	;;#ASMSTART
	v_pk_mul_f32 v[6:7], v[6:7], v[2:3]
	;;#ASMEND
	;;#ASMSTART
	v_pk_mul_f32 v[4:5], v[16:17], v[20:21]
	;;#ASMEND
	;; [unrolled: 3-line block ×3, first 2 shown]
	v_and_b32_e32 v14, 0x7fffffff, v9
	;;#ASMSTART
	v_max3_f32 v11, v13, v11, v14

	;;#ASMEND
	v_and_b32_e32 v15, 0x7fffffff, v6
	v_and_b32_e32 v16, 0x7fffffff, v7
	;;#ASMSTART
	v_max3_f32 v11, v11, v15, v16

	;;#ASMEND
	v_and_b32_e32 v17, 0x7fffffff, v4
	v_and_b32_e32 v18, 0x7fffffff, v5
	;; [unrolled: 1-line block ×4, first 2 shown]
	;;#ASMSTART
	v_max3_f32 v11, v11, v17, v18

	;;#ASMEND
	;;#ASMSTART
	v_max3_f32 v13, v11, v19, v20

	;;#ASMEND
	s_cbranch_scc0 .LBB65_8
; %bb.2:
	s_ashr_i32 s3, s11, 31
	s_lshr_b32 s0, s3, 29
	s_add_i32 s0, s11, s0
	s_ashr_i32 s2, s0, 3
	s_cmp_lt_i32 s2, 16
	s_cbranch_scc1 .LBB65_9
; %bb.3:
	s_cmp_lt_i32 s2, 32
	s_cbranch_scc1 .LBB65_10
; %bb.4:
	;; [unrolled: 3-line block ×3, first 2 shown]
	s_cmp_eq_u32 s2, 64
	v_mov_b32_e32 v11, v13
	s_cbranch_scc0 .LBB65_7
; %bb.6:
	s_nop 0
	v_mov_b32_dpp v11, v13 quad_perm:[1,0,3,2] row_mask:0xf bank_mask:0xf
	v_cmp_gt_f32_e32 vcc, v13, v11
	v_cndmask_b32_e32 v11, v11, v13, vcc
	s_nop 1
	v_mov_b32_dpp v14, v11 quad_perm:[2,3,0,1] row_mask:0xf bank_mask:0xf
	v_cmp_gt_f32_e32 vcc, v11, v14
	v_cndmask_b32_e32 v11, v14, v11, vcc
	s_nop 1
	v_mov_b32_dpp v14, v11 row_ror:4 row_mask:0xf bank_mask:0xf
	v_cmp_gt_f32_e32 vcc, v11, v14
	v_cndmask_b32_e32 v11, v14, v11, vcc
	s_nop 1
	v_mov_b32_dpp v14, v11 row_ror:8 row_mask:0xf bank_mask:0xf
	v_cmp_gt_f32_e32 vcc, v11, v14
	v_cndmask_b32_e32 v11, v14, v11, vcc
	s_nop 1
	v_mov_b32_dpp v14, v11 row_bcast:15 row_mask:0xf bank_mask:0xf
	v_cmp_gt_f32_e32 vcc, v11, v14
	v_cndmask_b32_e32 v11, v14, v11, vcc
	s_nop 1
	v_mov_b32_dpp v14, v11 row_bcast:31 row_mask:0xf bank_mask:0xf
	v_cmp_gt_f32_e32 vcc, v11, v14
	v_cndmask_b32_e32 v11, v14, v11, vcc
	ds_bpermute_b32 v11, v12, v11
.LBB65_7:
	s_mov_b64 s[0:1], 0
	s_branch .LBB65_12
.LBB65_8:
	s_mov_b64 s[0:1], 0
                                        ; implicit-def: $vgpr14
                                        ; implicit-def: $vgpr10_vgpr11
	s_cbranch_execnz .LBB65_41
	s_branch .LBB65_42
.LBB65_9:
                                        ; implicit-def: $vgpr11
	s_branch .LBB65_19
.LBB65_10:
                                        ; implicit-def: $vgpr11
	s_branch .LBB65_16
.LBB65_11:
	s_mov_b64 s[0:1], -1
                                        ; implicit-def: $vgpr11
.LBB65_12:
	s_andn2_b64 vcc, exec, s[0:1]
	s_cbranch_vccnz .LBB65_15
; %bb.13:
	s_cmp_eq_u32 s2, 32
	s_waitcnt lgkmcnt(0)
	v_mov_b32_e32 v11, v13
	s_cbranch_scc0 .LBB65_15
; %bb.14:
	s_nop 0
	v_mov_b32_dpp v11, v13 quad_perm:[1,0,3,2] row_mask:0xf bank_mask:0xf
	v_cmp_gt_f32_e32 vcc, v13, v11
	v_cndmask_b32_e32 v11, v11, v13, vcc
	v_or_b32_e32 v10, 0x7c, v10
	s_nop 0
	v_mov_b32_dpp v14, v11 quad_perm:[2,3,0,1] row_mask:0xf bank_mask:0xf
	v_cmp_gt_f32_e32 vcc, v11, v14
	v_cndmask_b32_e32 v11, v14, v11, vcc
	s_nop 1
	v_mov_b32_dpp v14, v11 row_half_mirror row_mask:0xf bank_mask:0xf
	v_cmp_gt_f32_e32 vcc, v11, v14
	v_cndmask_b32_e32 v11, v14, v11, vcc
	s_nop 1
	v_mov_b32_dpp v14, v11 row_mirror row_mask:0xf bank_mask:0xf
	v_cmp_gt_f32_e32 vcc, v11, v14
	v_cndmask_b32_e32 v11, v14, v11, vcc
	s_nop 1
	v_mov_b32_dpp v14, v11 row_bcast:15 row_mask:0xa bank_mask:0xf
	v_cmp_gt_f32_e32 vcc, v11, v14
	v_cndmask_b32_e32 v11, v14, v11, vcc
	ds_bpermute_b32 v11, v10, v11
.LBB65_15:
	s_cbranch_execnz .LBB65_18
.LBB65_16:
	s_cmp_eq_u32 s2, 16
	s_waitcnt lgkmcnt(0)
	v_mov_b32_e32 v11, v13
	s_cbranch_scc0 .LBB65_18
; %bb.17:
	v_mov_b32_dpp v10, v13 quad_perm:[1,0,3,2] row_mask:0xf bank_mask:0xf
	v_cmp_gt_f32_e32 vcc, v13, v10
	v_cndmask_b32_e32 v10, v10, v13, vcc
	s_nop 1
	v_mov_b32_dpp v11, v10 quad_perm:[2,3,0,1] row_mask:0xf bank_mask:0xf
	v_cmp_gt_f32_e32 vcc, v10, v11
	v_cndmask_b32_e32 v10, v11, v10, vcc
	s_nop 1
	v_mov_b32_dpp v11, v10 row_half_mirror row_mask:0xf bank_mask:0xf
	v_cmp_gt_f32_e32 vcc, v10, v11
	v_cndmask_b32_e32 v10, v11, v10, vcc
	s_nop 1
	v_mov_b32_dpp v11, v10 row_mirror row_mask:0xf bank_mask:0xf
	v_cmp_gt_f32_e32 vcc, v10, v11
	v_cndmask_b32_e32 v11, v11, v10, vcc
.LBB65_18:
	s_cbranch_execnz .LBB65_31
.LBB65_19:
	s_cmp_lt_i32 s2, 4
	s_cbranch_scc1 .LBB65_23
; %bb.20:
	s_cmp_lt_i32 s2, 8
	s_cbranch_scc1 .LBB65_24
; %bb.21:
	s_cmp_eq_u32 s2, 8
	s_waitcnt lgkmcnt(0)
	v_mov_b32_e32 v11, v13
	s_cbranch_scc0 .LBB65_25
; %bb.22:
	v_mov_b32_dpp v10, v13 quad_perm:[1,0,3,2] row_mask:0xf bank_mask:0xf
	v_cmp_gt_f32_e32 vcc, v13, v10
	v_cndmask_b32_e32 v10, v10, v13, vcc
	s_nop 1
	v_mov_b32_dpp v11, v10 quad_perm:[2,3,0,1] row_mask:0xf bank_mask:0xf
	v_cmp_gt_f32_e32 vcc, v10, v11
	v_cndmask_b32_e32 v10, v11, v10, vcc
	s_nop 1
	v_mov_b32_dpp v11, v10 row_half_mirror row_mask:0xf bank_mask:0xf
	v_cmp_gt_f32_e32 vcc, v10, v11
	v_cndmask_b32_e32 v11, v11, v10, vcc
	s_cbranch_execz .LBB65_26
	s_branch .LBB65_28
.LBB65_23:
                                        ; implicit-def: $vgpr11
	s_branch .LBB65_29
.LBB65_24:
                                        ; implicit-def: $vgpr11
	s_branch .LBB65_26
.LBB65_25:
	s_cbranch_execnz .LBB65_28
.LBB65_26:
	s_cmp_eq_u32 s2, 4
	s_waitcnt lgkmcnt(0)
	v_mov_b32_e32 v11, v13
	s_cbranch_scc0 .LBB65_28
; %bb.27:
	v_mov_b32_dpp v10, v13 quad_perm:[1,0,3,2] row_mask:0xf bank_mask:0xf
	v_cmp_gt_f32_e32 vcc, v13, v10
	v_cndmask_b32_e32 v10, v10, v13, vcc
	s_nop 1
	v_mov_b32_dpp v11, v10 quad_perm:[2,3,0,1] row_mask:0xf bank_mask:0xf
	v_cmp_gt_f32_e32 vcc, v10, v11
	v_cndmask_b32_e32 v11, v11, v10, vcc
.LBB65_28:
	s_cbranch_execnz .LBB65_31
.LBB65_29:
	s_cmp_lg_u32 s2, 2
	s_waitcnt lgkmcnt(0)
	v_mov_b32_e32 v11, v13
	s_cbranch_scc1 .LBB65_31
; %bb.30:
	v_mov_b32_dpp v10, v13 quad_perm:[1,0,3,2] row_mask:0xf bank_mask:0xf
	v_cmp_gt_f32_e32 vcc, v13, v10
	v_cndmask_b32_e32 v11, v10, v13, vcc
.LBB65_31:
	v_cvt_f32_u32_e32 v10, s2
	s_sub_i32 s0, 0, s2
	s_waitcnt lgkmcnt(0)
	v_mul_f32_e32 v14, 0x3b124925, v11
	v_cmp_gt_u32_e32 vcc, s9, v1
	v_rcp_iflag_f32_e32 v10, v10
	s_mov_b64 s[14:15], 0
	v_mul_f32_e32 v10, 0x4f7ffffe, v10
	v_cvt_u32_f32_e32 v10, v10
	v_mul_lo_u32 v11, s0, v10
	v_mul_hi_u32 v11, v10, v11
	v_add_u32_e32 v10, v10, v11
	v_mul_hi_u32 v10, v0, v10
	v_mul_lo_u32 v11, v10, s2
	v_sub_u32_e32 v11, v0, v11
	v_add_u32_e32 v15, 1, v10
	v_cmp_le_u32_e64 s[0:1], s2, v11
	v_cndmask_b32_e64 v10, v10, v15, s[0:1]
	v_subrev_u32_e32 v15, s2, v11
	v_cndmask_b32_e64 v11, v11, v15, s[0:1]
	v_add_u32_e32 v15, 1, v10
	v_cmp_le_u32_e64 s[0:1], s2, v11
	v_cndmask_b32_e64 v15, v10, v15, s[0:1]
	v_mul_lo_u32 v10, v15, s2
	v_sub_u32_e32 v10, v0, v10
	v_cmp_eq_u32_e64 s[0:1], 0, v10
	s_and_b64 s[16:17], s[0:1], vcc
	s_mov_b64 s[0:1], 0
                                        ; implicit-def: $vgpr10_vgpr11
	s_and_saveexec_b64 s[20:21], s[16:17]
	s_xor_b64 s[16:17], exec, s[20:21]
	s_cbranch_execz .LBB65_40
; %bb.32:
	s_bitcmp0_b32 s18, 0
	s_cbranch_scc0 .LBB65_37
; %bb.33:
	s_ashr_i32 s0, s9, 31
	s_mul_hi_u32 s1, s9, s6
	s_mul_i32 s0, s0, s6
	s_add_i32 s19, s1, s0
	s_mul_i32 s18, s9, s6
	s_mov_b32 s2, s11
	s_or_b64 s[0:1], s[18:19], s[2:3]
	s_mov_b32 s0, 0
	s_cmp_lg_u64 s[0:1], 0
	s_cbranch_scc0 .LBB65_46
; %bb.34:
	s_add_u32 s0, s2, s3
	s_mov_b32 s22, s3
	s_mov_b32 s23, s3
	s_addc_u32 s1, s3, s3
	s_xor_b64 s[24:25], s[0:1], s[22:23]
	v_cvt_f32_u32_e32 v10, s24
	v_cvt_f32_u32_e32 v11, s25
	s_sub_u32 s0, 0, s24
	s_subb_u32 s1, 0, s25
	v_madmk_f32 v10, v11, 0x4f800000, v10
	v_rcp_f32_e32 v10, v10
	v_mul_f32_e32 v10, 0x5f7ffffc, v10
	v_mul_f32_e32 v11, 0x2f800000, v10
	v_trunc_f32_e32 v11, v11
	v_madmk_f32 v10, v11, 0xcf800000, v10
	v_cvt_u32_f32_e32 v11, v11
	v_cvt_u32_f32_e32 v10, v10
	v_readfirstlane_b32 s3, v11
	v_readfirstlane_b32 s11, v10
	s_mul_i32 s26, s0, s3
	s_mul_hi_u32 s28, s0, s11
	s_mul_i32 s27, s1, s11
	s_add_i32 s26, s28, s26
	s_add_i32 s26, s26, s27
	s_mul_i32 s29, s0, s11
	s_mul_hi_u32 s27, s11, s26
	s_mul_i32 s28, s11, s26
	s_mul_hi_u32 s11, s11, s29
	s_add_u32 s11, s11, s28
	s_addc_u32 s27, 0, s27
	s_mul_hi_u32 s30, s3, s29
	s_mul_i32 s29, s3, s29
	s_add_u32 s11, s11, s29
	s_mul_hi_u32 s28, s3, s26
	s_addc_u32 s11, s27, s30
	s_addc_u32 s27, s28, 0
	s_mul_i32 s26, s3, s26
	s_add_u32 s11, s11, s26
	s_addc_u32 s26, 0, s27
	v_add_co_u32_e32 v10, vcc, s11, v10
	s_cmp_lg_u64 vcc, 0
	s_addc_u32 s3, s3, s26
	v_readfirstlane_b32 s26, v10
	s_mul_i32 s11, s0, s3
	s_mul_hi_u32 s27, s0, s26
	s_add_i32 s11, s27, s11
	s_mul_i32 s1, s1, s26
	s_add_i32 s11, s11, s1
	s_mul_i32 s0, s0, s26
	s_mul_hi_u32 s27, s3, s0
	s_mul_i32 s28, s3, s0
	s_mul_i32 s30, s26, s11
	s_mul_hi_u32 s0, s26, s0
	s_mul_hi_u32 s29, s26, s11
	s_add_u32 s0, s0, s30
	s_addc_u32 s26, 0, s29
	s_add_u32 s0, s0, s28
	s_mul_hi_u32 s1, s3, s11
	s_addc_u32 s0, s26, s27
	s_addc_u32 s1, s1, 0
	s_mul_i32 s11, s3, s11
	s_add_u32 s0, s0, s11
	s_addc_u32 s1, 0, s1
	v_add_co_u32_e32 v10, vcc, s0, v10
	s_cmp_lg_u64 vcc, 0
	s_addc_u32 s3, s3, s1
	s_ashr_i32 s26, s19, 31
	s_add_u32 s0, s18, s26
	s_mov_b32 s27, s26
	s_addc_u32 s1, s19, s26
	s_xor_b64 s[28:29], s[0:1], s[26:27]
	v_readfirstlane_b32 s11, v10
	s_mul_i32 s1, s28, s3
	s_mul_hi_u32 s19, s28, s11
	s_mul_hi_u32 s0, s28, s3
	s_add_u32 s1, s19, s1
	s_addc_u32 s0, 0, s0
	s_mul_hi_u32 s30, s29, s11
	s_mul_i32 s11, s29, s11
	s_add_u32 s1, s1, s11
	s_mul_hi_u32 s19, s29, s3
	s_addc_u32 s0, s0, s30
	s_addc_u32 s1, s19, 0
	s_mul_i32 s3, s29, s3
	s_add_u32 s3, s0, s3
	s_addc_u32 s11, 0, s1
	s_mul_i32 s0, s24, s11
	s_mul_hi_u32 s1, s24, s3
	s_add_i32 s0, s1, s0
	s_mul_i32 s1, s25, s3
	s_add_i32 s19, s0, s1
	s_mul_i32 s1, s24, s3
	v_mov_b32_e32 v10, s1
	s_sub_i32 s0, s29, s19
	v_sub_co_u32_e32 v10, vcc, s28, v10
	s_cmp_lg_u64 vcc, 0
	s_subb_u32 s28, s0, s25
	v_subrev_co_u32_e64 v11, s[0:1], s24, v10
	s_cmp_lg_u64 s[0:1], 0
	s_subb_u32 s28, s28, 0
	s_cmp_ge_u32 s28, s25
	s_cselect_b32 s30, -1, 0
	v_cmp_le_u32_e64 s[0:1], s24, v11
	s_cmp_eq_u32 s28, s25
	v_cndmask_b32_e64 v11, 0, -1, s[0:1]
	v_mov_b32_e32 v16, s30
	s_cselect_b64 s[0:1], -1, 0
	v_cndmask_b32_e64 v11, v16, v11, s[0:1]
	s_add_u32 s0, s3, 1
	s_addc_u32 s28, s11, 0
	s_add_u32 s1, s3, 2
	s_addc_u32 s30, s11, 0
	v_mov_b32_e32 v16, s0
	v_mov_b32_e32 v17, s1
	v_cmp_ne_u32_e64 s[0:1], 0, v11
	v_cndmask_b32_e64 v11, v16, v17, s[0:1]
	v_mov_b32_e32 v16, s28
	v_mov_b32_e32 v17, s30
	s_cmp_lg_u64 vcc, 0
	v_cndmask_b32_e64 v16, v16, v17, s[0:1]
	s_subb_u32 s0, s29, s19
	s_cmp_ge_u32 s0, s25
	s_cselect_b32 s1, -1, 0
	v_cmp_le_u32_e32 vcc, s24, v10
	s_cmp_eq_u32 s0, s25
	v_cndmask_b32_e64 v10, 0, -1, vcc
	v_mov_b32_e32 v17, s1
	s_cselect_b64 vcc, -1, 0
	v_cndmask_b32_e32 v10, v17, v10, vcc
	v_mov_b32_e32 v17, s11
	v_cmp_ne_u32_e32 vcc, 0, v10
	v_cndmask_b32_e32 v10, v17, v16, vcc
	v_mov_b32_e32 v16, s3
	v_cndmask_b32_e32 v11, v16, v11, vcc
	s_xor_b64 s[0:1], s[26:27], s[22:23]
	v_xor_b32_e32 v11, s0, v11
	v_xor_b32_e32 v16, s1, v10
	v_mov_b32_e32 v17, s1
	v_subrev_co_u32_e32 v10, vcc, s0, v11
	v_subb_co_u32_e32 v11, vcc, v16, v17, vcc
	s_cbranch_execnz .LBB65_36
.LBB65_35:
	v_cvt_f32_u32_e32 v10, s2
	s_sub_i32 s0, 0, s2
	s_mov_b32 s1, 0
	v_rcp_iflag_f32_e32 v10, v10
	v_mul_f32_e32 v10, 0x4f7ffffe, v10
	v_cvt_u32_f32_e32 v10, v10
	v_readfirstlane_b32 s3, v10
	s_mul_i32 s0, s0, s3
	s_mul_hi_u32 s0, s3, s0
	s_add_i32 s3, s3, s0
	s_mul_hi_u32 s0, s18, s3
	s_mul_i32 s11, s0, s2
	s_sub_i32 s11, s18, s11
	s_add_i32 s3, s0, 1
	s_sub_i32 s18, s11, s2
	s_cmp_ge_u32 s11, s2
	s_cselect_b32 s0, s3, s0
	s_cselect_b32 s11, s18, s11
	s_add_i32 s3, s0, 1
	s_cmp_ge_u32 s11, s2
	s_cselect_b32 s0, s3, s0
	v_pk_mov_b32 v[10:11], s[0:1], s[0:1] op_sel:[0,1]
.LBB65_36:
	v_add_co_u32_e32 v10, vcc, v10, v15
	v_addc_co_u32_e32 v11, vcc, 0, v11, vcc
	s_branch .LBB65_39
.LBB65_37:
                                        ; implicit-def: $vgpr10_vgpr11
	s_cbranch_execz .LBB65_39
; %bb.38:
	v_mul_lo_u32 v10, v15, s8
	v_ashrrev_i32_e32 v11, 31, v10
	v_mov_b32_e32 v15, s7
	v_add_co_u32_e32 v10, vcc, s6, v10
	v_addc_co_u32_e32 v11, vcc, v11, v15, vcc
.LBB65_39:
	s_mov_b64 s[0:1], exec
.LBB65_40:
	s_or_b64 exec, exec, s[16:17]
	s_and_b64 vcc, exec, s[14:15]
	s_cbranch_vccz .LBB65_42
.LBB65_41:
	v_mov_b32_dpp v10, v13 quad_perm:[1,0,3,2] row_mask:0xf bank_mask:0xf
	v_cmp_gt_f32_e32 vcc, v13, v10
	v_cndmask_b32_e32 v10, v10, v13, vcc
	s_andn2_b64 s[0:1], s[0:1], exec
	s_nop 0
	v_mov_b32_dpp v11, v10 quad_perm:[2,3,0,1] row_mask:0xf bank_mask:0xf
	v_cmp_gt_f32_e32 vcc, v10, v11
	v_cndmask_b32_e32 v10, v11, v10, vcc
	s_nop 1
	v_mov_b32_dpp v11, v10 row_half_mirror row_mask:0xf bank_mask:0xf
	v_cmp_gt_f32_e32 vcc, v10, v11
	v_cndmask_b32_e32 v10, v11, v10, vcc
	s_nop 1
	v_mov_b32_dpp v11, v10 row_mirror row_mask:0xf bank_mask:0xf
	v_cmp_gt_f32_e32 vcc, v10, v11
	v_cndmask_b32_e32 v10, v11, v10, vcc
	s_nop 1
	v_mov_b32_dpp v11, v10 row_bcast:15 row_mask:0xf bank_mask:0xf
	v_cmp_gt_f32_e32 vcc, v10, v11
	v_cndmask_b32_e32 v10, v11, v10, vcc
	s_nop 1
	v_mov_b32_dpp v11, v10 row_bcast:31 row_mask:0xf bank_mask:0xf
	v_cmp_gt_f32_e32 vcc, v10, v11
	v_cndmask_b32_e32 v10, v11, v10, vcc
	ds_bpermute_b32 v10, v12, v10
	v_cmp_eq_u32_e32 vcc, 0, v0
	s_and_b64 s[2:3], vcc, exec
	s_or_b64 s[0:1], s[0:1], s[2:3]
	s_waitcnt lgkmcnt(0)
	v_mul_f32_e32 v14, 0x3b124925, v10
	v_pk_mov_b32 v[10:11], s[6:7], s[6:7] op_sel:[0,1]
.LBB65_42:
	s_and_saveexec_b64 s[2:3], s[0:1]
	s_cbranch_execz .LBB65_44
; %bb.43:
	v_lshlrev_b64 v[10:11], 2, v[10:11]
	v_mov_b32_e32 v0, s13
	v_add_co_u32_e32 v10, vcc, s12, v10
	v_addc_co_u32_e32 v11, vcc, v0, v11, vcc
	global_store_dword v[10:11], v14, off
.LBB65_44:
	s_or_b64 exec, exec, s[2:3]
	s_add_i32 s2, s9, 3
	s_load_dwordx2 s[0:1], s[4:5], 0x0
	s_ashr_i32 s3, s2, 31
	s_lshr_b32 s3, s3, 30
	;;#ASMSTART
	v_rcp_f32 v10, v14
	;;#ASMEND
	v_mov_b32_e32 v11, v10
	;;#ASMSTART
	v_pk_mul_f32 v[8:9], v[8:9], v[10:11]
	;;#ASMEND
	s_add_i32 s2, s2, s3
	s_ashr_i32 s3, s10, 31
	v_mov_b32_e32 v0, 0xc3e00000
	v_mov_b32_e32 v12, 0x43e00000
	;;#ASMSTART
	v_med3_f32 v8, v8, v0, v12
v_med3_f32 v9, v9, v0, v12
v_cvt_pk_fp8_f32 v13, v8, v9
	;;#ASMEND
	;;#ASMSTART
	v_pk_mul_f32 v[6:7], v[6:7], v[10:11]
	;;#ASMEND
	s_mul_hi_u32 s4, s10, s6
	s_mul_i32 s3, s3, s6
	;;#ASMSTART
	v_med3_f32 v6, v6, v0, v12
v_med3_f32 v7, v7, v0, v12
v_cvt_pk_fp8_f32 v8, v6, v7
	;;#ASMEND
	s_mov_b32 s5, 0x5040100
	s_and_b32 s2, s2, -4
	s_add_i32 s4, s4, s3
	s_mul_i32 s3, s10, s6
	v_perm_b32 v7, v8, v13, s5
	s_movk_i32 s5, 0xff
	s_waitcnt lgkmcnt(0)
	s_add_u32 s0, s0, s3
	v_and_b32_e32 v6, 0xffffff00, v8
	v_and_b32_sdwa v8, v7, s5 dst_sel:DWORD dst_unused:UNUSED_PAD src0_sel:WORD_1 src1_sel:DWORD
	s_addc_u32 s1, s1, s4
	s_mov_b32 s4, 0xffff
	v_or_b32_sdwa v6, v8, v6 dst_sel:WORD_1 dst_unused:UNUSED_PAD src0_sel:DWORD src1_sel:DWORD
	;;#ASMSTART
	v_pk_mul_f32 v[4:5], v[4:5], v[10:11]
	;;#ASMEND
	v_and_or_b32 v6, v7, s4, v6
	;;#ASMSTART
	v_med3_f32 v4, v4, v0, v12
v_med3_f32 v5, v5, v0, v12
v_cvt_pk_fp8_f32 v7, v4, v5
	;;#ASMEND
	;;#ASMSTART
	v_pk_mul_f32 v[2:3], v[2:3], v[10:11]
	;;#ASMEND
	;;#ASMSTART
	v_med3_f32 v2, v2, v0, v12
v_med3_f32 v3, v3, v0, v12
v_cvt_pk_fp8_f32 v0, v2, v3
	;;#ASMEND
	v_lshlrev_b32_e32 v0, 16, v0
	s_and_b32 s1, s1, 0xffff
	s_mov_b32 s3, 0x20000
	v_and_or_b32 v7, v7, s4, v0
	buffer_store_dwordx2 v[6:7], v1, s[0:3], 0 offen
	;;#ASMSTART
	s_nop 0
	;;#ASMEND
.LBB65_45:
	s_endpgm
.LBB65_46:
                                        ; implicit-def: $vgpr10_vgpr11
	s_branch .LBB65_35
	.section	.rodata,"a",@progbits
	.p2align	6, 0x0
	.amdhsa_kernel _ZN5aiter24add_rmsnorm_quant_kernelIDF16_DB8_Li64ELi8ELb0ELb1ELb1ELi1EEEvPT0_PT_PfS5_S5_S5_diiiiiiib
		.amdhsa_group_segment_fixed_size 0
		.amdhsa_private_segment_fixed_size 0
		.amdhsa_kernarg_size 88
		.amdhsa_user_sgpr_count 6
		.amdhsa_user_sgpr_private_segment_buffer 1
		.amdhsa_user_sgpr_dispatch_ptr 0
		.amdhsa_user_sgpr_queue_ptr 0
		.amdhsa_user_sgpr_kernarg_segment_ptr 1
		.amdhsa_user_sgpr_dispatch_id 0
		.amdhsa_user_sgpr_flat_scratch_init 0
		.amdhsa_user_sgpr_kernarg_preload_length 0
		.amdhsa_user_sgpr_kernarg_preload_offset 0
		.amdhsa_user_sgpr_private_segment_size 0
		.amdhsa_uses_dynamic_stack 0
		.amdhsa_system_sgpr_private_segment_wavefront_offset 0
		.amdhsa_system_sgpr_workgroup_id_x 1
		.amdhsa_system_sgpr_workgroup_id_y 0
		.amdhsa_system_sgpr_workgroup_id_z 0
		.amdhsa_system_sgpr_workgroup_info 0
		.amdhsa_system_vgpr_workitem_id 0
		.amdhsa_next_free_vgpr 28
		.amdhsa_next_free_sgpr 31
		.amdhsa_accum_offset 28
		.amdhsa_reserve_vcc 1
		.amdhsa_reserve_flat_scratch 0
		.amdhsa_float_round_mode_32 0
		.amdhsa_float_round_mode_16_64 0
		.amdhsa_float_denorm_mode_32 3
		.amdhsa_float_denorm_mode_16_64 3
		.amdhsa_dx10_clamp 1
		.amdhsa_ieee_mode 1
		.amdhsa_fp16_overflow 0
		.amdhsa_tg_split 0
		.amdhsa_exception_fp_ieee_invalid_op 0
		.amdhsa_exception_fp_denorm_src 0
		.amdhsa_exception_fp_ieee_div_zero 0
		.amdhsa_exception_fp_ieee_overflow 0
		.amdhsa_exception_fp_ieee_underflow 0
		.amdhsa_exception_fp_ieee_inexact 0
		.amdhsa_exception_int_div_zero 0
	.end_amdhsa_kernel
	.section	.text._ZN5aiter24add_rmsnorm_quant_kernelIDF16_DB8_Li64ELi8ELb0ELb1ELb1ELi1EEEvPT0_PT_PfS5_S5_S5_diiiiiiib,"axG",@progbits,_ZN5aiter24add_rmsnorm_quant_kernelIDF16_DB8_Li64ELi8ELb0ELb1ELb1ELi1EEEvPT0_PT_PfS5_S5_S5_diiiiiiib,comdat
.Lfunc_end65:
	.size	_ZN5aiter24add_rmsnorm_quant_kernelIDF16_DB8_Li64ELi8ELb0ELb1ELb1ELi1EEEvPT0_PT_PfS5_S5_S5_diiiiiiib, .Lfunc_end65-_ZN5aiter24add_rmsnorm_quant_kernelIDF16_DB8_Li64ELi8ELb0ELb1ELb1ELi1EEEvPT0_PT_PfS5_S5_S5_diiiiiiib
                                        ; -- End function
	.section	.AMDGPU.csdata,"",@progbits
; Kernel info:
; codeLenInByte = 2960
; NumSgprs: 35
; NumVgprs: 28
; NumAgprs: 0
; TotalNumVgprs: 28
; ScratchSize: 0
; MemoryBound: 0
; FloatMode: 240
; IeeeMode: 1
; LDSByteSize: 0 bytes/workgroup (compile time only)
; SGPRBlocks: 4
; VGPRBlocks: 3
; NumSGPRsForWavesPerEU: 35
; NumVGPRsForWavesPerEU: 28
; AccumOffset: 28
; Occupancy: 8
; WaveLimiterHint : 0
; COMPUTE_PGM_RSRC2:SCRATCH_EN: 0
; COMPUTE_PGM_RSRC2:USER_SGPR: 6
; COMPUTE_PGM_RSRC2:TRAP_HANDLER: 0
; COMPUTE_PGM_RSRC2:TGID_X_EN: 1
; COMPUTE_PGM_RSRC2:TGID_Y_EN: 0
; COMPUTE_PGM_RSRC2:TGID_Z_EN: 0
; COMPUTE_PGM_RSRC2:TIDIG_COMP_CNT: 0
; COMPUTE_PGM_RSRC3_GFX90A:ACCUM_OFFSET: 6
; COMPUTE_PGM_RSRC3_GFX90A:TG_SPLIT: 0
	.section	.text._ZN5aiter24add_rmsnorm_quant_kernelItDB8_Li64ELi8ELb0ELb1ELb1ELi1EEEvPT0_PT_PfS5_S5_S5_diiiiiiib,"axG",@progbits,_ZN5aiter24add_rmsnorm_quant_kernelItDB8_Li64ELi8ELb0ELb1ELb1ELi1EEEvPT0_PT_PfS5_S5_S5_diiiiiiib,comdat
	.protected	_ZN5aiter24add_rmsnorm_quant_kernelItDB8_Li64ELi8ELb0ELb1ELb1ELi1EEEvPT0_PT_PfS5_S5_S5_diiiiiiib ; -- Begin function _ZN5aiter24add_rmsnorm_quant_kernelItDB8_Li64ELi8ELb0ELb1ELb1ELi1EEEvPT0_PT_PfS5_S5_S5_diiiiiiib
	.globl	_ZN5aiter24add_rmsnorm_quant_kernelItDB8_Li64ELi8ELb0ELb1ELb1ELi1EEEvPT0_PT_PfS5_S5_S5_diiiiiiib
	.p2align	8
	.type	_ZN5aiter24add_rmsnorm_quant_kernelItDB8_Li64ELi8ELb0ELb1ELb1ELi1EEEvPT0_PT_PfS5_S5_S5_diiiiiiib,@function
_ZN5aiter24add_rmsnorm_quant_kernelItDB8_Li64ELi8ELb0ELb1ELb1ELi1EEEvPT0_PT_PfS5_S5_S5_diiiiiiib: ; @_ZN5aiter24add_rmsnorm_quant_kernelItDB8_Li64ELi8ELb0ELb1ELb1ELi1EEEvPT0_PT_PfS5_S5_S5_diiiiiiib
; %bb.0:
	s_load_dwordx4 s[8:11], s[4:5], 0x38
	s_mov_b32 s7, 0
	s_waitcnt lgkmcnt(0)
	s_ashr_i32 s0, s8, 31
	v_mov_b32_e32 v2, s8
	v_mov_b32_e32 v3, s0
	v_cmp_ge_i64_e32 vcc, s[6:7], v[2:3]
	s_cbranch_vccnz .LBB66_45
; %bb.1:
	s_load_dwordx4 s[12:15], s[4:5], 0x10
	s_load_dwordx4 s[0:3], s[4:5], 0x28
	s_ashr_i32 s11, s10, 31
	s_mul_hi_u32 s16, s10, s6
	s_mul_i32 s11, s11, s6
	s_add_i32 s11, s16, s11
	s_mul_i32 s10, s10, s6
	s_lshl_b64 s[10:11], s[10:11], 1
	s_waitcnt lgkmcnt(0)
	s_add_u32 s16, s14, s10
	s_addc_u32 s10, s15, s11
	s_add_i32 s11, s9, 1
	s_lshr_b32 s14, s11, 31
	s_add_i32 s11, s11, s14
	s_lshl_b32 s11, s11, 1
	s_and_b32 s18, s11, -4
	s_and_b32 s17, s10, 0xffff
	s_mov_b32 s19, 0x20000
	v_lshlrev_b32_e32 v1, 4, v0
	buffer_load_dwordx4 v[6:9], v1, s[16:19], 0 offen glc slc
	s_and_b32 s17, s1, 0xffff
	s_mov_b32 s16, s0
	buffer_load_dwordx4 v[2:5], v1, s[16:19], 0 offen
	v_mbcnt_lo_u32_b32 v10, -1, 0
	v_mbcnt_hi_u32_b32 v10, -1, v10
	v_lshlrev_b32_e32 v10, 2, v10
	v_or_b32_e32 v12, 0xfc, v10
	v_cvt_f32_i32_e32 v11, s9
	s_mov_b32 s14, 0x800000
	s_load_dwordx2 s[10:11], s[4:5], 0x4c
	s_load_dword s18, s[4:5], 0x54
	v_mov_b32_e32 v13, 0x2edbe6ff
	v_lshlrev_b32_e32 v1, 3, v0
	s_waitcnt lgkmcnt(0)
	s_cmp_lg_u32 s11, 0
	s_waitcnt vmcnt(1)
	v_cvt_f32_u32_sdwa v15, v6 dst_sel:DWORD dst_unused:UNUSED_PAD src0_sel:WORD_1
	v_cvt_f32_u32_sdwa v14, v6 dst_sel:DWORD dst_unused:UNUSED_PAD src0_sel:WORD_0
	v_cvt_f32_u32_sdwa v17, v7 dst_sel:DWORD dst_unused:UNUSED_PAD src0_sel:WORD_1
	v_cvt_f32_u32_sdwa v16, v7 dst_sel:DWORD dst_unused:UNUSED_PAD src0_sel:WORD_0
	;; [unrolled: 2-line block ×3, first 2 shown]
	v_pk_mul_f32 v[20:21], v[14:15], v[14:15]
	v_cvt_f32_u32_sdwa v19, v9 dst_sel:DWORD dst_unused:UNUSED_PAD src0_sel:WORD_1
	v_cvt_f32_u32_sdwa v18, v9 dst_sel:DWORD dst_unused:UNUSED_PAD src0_sel:WORD_0
	v_pk_mul_f32 v[22:23], v[16:17], v[16:17]
	v_add_f32_e32 v8, v20, v21
	v_add_f32_e32 v8, v22, v8
	v_pk_mul_f32 v[24:25], v[6:7], v[6:7]
	v_add_f32_e32 v8, v23, v8
	v_add_f32_e32 v8, v24, v8
	v_pk_mul_f32 v[26:27], v[18:19], v[18:19]
	v_add_f32_e32 v8, v25, v8
	v_add_f32_e32 v8, v26, v8
	v_add_f32_e32 v8, v27, v8
	s_waitcnt vmcnt(0)
	v_cvt_f32_u32_sdwa v9, v2 dst_sel:DWORD dst_unused:UNUSED_PAD src0_sel:WORD_1
	v_cvt_f32_u32_sdwa v21, v3 dst_sel:DWORD dst_unused:UNUSED_PAD src0_sel:WORD_1
	v_mov_b32_dpp v20, v8 quad_perm:[1,0,3,2] row_mask:0xf bank_mask:0xf
	v_add_f32_e32 v8, v8, v20
	s_nop 1
	v_mov_b32_dpp v20, v8 quad_perm:[2,3,0,1] row_mask:0xf bank_mask:0xf
	v_add_f32_e32 v8, v8, v20
	s_nop 1
	v_mov_b32_dpp v20, v8 row_half_mirror row_mask:0xf bank_mask:0xf
	v_add_f32_e32 v8, v8, v20
	s_nop 1
	v_mov_b32_dpp v20, v8 row_mirror row_mask:0xf bank_mask:0xf
	v_add_f32_e32 v8, v8, v20
	s_nop 1
	v_mov_b32_dpp v20, v8 row_bcast:15 row_mask:0xf bank_mask:0xf
	v_add_f32_e32 v8, v8, v20
	s_nop 1
	v_mov_b32_dpp v20, v8 row_bcast:31 row_mask:0xf bank_mask:0xf
	v_add_f32_e32 v8, v8, v20
	ds_bpermute_b32 v22, v12, v8
	v_cvt_f32_u32_sdwa v8, v2 dst_sel:DWORD dst_unused:UNUSED_PAD src0_sel:WORD_0
	v_cvt_f32_u32_sdwa v20, v3 dst_sel:DWORD dst_unused:UNUSED_PAD src0_sel:WORD_0
	v_cvt_f32_u32_sdwa v3, v4 dst_sel:DWORD dst_unused:UNUSED_PAD src0_sel:WORD_1
	s_waitcnt lgkmcnt(0)
	v_div_scale_f32 v2, s[0:1], v11, v11, v22
	v_rcp_f32_e32 v23, v2
	v_div_scale_f32 v24, vcc, v22, v11, v22
	v_fma_f32 v25, -v2, v23, 1.0
	v_fmac_f32_e32 v23, v25, v23
	v_mul_f32_e32 v25, v24, v23
	v_fma_f32 v26, -v2, v25, v24
	v_fmac_f32_e32 v25, v26, v23
	v_fma_f32 v2, -v2, v25, v24
	v_div_fmas_f32 v2, v2, v23, v25
	v_div_fixup_f32 v2, v2, v11, v22
	v_cvt_f64_f32_e32 v[22:23], v2
	v_add_f64 v[22:23], v[22:23], s[2:3]
	v_cvt_f32_f64_e32 v2, v[22:23]
	v_mul_f32_e32 v11, 0x4b800000, v2
	v_cmp_gt_f32_e32 vcc, s14, v2
	v_cndmask_b32_e32 v2, v2, v11, vcc
	v_rsq_f32_e32 v11, v2
	v_cvt_f32_u32_sdwa v2, v4 dst_sel:DWORD dst_unused:UNUSED_PAD src0_sel:WORD_0
	v_cvt_f32_u32_sdwa v23, v5 dst_sel:DWORD dst_unused:UNUSED_PAD src0_sel:WORD_1
	v_cvt_f32_u32_sdwa v22, v5 dst_sel:DWORD dst_unused:UNUSED_PAD src0_sel:WORD_0
	v_mul_f32_e32 v4, 0x45800000, v11
	v_cndmask_b32_e32 v4, v11, v4, vcc
	v_mov_b32_e32 v5, v4
	;;#ASMSTART
	v_pk_mul_f32 v[14:15], v[14:15], v[4:5]
	;;#ASMEND
	;;#ASMSTART
	v_pk_mul_f32 v[16:17], v[16:17], v[4:5]
	;;#ASMEND
	;; [unrolled: 3-line block ×5, first 2 shown]
	v_and_b32_e32 v11, 0x7fffffff, v8
	;;#ASMSTART
	v_pk_mul_f32 v[6:7], v[16:17], v[20:21]
	;;#ASMEND
	;;#ASMSTART
	v_pk_mul_f32 v[4:5], v[24:25], v[2:3]
	;;#ASMEND
	;; [unrolled: 3-line block ×3, first 2 shown]
	v_and_b32_e32 v14, 0x7fffffff, v9
	;;#ASMSTART
	v_max3_f32 v11, v13, v11, v14

	;;#ASMEND
	v_and_b32_e32 v15, 0x7fffffff, v6
	v_and_b32_e32 v16, 0x7fffffff, v7
	;;#ASMSTART
	v_max3_f32 v11, v11, v15, v16

	;;#ASMEND
	v_and_b32_e32 v17, 0x7fffffff, v4
	v_and_b32_e32 v18, 0x7fffffff, v5
	;; [unrolled: 1-line block ×4, first 2 shown]
	;;#ASMSTART
	v_max3_f32 v11, v11, v17, v18

	;;#ASMEND
	;;#ASMSTART
	v_max3_f32 v13, v11, v19, v20

	;;#ASMEND
	s_cbranch_scc0 .LBB66_8
; %bb.2:
	s_ashr_i32 s3, s11, 31
	s_lshr_b32 s0, s3, 29
	s_add_i32 s0, s11, s0
	s_ashr_i32 s2, s0, 3
	s_cmp_lt_i32 s2, 16
	s_cbranch_scc1 .LBB66_9
; %bb.3:
	s_cmp_lt_i32 s2, 32
	s_cbranch_scc1 .LBB66_10
; %bb.4:
	;; [unrolled: 3-line block ×3, first 2 shown]
	s_cmp_eq_u32 s2, 64
	v_mov_b32_e32 v11, v13
	s_cbranch_scc0 .LBB66_7
; %bb.6:
	s_nop 0
	v_mov_b32_dpp v11, v13 quad_perm:[1,0,3,2] row_mask:0xf bank_mask:0xf
	v_cmp_gt_f32_e32 vcc, v13, v11
	v_cndmask_b32_e32 v11, v11, v13, vcc
	s_nop 1
	v_mov_b32_dpp v14, v11 quad_perm:[2,3,0,1] row_mask:0xf bank_mask:0xf
	v_cmp_gt_f32_e32 vcc, v11, v14
	v_cndmask_b32_e32 v11, v14, v11, vcc
	s_nop 1
	v_mov_b32_dpp v14, v11 row_ror:4 row_mask:0xf bank_mask:0xf
	v_cmp_gt_f32_e32 vcc, v11, v14
	v_cndmask_b32_e32 v11, v14, v11, vcc
	s_nop 1
	v_mov_b32_dpp v14, v11 row_ror:8 row_mask:0xf bank_mask:0xf
	v_cmp_gt_f32_e32 vcc, v11, v14
	v_cndmask_b32_e32 v11, v14, v11, vcc
	s_nop 1
	v_mov_b32_dpp v14, v11 row_bcast:15 row_mask:0xf bank_mask:0xf
	v_cmp_gt_f32_e32 vcc, v11, v14
	v_cndmask_b32_e32 v11, v14, v11, vcc
	s_nop 1
	v_mov_b32_dpp v14, v11 row_bcast:31 row_mask:0xf bank_mask:0xf
	v_cmp_gt_f32_e32 vcc, v11, v14
	v_cndmask_b32_e32 v11, v14, v11, vcc
	ds_bpermute_b32 v11, v12, v11
.LBB66_7:
	s_mov_b64 s[0:1], 0
	s_branch .LBB66_12
.LBB66_8:
	s_mov_b64 s[0:1], 0
                                        ; implicit-def: $vgpr14
                                        ; implicit-def: $vgpr10_vgpr11
	s_cbranch_execnz .LBB66_41
	s_branch .LBB66_42
.LBB66_9:
                                        ; implicit-def: $vgpr11
	s_branch .LBB66_19
.LBB66_10:
                                        ; implicit-def: $vgpr11
	s_branch .LBB66_16
.LBB66_11:
	s_mov_b64 s[0:1], -1
                                        ; implicit-def: $vgpr11
.LBB66_12:
	s_andn2_b64 vcc, exec, s[0:1]
	s_cbranch_vccnz .LBB66_15
; %bb.13:
	s_cmp_eq_u32 s2, 32
	s_waitcnt lgkmcnt(0)
	v_mov_b32_e32 v11, v13
	s_cbranch_scc0 .LBB66_15
; %bb.14:
	s_nop 0
	v_mov_b32_dpp v11, v13 quad_perm:[1,0,3,2] row_mask:0xf bank_mask:0xf
	v_cmp_gt_f32_e32 vcc, v13, v11
	v_cndmask_b32_e32 v11, v11, v13, vcc
	v_or_b32_e32 v10, 0x7c, v10
	s_nop 0
	v_mov_b32_dpp v14, v11 quad_perm:[2,3,0,1] row_mask:0xf bank_mask:0xf
	v_cmp_gt_f32_e32 vcc, v11, v14
	v_cndmask_b32_e32 v11, v14, v11, vcc
	s_nop 1
	v_mov_b32_dpp v14, v11 row_half_mirror row_mask:0xf bank_mask:0xf
	v_cmp_gt_f32_e32 vcc, v11, v14
	v_cndmask_b32_e32 v11, v14, v11, vcc
	s_nop 1
	v_mov_b32_dpp v14, v11 row_mirror row_mask:0xf bank_mask:0xf
	v_cmp_gt_f32_e32 vcc, v11, v14
	v_cndmask_b32_e32 v11, v14, v11, vcc
	s_nop 1
	v_mov_b32_dpp v14, v11 row_bcast:15 row_mask:0xa bank_mask:0xf
	v_cmp_gt_f32_e32 vcc, v11, v14
	v_cndmask_b32_e32 v11, v14, v11, vcc
	ds_bpermute_b32 v11, v10, v11
.LBB66_15:
	s_cbranch_execnz .LBB66_18
.LBB66_16:
	s_cmp_eq_u32 s2, 16
	s_waitcnt lgkmcnt(0)
	v_mov_b32_e32 v11, v13
	s_cbranch_scc0 .LBB66_18
; %bb.17:
	v_mov_b32_dpp v10, v13 quad_perm:[1,0,3,2] row_mask:0xf bank_mask:0xf
	v_cmp_gt_f32_e32 vcc, v13, v10
	v_cndmask_b32_e32 v10, v10, v13, vcc
	s_nop 1
	v_mov_b32_dpp v11, v10 quad_perm:[2,3,0,1] row_mask:0xf bank_mask:0xf
	v_cmp_gt_f32_e32 vcc, v10, v11
	v_cndmask_b32_e32 v10, v11, v10, vcc
	s_nop 1
	v_mov_b32_dpp v11, v10 row_half_mirror row_mask:0xf bank_mask:0xf
	v_cmp_gt_f32_e32 vcc, v10, v11
	v_cndmask_b32_e32 v10, v11, v10, vcc
	s_nop 1
	v_mov_b32_dpp v11, v10 row_mirror row_mask:0xf bank_mask:0xf
	v_cmp_gt_f32_e32 vcc, v10, v11
	v_cndmask_b32_e32 v11, v11, v10, vcc
.LBB66_18:
	s_cbranch_execnz .LBB66_31
.LBB66_19:
	s_cmp_lt_i32 s2, 4
	s_cbranch_scc1 .LBB66_23
; %bb.20:
	s_cmp_lt_i32 s2, 8
	s_cbranch_scc1 .LBB66_24
; %bb.21:
	s_cmp_eq_u32 s2, 8
	s_waitcnt lgkmcnt(0)
	v_mov_b32_e32 v11, v13
	s_cbranch_scc0 .LBB66_25
; %bb.22:
	v_mov_b32_dpp v10, v13 quad_perm:[1,0,3,2] row_mask:0xf bank_mask:0xf
	v_cmp_gt_f32_e32 vcc, v13, v10
	v_cndmask_b32_e32 v10, v10, v13, vcc
	s_nop 1
	v_mov_b32_dpp v11, v10 quad_perm:[2,3,0,1] row_mask:0xf bank_mask:0xf
	v_cmp_gt_f32_e32 vcc, v10, v11
	v_cndmask_b32_e32 v10, v11, v10, vcc
	s_nop 1
	v_mov_b32_dpp v11, v10 row_half_mirror row_mask:0xf bank_mask:0xf
	v_cmp_gt_f32_e32 vcc, v10, v11
	v_cndmask_b32_e32 v11, v11, v10, vcc
	s_cbranch_execz .LBB66_26
	s_branch .LBB66_28
.LBB66_23:
                                        ; implicit-def: $vgpr11
	s_branch .LBB66_29
.LBB66_24:
                                        ; implicit-def: $vgpr11
	s_branch .LBB66_26
.LBB66_25:
	s_cbranch_execnz .LBB66_28
.LBB66_26:
	s_cmp_eq_u32 s2, 4
	s_waitcnt lgkmcnt(0)
	v_mov_b32_e32 v11, v13
	s_cbranch_scc0 .LBB66_28
; %bb.27:
	v_mov_b32_dpp v10, v13 quad_perm:[1,0,3,2] row_mask:0xf bank_mask:0xf
	v_cmp_gt_f32_e32 vcc, v13, v10
	v_cndmask_b32_e32 v10, v10, v13, vcc
	s_nop 1
	v_mov_b32_dpp v11, v10 quad_perm:[2,3,0,1] row_mask:0xf bank_mask:0xf
	v_cmp_gt_f32_e32 vcc, v10, v11
	v_cndmask_b32_e32 v11, v11, v10, vcc
.LBB66_28:
	s_cbranch_execnz .LBB66_31
.LBB66_29:
	s_cmp_lg_u32 s2, 2
	s_waitcnt lgkmcnt(0)
	v_mov_b32_e32 v11, v13
	s_cbranch_scc1 .LBB66_31
; %bb.30:
	v_mov_b32_dpp v10, v13 quad_perm:[1,0,3,2] row_mask:0xf bank_mask:0xf
	v_cmp_gt_f32_e32 vcc, v13, v10
	v_cndmask_b32_e32 v11, v10, v13, vcc
.LBB66_31:
	v_cvt_f32_u32_e32 v10, s2
	s_sub_i32 s0, 0, s2
	s_waitcnt lgkmcnt(0)
	v_mul_f32_e32 v14, 0x3b124925, v11
	v_cmp_gt_u32_e32 vcc, s9, v1
	v_rcp_iflag_f32_e32 v10, v10
	s_mov_b64 s[14:15], 0
	v_mul_f32_e32 v10, 0x4f7ffffe, v10
	v_cvt_u32_f32_e32 v10, v10
	v_mul_lo_u32 v11, s0, v10
	v_mul_hi_u32 v11, v10, v11
	v_add_u32_e32 v10, v10, v11
	v_mul_hi_u32 v10, v0, v10
	v_mul_lo_u32 v11, v10, s2
	v_sub_u32_e32 v11, v0, v11
	v_add_u32_e32 v15, 1, v10
	v_cmp_le_u32_e64 s[0:1], s2, v11
	v_cndmask_b32_e64 v10, v10, v15, s[0:1]
	v_subrev_u32_e32 v15, s2, v11
	v_cndmask_b32_e64 v11, v11, v15, s[0:1]
	v_add_u32_e32 v15, 1, v10
	v_cmp_le_u32_e64 s[0:1], s2, v11
	v_cndmask_b32_e64 v15, v10, v15, s[0:1]
	v_mul_lo_u32 v10, v15, s2
	v_sub_u32_e32 v10, v0, v10
	v_cmp_eq_u32_e64 s[0:1], 0, v10
	s_and_b64 s[16:17], s[0:1], vcc
	s_mov_b64 s[0:1], 0
                                        ; implicit-def: $vgpr10_vgpr11
	s_and_saveexec_b64 s[20:21], s[16:17]
	s_xor_b64 s[16:17], exec, s[20:21]
	s_cbranch_execz .LBB66_40
; %bb.32:
	s_bitcmp0_b32 s18, 0
	s_cbranch_scc0 .LBB66_37
; %bb.33:
	s_ashr_i32 s0, s9, 31
	s_mul_hi_u32 s1, s9, s6
	s_mul_i32 s0, s0, s6
	s_add_i32 s19, s1, s0
	s_mul_i32 s18, s9, s6
	s_mov_b32 s2, s11
	s_or_b64 s[0:1], s[18:19], s[2:3]
	s_mov_b32 s0, 0
	s_cmp_lg_u64 s[0:1], 0
	s_cbranch_scc0 .LBB66_46
; %bb.34:
	s_add_u32 s0, s2, s3
	s_mov_b32 s22, s3
	s_mov_b32 s23, s3
	s_addc_u32 s1, s3, s3
	s_xor_b64 s[24:25], s[0:1], s[22:23]
	v_cvt_f32_u32_e32 v10, s24
	v_cvt_f32_u32_e32 v11, s25
	s_sub_u32 s0, 0, s24
	s_subb_u32 s1, 0, s25
	v_madmk_f32 v10, v11, 0x4f800000, v10
	v_rcp_f32_e32 v10, v10
	v_mul_f32_e32 v10, 0x5f7ffffc, v10
	v_mul_f32_e32 v11, 0x2f800000, v10
	v_trunc_f32_e32 v11, v11
	v_madmk_f32 v10, v11, 0xcf800000, v10
	v_cvt_u32_f32_e32 v11, v11
	v_cvt_u32_f32_e32 v10, v10
	v_readfirstlane_b32 s3, v11
	v_readfirstlane_b32 s11, v10
	s_mul_i32 s26, s0, s3
	s_mul_hi_u32 s28, s0, s11
	s_mul_i32 s27, s1, s11
	s_add_i32 s26, s28, s26
	s_add_i32 s26, s26, s27
	s_mul_i32 s29, s0, s11
	s_mul_hi_u32 s27, s11, s26
	s_mul_i32 s28, s11, s26
	s_mul_hi_u32 s11, s11, s29
	s_add_u32 s11, s11, s28
	s_addc_u32 s27, 0, s27
	s_mul_hi_u32 s30, s3, s29
	s_mul_i32 s29, s3, s29
	s_add_u32 s11, s11, s29
	s_mul_hi_u32 s28, s3, s26
	s_addc_u32 s11, s27, s30
	s_addc_u32 s27, s28, 0
	s_mul_i32 s26, s3, s26
	s_add_u32 s11, s11, s26
	s_addc_u32 s26, 0, s27
	v_add_co_u32_e32 v10, vcc, s11, v10
	s_cmp_lg_u64 vcc, 0
	s_addc_u32 s3, s3, s26
	v_readfirstlane_b32 s26, v10
	s_mul_i32 s11, s0, s3
	s_mul_hi_u32 s27, s0, s26
	s_add_i32 s11, s27, s11
	s_mul_i32 s1, s1, s26
	s_add_i32 s11, s11, s1
	s_mul_i32 s0, s0, s26
	s_mul_hi_u32 s27, s3, s0
	s_mul_i32 s28, s3, s0
	s_mul_i32 s30, s26, s11
	s_mul_hi_u32 s0, s26, s0
	s_mul_hi_u32 s29, s26, s11
	s_add_u32 s0, s0, s30
	s_addc_u32 s26, 0, s29
	s_add_u32 s0, s0, s28
	s_mul_hi_u32 s1, s3, s11
	s_addc_u32 s0, s26, s27
	s_addc_u32 s1, s1, 0
	s_mul_i32 s11, s3, s11
	s_add_u32 s0, s0, s11
	s_addc_u32 s1, 0, s1
	v_add_co_u32_e32 v10, vcc, s0, v10
	s_cmp_lg_u64 vcc, 0
	s_addc_u32 s3, s3, s1
	s_ashr_i32 s26, s19, 31
	s_add_u32 s0, s18, s26
	s_mov_b32 s27, s26
	s_addc_u32 s1, s19, s26
	s_xor_b64 s[28:29], s[0:1], s[26:27]
	v_readfirstlane_b32 s11, v10
	s_mul_i32 s1, s28, s3
	s_mul_hi_u32 s19, s28, s11
	s_mul_hi_u32 s0, s28, s3
	s_add_u32 s1, s19, s1
	s_addc_u32 s0, 0, s0
	s_mul_hi_u32 s30, s29, s11
	s_mul_i32 s11, s29, s11
	s_add_u32 s1, s1, s11
	s_mul_hi_u32 s19, s29, s3
	s_addc_u32 s0, s0, s30
	s_addc_u32 s1, s19, 0
	s_mul_i32 s3, s29, s3
	s_add_u32 s3, s0, s3
	s_addc_u32 s11, 0, s1
	s_mul_i32 s0, s24, s11
	s_mul_hi_u32 s1, s24, s3
	s_add_i32 s0, s1, s0
	s_mul_i32 s1, s25, s3
	s_add_i32 s19, s0, s1
	s_mul_i32 s1, s24, s3
	v_mov_b32_e32 v10, s1
	s_sub_i32 s0, s29, s19
	v_sub_co_u32_e32 v10, vcc, s28, v10
	s_cmp_lg_u64 vcc, 0
	s_subb_u32 s28, s0, s25
	v_subrev_co_u32_e64 v11, s[0:1], s24, v10
	s_cmp_lg_u64 s[0:1], 0
	s_subb_u32 s28, s28, 0
	s_cmp_ge_u32 s28, s25
	s_cselect_b32 s30, -1, 0
	v_cmp_le_u32_e64 s[0:1], s24, v11
	s_cmp_eq_u32 s28, s25
	v_cndmask_b32_e64 v11, 0, -1, s[0:1]
	v_mov_b32_e32 v16, s30
	s_cselect_b64 s[0:1], -1, 0
	v_cndmask_b32_e64 v11, v16, v11, s[0:1]
	s_add_u32 s0, s3, 1
	s_addc_u32 s28, s11, 0
	s_add_u32 s1, s3, 2
	s_addc_u32 s30, s11, 0
	v_mov_b32_e32 v16, s0
	v_mov_b32_e32 v17, s1
	v_cmp_ne_u32_e64 s[0:1], 0, v11
	v_cndmask_b32_e64 v11, v16, v17, s[0:1]
	v_mov_b32_e32 v16, s28
	v_mov_b32_e32 v17, s30
	s_cmp_lg_u64 vcc, 0
	v_cndmask_b32_e64 v16, v16, v17, s[0:1]
	s_subb_u32 s0, s29, s19
	s_cmp_ge_u32 s0, s25
	s_cselect_b32 s1, -1, 0
	v_cmp_le_u32_e32 vcc, s24, v10
	s_cmp_eq_u32 s0, s25
	v_cndmask_b32_e64 v10, 0, -1, vcc
	v_mov_b32_e32 v17, s1
	s_cselect_b64 vcc, -1, 0
	v_cndmask_b32_e32 v10, v17, v10, vcc
	v_mov_b32_e32 v17, s11
	v_cmp_ne_u32_e32 vcc, 0, v10
	v_cndmask_b32_e32 v10, v17, v16, vcc
	v_mov_b32_e32 v16, s3
	v_cndmask_b32_e32 v11, v16, v11, vcc
	s_xor_b64 s[0:1], s[26:27], s[22:23]
	v_xor_b32_e32 v11, s0, v11
	v_xor_b32_e32 v16, s1, v10
	v_mov_b32_e32 v17, s1
	v_subrev_co_u32_e32 v10, vcc, s0, v11
	v_subb_co_u32_e32 v11, vcc, v16, v17, vcc
	s_cbranch_execnz .LBB66_36
.LBB66_35:
	v_cvt_f32_u32_e32 v10, s2
	s_sub_i32 s0, 0, s2
	s_mov_b32 s1, 0
	v_rcp_iflag_f32_e32 v10, v10
	v_mul_f32_e32 v10, 0x4f7ffffe, v10
	v_cvt_u32_f32_e32 v10, v10
	v_readfirstlane_b32 s3, v10
	s_mul_i32 s0, s0, s3
	s_mul_hi_u32 s0, s3, s0
	s_add_i32 s3, s3, s0
	s_mul_hi_u32 s0, s18, s3
	s_mul_i32 s11, s0, s2
	s_sub_i32 s11, s18, s11
	s_add_i32 s3, s0, 1
	s_sub_i32 s18, s11, s2
	s_cmp_ge_u32 s11, s2
	s_cselect_b32 s0, s3, s0
	s_cselect_b32 s11, s18, s11
	s_add_i32 s3, s0, 1
	s_cmp_ge_u32 s11, s2
	s_cselect_b32 s0, s3, s0
	v_pk_mov_b32 v[10:11], s[0:1], s[0:1] op_sel:[0,1]
.LBB66_36:
	v_add_co_u32_e32 v10, vcc, v10, v15
	v_addc_co_u32_e32 v11, vcc, 0, v11, vcc
	s_branch .LBB66_39
.LBB66_37:
                                        ; implicit-def: $vgpr10_vgpr11
	s_cbranch_execz .LBB66_39
; %bb.38:
	v_mul_lo_u32 v10, v15, s8
	v_ashrrev_i32_e32 v11, 31, v10
	v_mov_b32_e32 v15, s7
	v_add_co_u32_e32 v10, vcc, s6, v10
	v_addc_co_u32_e32 v11, vcc, v11, v15, vcc
.LBB66_39:
	s_mov_b64 s[0:1], exec
.LBB66_40:
	s_or_b64 exec, exec, s[16:17]
	s_and_b64 vcc, exec, s[14:15]
	s_cbranch_vccz .LBB66_42
.LBB66_41:
	v_mov_b32_dpp v10, v13 quad_perm:[1,0,3,2] row_mask:0xf bank_mask:0xf
	v_cmp_gt_f32_e32 vcc, v13, v10
	v_cndmask_b32_e32 v10, v10, v13, vcc
	s_andn2_b64 s[0:1], s[0:1], exec
	s_nop 0
	v_mov_b32_dpp v11, v10 quad_perm:[2,3,0,1] row_mask:0xf bank_mask:0xf
	v_cmp_gt_f32_e32 vcc, v10, v11
	v_cndmask_b32_e32 v10, v11, v10, vcc
	s_nop 1
	v_mov_b32_dpp v11, v10 row_half_mirror row_mask:0xf bank_mask:0xf
	v_cmp_gt_f32_e32 vcc, v10, v11
	v_cndmask_b32_e32 v10, v11, v10, vcc
	s_nop 1
	v_mov_b32_dpp v11, v10 row_mirror row_mask:0xf bank_mask:0xf
	v_cmp_gt_f32_e32 vcc, v10, v11
	v_cndmask_b32_e32 v10, v11, v10, vcc
	s_nop 1
	v_mov_b32_dpp v11, v10 row_bcast:15 row_mask:0xf bank_mask:0xf
	v_cmp_gt_f32_e32 vcc, v10, v11
	v_cndmask_b32_e32 v10, v11, v10, vcc
	s_nop 1
	v_mov_b32_dpp v11, v10 row_bcast:31 row_mask:0xf bank_mask:0xf
	v_cmp_gt_f32_e32 vcc, v10, v11
	v_cndmask_b32_e32 v10, v11, v10, vcc
	ds_bpermute_b32 v10, v12, v10
	v_cmp_eq_u32_e32 vcc, 0, v0
	s_and_b64 s[2:3], vcc, exec
	s_or_b64 s[0:1], s[0:1], s[2:3]
	s_waitcnt lgkmcnt(0)
	v_mul_f32_e32 v14, 0x3b124925, v10
	v_pk_mov_b32 v[10:11], s[6:7], s[6:7] op_sel:[0,1]
.LBB66_42:
	s_and_saveexec_b64 s[2:3], s[0:1]
	s_cbranch_execz .LBB66_44
; %bb.43:
	v_lshlrev_b64 v[10:11], 2, v[10:11]
	v_mov_b32_e32 v0, s13
	v_add_co_u32_e32 v10, vcc, s12, v10
	v_addc_co_u32_e32 v11, vcc, v0, v11, vcc
	global_store_dword v[10:11], v14, off
.LBB66_44:
	s_or_b64 exec, exec, s[2:3]
	s_add_i32 s2, s9, 3
	s_load_dwordx2 s[0:1], s[4:5], 0x0
	s_ashr_i32 s3, s2, 31
	s_lshr_b32 s3, s3, 30
	;;#ASMSTART
	v_rcp_f32 v10, v14
	;;#ASMEND
	v_mov_b32_e32 v11, v10
	;;#ASMSTART
	v_pk_mul_f32 v[8:9], v[8:9], v[10:11]
	;;#ASMEND
	s_add_i32 s2, s2, s3
	s_ashr_i32 s3, s10, 31
	v_mov_b32_e32 v0, 0xc3e00000
	v_mov_b32_e32 v12, 0x43e00000
	;;#ASMSTART
	v_med3_f32 v8, v8, v0, v12
v_med3_f32 v9, v9, v0, v12
v_cvt_pk_fp8_f32 v13, v8, v9
	;;#ASMEND
	;;#ASMSTART
	v_pk_mul_f32 v[6:7], v[6:7], v[10:11]
	;;#ASMEND
	s_mul_hi_u32 s4, s10, s6
	s_mul_i32 s3, s3, s6
	;;#ASMSTART
	v_med3_f32 v6, v6, v0, v12
v_med3_f32 v7, v7, v0, v12
v_cvt_pk_fp8_f32 v8, v6, v7
	;;#ASMEND
	s_mov_b32 s5, 0x5040100
	s_and_b32 s2, s2, -4
	s_add_i32 s4, s4, s3
	s_mul_i32 s3, s10, s6
	v_perm_b32 v7, v8, v13, s5
	s_movk_i32 s5, 0xff
	s_waitcnt lgkmcnt(0)
	s_add_u32 s0, s0, s3
	v_and_b32_e32 v6, 0xffffff00, v8
	v_and_b32_sdwa v8, v7, s5 dst_sel:DWORD dst_unused:UNUSED_PAD src0_sel:WORD_1 src1_sel:DWORD
	s_addc_u32 s1, s1, s4
	s_mov_b32 s4, 0xffff
	v_or_b32_sdwa v6, v8, v6 dst_sel:WORD_1 dst_unused:UNUSED_PAD src0_sel:DWORD src1_sel:DWORD
	;;#ASMSTART
	v_pk_mul_f32 v[4:5], v[4:5], v[10:11]
	;;#ASMEND
	v_and_or_b32 v6, v7, s4, v6
	;;#ASMSTART
	v_med3_f32 v4, v4, v0, v12
v_med3_f32 v5, v5, v0, v12
v_cvt_pk_fp8_f32 v7, v4, v5
	;;#ASMEND
	;;#ASMSTART
	v_pk_mul_f32 v[2:3], v[2:3], v[10:11]
	;;#ASMEND
	;;#ASMSTART
	v_med3_f32 v2, v2, v0, v12
v_med3_f32 v3, v3, v0, v12
v_cvt_pk_fp8_f32 v0, v2, v3
	;;#ASMEND
	v_lshlrev_b32_e32 v0, 16, v0
	s_and_b32 s1, s1, 0xffff
	s_mov_b32 s3, 0x20000
	v_and_or_b32 v7, v7, s4, v0
	buffer_store_dwordx2 v[6:7], v1, s[0:3], 0 offen
	;;#ASMSTART
	s_nop 0
	;;#ASMEND
.LBB66_45:
	s_endpgm
.LBB66_46:
                                        ; implicit-def: $vgpr10_vgpr11
	s_branch .LBB66_35
	.section	.rodata,"a",@progbits
	.p2align	6, 0x0
	.amdhsa_kernel _ZN5aiter24add_rmsnorm_quant_kernelItDB8_Li64ELi8ELb0ELb1ELb1ELi1EEEvPT0_PT_PfS5_S5_S5_diiiiiiib
		.amdhsa_group_segment_fixed_size 0
		.amdhsa_private_segment_fixed_size 0
		.amdhsa_kernarg_size 88
		.amdhsa_user_sgpr_count 6
		.amdhsa_user_sgpr_private_segment_buffer 1
		.amdhsa_user_sgpr_dispatch_ptr 0
		.amdhsa_user_sgpr_queue_ptr 0
		.amdhsa_user_sgpr_kernarg_segment_ptr 1
		.amdhsa_user_sgpr_dispatch_id 0
		.amdhsa_user_sgpr_flat_scratch_init 0
		.amdhsa_user_sgpr_kernarg_preload_length 0
		.amdhsa_user_sgpr_kernarg_preload_offset 0
		.amdhsa_user_sgpr_private_segment_size 0
		.amdhsa_uses_dynamic_stack 0
		.amdhsa_system_sgpr_private_segment_wavefront_offset 0
		.amdhsa_system_sgpr_workgroup_id_x 1
		.amdhsa_system_sgpr_workgroup_id_y 0
		.amdhsa_system_sgpr_workgroup_id_z 0
		.amdhsa_system_sgpr_workgroup_info 0
		.amdhsa_system_vgpr_workitem_id 0
		.amdhsa_next_free_vgpr 28
		.amdhsa_next_free_sgpr 31
		.amdhsa_accum_offset 28
		.amdhsa_reserve_vcc 1
		.amdhsa_reserve_flat_scratch 0
		.amdhsa_float_round_mode_32 0
		.amdhsa_float_round_mode_16_64 0
		.amdhsa_float_denorm_mode_32 3
		.amdhsa_float_denorm_mode_16_64 3
		.amdhsa_dx10_clamp 1
		.amdhsa_ieee_mode 1
		.amdhsa_fp16_overflow 0
		.amdhsa_tg_split 0
		.amdhsa_exception_fp_ieee_invalid_op 0
		.amdhsa_exception_fp_denorm_src 0
		.amdhsa_exception_fp_ieee_div_zero 0
		.amdhsa_exception_fp_ieee_overflow 0
		.amdhsa_exception_fp_ieee_underflow 0
		.amdhsa_exception_fp_ieee_inexact 0
		.amdhsa_exception_int_div_zero 0
	.end_amdhsa_kernel
	.section	.text._ZN5aiter24add_rmsnorm_quant_kernelItDB8_Li64ELi8ELb0ELb1ELb1ELi1EEEvPT0_PT_PfS5_S5_S5_diiiiiiib,"axG",@progbits,_ZN5aiter24add_rmsnorm_quant_kernelItDB8_Li64ELi8ELb0ELb1ELb1ELi1EEEvPT0_PT_PfS5_S5_S5_diiiiiiib,comdat
.Lfunc_end66:
	.size	_ZN5aiter24add_rmsnorm_quant_kernelItDB8_Li64ELi8ELb0ELb1ELb1ELi1EEEvPT0_PT_PfS5_S5_S5_diiiiiiib, .Lfunc_end66-_ZN5aiter24add_rmsnorm_quant_kernelItDB8_Li64ELi8ELb0ELb1ELb1ELi1EEEvPT0_PT_PfS5_S5_S5_diiiiiiib
                                        ; -- End function
	.section	.AMDGPU.csdata,"",@progbits
; Kernel info:
; codeLenInByte = 2992
; NumSgprs: 35
; NumVgprs: 28
; NumAgprs: 0
; TotalNumVgprs: 28
; ScratchSize: 0
; MemoryBound: 0
; FloatMode: 240
; IeeeMode: 1
; LDSByteSize: 0 bytes/workgroup (compile time only)
; SGPRBlocks: 4
; VGPRBlocks: 3
; NumSGPRsForWavesPerEU: 35
; NumVGPRsForWavesPerEU: 28
; AccumOffset: 28
; Occupancy: 8
; WaveLimiterHint : 0
; COMPUTE_PGM_RSRC2:SCRATCH_EN: 0
; COMPUTE_PGM_RSRC2:USER_SGPR: 6
; COMPUTE_PGM_RSRC2:TRAP_HANDLER: 0
; COMPUTE_PGM_RSRC2:TGID_X_EN: 1
; COMPUTE_PGM_RSRC2:TGID_Y_EN: 0
; COMPUTE_PGM_RSRC2:TGID_Z_EN: 0
; COMPUTE_PGM_RSRC2:TIDIG_COMP_CNT: 0
; COMPUTE_PGM_RSRC3_GFX90A:ACCUM_OFFSET: 6
; COMPUTE_PGM_RSRC3_GFX90A:TG_SPLIT: 0
	.section	.text._ZN5aiter24add_rmsnorm_quant_kernelIDF16_DB8_Li64ELi8ELb0ELb1ELb0ELi1EEEvPT0_PT_PfS5_S5_S5_diiiiiiib,"axG",@progbits,_ZN5aiter24add_rmsnorm_quant_kernelIDF16_DB8_Li64ELi8ELb0ELb1ELb0ELi1EEEvPT0_PT_PfS5_S5_S5_diiiiiiib,comdat
	.protected	_ZN5aiter24add_rmsnorm_quant_kernelIDF16_DB8_Li64ELi8ELb0ELb1ELb0ELi1EEEvPT0_PT_PfS5_S5_S5_diiiiiiib ; -- Begin function _ZN5aiter24add_rmsnorm_quant_kernelIDF16_DB8_Li64ELi8ELb0ELb1ELb0ELi1EEEvPT0_PT_PfS5_S5_S5_diiiiiiib
	.globl	_ZN5aiter24add_rmsnorm_quant_kernelIDF16_DB8_Li64ELi8ELb0ELb1ELb0ELi1EEEvPT0_PT_PfS5_S5_S5_diiiiiiib
	.p2align	8
	.type	_ZN5aiter24add_rmsnorm_quant_kernelIDF16_DB8_Li64ELi8ELb0ELb1ELb0ELi1EEEvPT0_PT_PfS5_S5_S5_diiiiiiib,@function
_ZN5aiter24add_rmsnorm_quant_kernelIDF16_DB8_Li64ELi8ELb0ELb1ELb0ELi1EEEvPT0_PT_PfS5_S5_S5_diiiiiiib: ; @_ZN5aiter24add_rmsnorm_quant_kernelIDF16_DB8_Li64ELi8ELb0ELb1ELb0ELi1EEEvPT0_PT_PfS5_S5_S5_diiiiiiib
; %bb.0:
	s_load_dwordx4 s[8:11], s[4:5], 0x38
	s_mov_b32 s7, 0
	s_waitcnt lgkmcnt(0)
	s_ashr_i32 s0, s8, 31
	v_mov_b32_e32 v2, s8
	v_mov_b32_e32 v3, s0
	v_cmp_ge_i64_e32 vcc, s[6:7], v[2:3]
	s_cbranch_vccnz .LBB67_45
; %bb.1:
	s_load_dwordx4 s[12:15], s[4:5], 0x10
	s_load_dwordx4 s[0:3], s[4:5], 0x28
	s_ashr_i32 s11, s10, 31
	s_mul_hi_u32 s16, s10, s6
	s_mul_i32 s11, s11, s6
	s_add_i32 s11, s16, s11
	s_mul_i32 s10, s10, s6
	s_lshl_b64 s[10:11], s[10:11], 1
	s_waitcnt lgkmcnt(0)
	s_add_u32 s16, s14, s10
	s_addc_u32 s10, s15, s11
	s_add_i32 s11, s9, 1
	s_lshr_b32 s14, s11, 31
	s_add_i32 s11, s11, s14
	s_lshl_b32 s11, s11, 1
	s_and_b32 s18, s11, -4
	s_and_b32 s17, s10, 0xffff
	s_mov_b32 s19, 0x20000
	v_lshlrev_b32_e32 v1, 4, v0
	buffer_load_dwordx4 v[6:9], v1, s[16:19], 0 offen glc slc
	s_and_b32 s17, s1, 0xffff
	s_mov_b32 s16, s0
	buffer_load_dwordx4 v[2:5], v1, s[16:19], 0 offen
	v_mbcnt_lo_u32_b32 v10, -1, 0
	v_mbcnt_hi_u32_b32 v10, -1, v10
	v_lshlrev_b32_e32 v10, 2, v10
	v_or_b32_e32 v12, 0xfc, v10
	v_cvt_f32_i32_e32 v11, s9
	s_mov_b32 s14, 0x800000
	s_load_dwordx2 s[10:11], s[4:5], 0x4c
	s_load_dword s18, s[4:5], 0x54
	v_mov_b32_e32 v13, 0x2edbe6ff
	v_lshlrev_b32_e32 v1, 3, v0
	s_waitcnt lgkmcnt(0)
	s_cmp_lg_u32 s11, 0
	s_waitcnt vmcnt(1)
	v_cvt_f32_f16_e32 v14, v6
	v_cvt_f32_f16_sdwa v15, v6 dst_sel:DWORD dst_unused:UNUSED_PAD src0_sel:WORD_1
	v_cvt_f32_f16_e32 v6, v7
	v_cvt_f32_f16_sdwa v7, v7 dst_sel:DWORD dst_unused:UNUSED_PAD src0_sel:WORD_1
	;; [unrolled: 2-line block ×3, first 2 shown]
	v_pk_mul_f32 v[20:21], v[14:15], v[14:15]
	v_cvt_f32_f16_e32 v8, v9
	v_cvt_f32_f16_sdwa v9, v9 dst_sel:DWORD dst_unused:UNUSED_PAD src0_sel:WORD_1
	v_pk_mul_f32 v[22:23], v[6:7], v[6:7]
	v_add_f32_e32 v19, v20, v21
	v_add_f32_e32 v19, v22, v19
	v_pk_mul_f32 v[24:25], v[16:17], v[16:17]
	v_add_f32_e32 v19, v23, v19
	v_add_f32_e32 v19, v24, v19
	;; [unrolled: 3-line block ×3, first 2 shown]
	v_add_f32_e32 v19, v27, v19
	s_waitcnt vmcnt(0)
	v_cvt_f32_f16_e32 v18, v2
	v_mov_b32_dpp v20, v19 quad_perm:[1,0,3,2] row_mask:0xf bank_mask:0xf
	v_add_f32_e32 v19, v19, v20
	s_nop 1
	v_mov_b32_dpp v20, v19 quad_perm:[2,3,0,1] row_mask:0xf bank_mask:0xf
	v_add_f32_e32 v19, v19, v20
	s_nop 1
	v_mov_b32_dpp v20, v19 row_half_mirror row_mask:0xf bank_mask:0xf
	v_add_f32_e32 v19, v19, v20
	s_nop 1
	v_mov_b32_dpp v20, v19 row_mirror row_mask:0xf bank_mask:0xf
	v_add_f32_e32 v19, v19, v20
	s_nop 1
	v_mov_b32_dpp v20, v19 row_bcast:15 row_mask:0xf bank_mask:0xf
	v_add_f32_e32 v19, v19, v20
	s_nop 1
	v_mov_b32_dpp v20, v19 row_bcast:31 row_mask:0xf bank_mask:0xf
	v_add_f32_e32 v19, v19, v20
	ds_bpermute_b32 v21, v12, v19
	v_cvt_f32_f16_e32 v20, v4
	v_cvt_f32_f16_sdwa v19, v2 dst_sel:DWORD dst_unused:UNUSED_PAD src0_sel:WORD_1
	v_cvt_f32_f16_e32 v2, v3
	v_cvt_f32_f16_sdwa v3, v3 dst_sel:DWORD dst_unused:UNUSED_PAD src0_sel:WORD_1
	s_waitcnt lgkmcnt(0)
	v_div_scale_f32 v22, s[0:1], v11, v11, v21
	v_rcp_f32_e32 v23, v22
	v_div_scale_f32 v24, vcc, v21, v11, v21
	v_fma_f32 v25, -v22, v23, 1.0
	v_fmac_f32_e32 v23, v25, v23
	v_mul_f32_e32 v25, v24, v23
	v_fma_f32 v26, -v22, v25, v24
	v_fmac_f32_e32 v25, v26, v23
	v_fma_f32 v22, -v22, v25, v24
	v_div_fmas_f32 v22, v22, v23, v25
	v_div_fixup_f32 v11, v22, v11, v21
	v_cvt_f64_f32_e32 v[22:23], v11
	v_add_f64 v[22:23], v[22:23], s[2:3]
	v_cvt_f32_f64_e32 v11, v[22:23]
	v_mul_f32_e32 v21, 0x4b800000, v11
	v_cmp_gt_f32_e32 vcc, s14, v11
	v_cndmask_b32_e32 v11, v11, v21, vcc
	v_rsq_f32_e32 v11, v11
	v_cvt_f32_f16_sdwa v21, v4 dst_sel:DWORD dst_unused:UNUSED_PAD src0_sel:WORD_1
	v_cvt_f32_f16_e32 v22, v5
	v_cvt_f32_f16_sdwa v23, v5 dst_sel:DWORD dst_unused:UNUSED_PAD src0_sel:WORD_1
	v_mul_f32_e32 v4, 0x45800000, v11
	v_cndmask_b32_e32 v4, v11, v4, vcc
	v_mov_b32_e32 v5, v4
	;;#ASMSTART
	v_pk_mul_f32 v[14:15], v[14:15], v[4:5]
	;;#ASMEND
	;;#ASMSTART
	v_pk_mul_f32 v[6:7], v[6:7], v[4:5]
	;;#ASMEND
	;;#ASMSTART
	v_pk_mul_f32 v[16:17], v[16:17], v[4:5]
	;;#ASMEND
	;;#ASMSTART
	v_pk_mul_f32 v[24:25], v[8:9], v[4:5]
	;;#ASMEND
	;;#ASMSTART
	v_pk_mul_f32 v[8:9], v[14:15], v[18:19]
	;;#ASMEND
	v_and_b32_e32 v11, 0x7fffffff, v8
	;;#ASMSTART
	v_pk_mul_f32 v[6:7], v[6:7], v[2:3]
	;;#ASMEND
	;;#ASMSTART
	v_pk_mul_f32 v[4:5], v[16:17], v[20:21]
	;;#ASMEND
	;; [unrolled: 3-line block ×3, first 2 shown]
	v_and_b32_e32 v14, 0x7fffffff, v9
	;;#ASMSTART
	v_max3_f32 v11, v13, v11, v14

	;;#ASMEND
	v_and_b32_e32 v15, 0x7fffffff, v6
	v_and_b32_e32 v16, 0x7fffffff, v7
	;;#ASMSTART
	v_max3_f32 v11, v11, v15, v16

	;;#ASMEND
	v_and_b32_e32 v17, 0x7fffffff, v4
	v_and_b32_e32 v18, 0x7fffffff, v5
	;; [unrolled: 1-line block ×4, first 2 shown]
	;;#ASMSTART
	v_max3_f32 v11, v11, v17, v18

	;;#ASMEND
	;;#ASMSTART
	v_max3_f32 v13, v11, v19, v20

	;;#ASMEND
	s_cbranch_scc0 .LBB67_8
; %bb.2:
	s_ashr_i32 s3, s11, 31
	s_lshr_b32 s0, s3, 29
	s_add_i32 s0, s11, s0
	s_ashr_i32 s2, s0, 3
	s_cmp_lt_i32 s2, 16
	s_cbranch_scc1 .LBB67_9
; %bb.3:
	s_cmp_lt_i32 s2, 32
	s_cbranch_scc1 .LBB67_10
; %bb.4:
	;; [unrolled: 3-line block ×3, first 2 shown]
	s_cmp_eq_u32 s2, 64
	v_mov_b32_e32 v11, v13
	s_cbranch_scc0 .LBB67_7
; %bb.6:
	s_nop 0
	v_mov_b32_dpp v11, v13 quad_perm:[1,0,3,2] row_mask:0xf bank_mask:0xf
	v_cmp_gt_f32_e32 vcc, v13, v11
	v_cndmask_b32_e32 v11, v11, v13, vcc
	s_nop 1
	v_mov_b32_dpp v14, v11 quad_perm:[2,3,0,1] row_mask:0xf bank_mask:0xf
	v_cmp_gt_f32_e32 vcc, v11, v14
	v_cndmask_b32_e32 v11, v14, v11, vcc
	s_nop 1
	v_mov_b32_dpp v14, v11 row_ror:4 row_mask:0xf bank_mask:0xf
	v_cmp_gt_f32_e32 vcc, v11, v14
	v_cndmask_b32_e32 v11, v14, v11, vcc
	s_nop 1
	v_mov_b32_dpp v14, v11 row_ror:8 row_mask:0xf bank_mask:0xf
	v_cmp_gt_f32_e32 vcc, v11, v14
	v_cndmask_b32_e32 v11, v14, v11, vcc
	s_nop 1
	v_mov_b32_dpp v14, v11 row_bcast:15 row_mask:0xf bank_mask:0xf
	v_cmp_gt_f32_e32 vcc, v11, v14
	v_cndmask_b32_e32 v11, v14, v11, vcc
	s_nop 1
	v_mov_b32_dpp v14, v11 row_bcast:31 row_mask:0xf bank_mask:0xf
	v_cmp_gt_f32_e32 vcc, v11, v14
	v_cndmask_b32_e32 v11, v14, v11, vcc
	ds_bpermute_b32 v11, v12, v11
.LBB67_7:
	s_mov_b64 s[0:1], 0
	s_branch .LBB67_12
.LBB67_8:
	s_mov_b64 s[0:1], 0
                                        ; implicit-def: $vgpr14
                                        ; implicit-def: $vgpr10_vgpr11
	s_cbranch_execnz .LBB67_41
	s_branch .LBB67_42
.LBB67_9:
                                        ; implicit-def: $vgpr11
	s_branch .LBB67_19
.LBB67_10:
                                        ; implicit-def: $vgpr11
	s_branch .LBB67_16
.LBB67_11:
	s_mov_b64 s[0:1], -1
                                        ; implicit-def: $vgpr11
.LBB67_12:
	s_andn2_b64 vcc, exec, s[0:1]
	s_cbranch_vccnz .LBB67_15
; %bb.13:
	s_cmp_eq_u32 s2, 32
	s_waitcnt lgkmcnt(0)
	v_mov_b32_e32 v11, v13
	s_cbranch_scc0 .LBB67_15
; %bb.14:
	s_nop 0
	v_mov_b32_dpp v11, v13 quad_perm:[1,0,3,2] row_mask:0xf bank_mask:0xf
	v_cmp_gt_f32_e32 vcc, v13, v11
	v_cndmask_b32_e32 v11, v11, v13, vcc
	v_or_b32_e32 v10, 0x7c, v10
	s_nop 0
	v_mov_b32_dpp v14, v11 quad_perm:[2,3,0,1] row_mask:0xf bank_mask:0xf
	v_cmp_gt_f32_e32 vcc, v11, v14
	v_cndmask_b32_e32 v11, v14, v11, vcc
	s_nop 1
	v_mov_b32_dpp v14, v11 row_half_mirror row_mask:0xf bank_mask:0xf
	v_cmp_gt_f32_e32 vcc, v11, v14
	v_cndmask_b32_e32 v11, v14, v11, vcc
	s_nop 1
	v_mov_b32_dpp v14, v11 row_mirror row_mask:0xf bank_mask:0xf
	v_cmp_gt_f32_e32 vcc, v11, v14
	v_cndmask_b32_e32 v11, v14, v11, vcc
	s_nop 1
	v_mov_b32_dpp v14, v11 row_bcast:15 row_mask:0xa bank_mask:0xf
	v_cmp_gt_f32_e32 vcc, v11, v14
	v_cndmask_b32_e32 v11, v14, v11, vcc
	ds_bpermute_b32 v11, v10, v11
.LBB67_15:
	s_cbranch_execnz .LBB67_18
.LBB67_16:
	s_cmp_eq_u32 s2, 16
	s_waitcnt lgkmcnt(0)
	v_mov_b32_e32 v11, v13
	s_cbranch_scc0 .LBB67_18
; %bb.17:
	v_mov_b32_dpp v10, v13 quad_perm:[1,0,3,2] row_mask:0xf bank_mask:0xf
	v_cmp_gt_f32_e32 vcc, v13, v10
	v_cndmask_b32_e32 v10, v10, v13, vcc
	s_nop 1
	v_mov_b32_dpp v11, v10 quad_perm:[2,3,0,1] row_mask:0xf bank_mask:0xf
	v_cmp_gt_f32_e32 vcc, v10, v11
	v_cndmask_b32_e32 v10, v11, v10, vcc
	s_nop 1
	v_mov_b32_dpp v11, v10 row_half_mirror row_mask:0xf bank_mask:0xf
	v_cmp_gt_f32_e32 vcc, v10, v11
	v_cndmask_b32_e32 v10, v11, v10, vcc
	s_nop 1
	v_mov_b32_dpp v11, v10 row_mirror row_mask:0xf bank_mask:0xf
	v_cmp_gt_f32_e32 vcc, v10, v11
	v_cndmask_b32_e32 v11, v11, v10, vcc
.LBB67_18:
	s_cbranch_execnz .LBB67_31
.LBB67_19:
	s_cmp_lt_i32 s2, 4
	s_cbranch_scc1 .LBB67_23
; %bb.20:
	s_cmp_lt_i32 s2, 8
	s_cbranch_scc1 .LBB67_24
; %bb.21:
	s_cmp_eq_u32 s2, 8
	s_waitcnt lgkmcnt(0)
	v_mov_b32_e32 v11, v13
	s_cbranch_scc0 .LBB67_25
; %bb.22:
	v_mov_b32_dpp v10, v13 quad_perm:[1,0,3,2] row_mask:0xf bank_mask:0xf
	v_cmp_gt_f32_e32 vcc, v13, v10
	v_cndmask_b32_e32 v10, v10, v13, vcc
	s_nop 1
	v_mov_b32_dpp v11, v10 quad_perm:[2,3,0,1] row_mask:0xf bank_mask:0xf
	v_cmp_gt_f32_e32 vcc, v10, v11
	v_cndmask_b32_e32 v10, v11, v10, vcc
	s_nop 1
	v_mov_b32_dpp v11, v10 row_half_mirror row_mask:0xf bank_mask:0xf
	v_cmp_gt_f32_e32 vcc, v10, v11
	v_cndmask_b32_e32 v11, v11, v10, vcc
	s_cbranch_execz .LBB67_26
	s_branch .LBB67_28
.LBB67_23:
                                        ; implicit-def: $vgpr11
	s_branch .LBB67_29
.LBB67_24:
                                        ; implicit-def: $vgpr11
	s_branch .LBB67_26
.LBB67_25:
	s_cbranch_execnz .LBB67_28
.LBB67_26:
	s_cmp_eq_u32 s2, 4
	s_waitcnt lgkmcnt(0)
	v_mov_b32_e32 v11, v13
	s_cbranch_scc0 .LBB67_28
; %bb.27:
	v_mov_b32_dpp v10, v13 quad_perm:[1,0,3,2] row_mask:0xf bank_mask:0xf
	v_cmp_gt_f32_e32 vcc, v13, v10
	v_cndmask_b32_e32 v10, v10, v13, vcc
	s_nop 1
	v_mov_b32_dpp v11, v10 quad_perm:[2,3,0,1] row_mask:0xf bank_mask:0xf
	v_cmp_gt_f32_e32 vcc, v10, v11
	v_cndmask_b32_e32 v11, v11, v10, vcc
.LBB67_28:
	s_cbranch_execnz .LBB67_31
.LBB67_29:
	s_cmp_lg_u32 s2, 2
	s_waitcnt lgkmcnt(0)
	v_mov_b32_e32 v11, v13
	s_cbranch_scc1 .LBB67_31
; %bb.30:
	v_mov_b32_dpp v10, v13 quad_perm:[1,0,3,2] row_mask:0xf bank_mask:0xf
	v_cmp_gt_f32_e32 vcc, v13, v10
	v_cndmask_b32_e32 v11, v10, v13, vcc
.LBB67_31:
	v_cvt_f32_u32_e32 v10, s2
	s_sub_i32 s0, 0, s2
	s_waitcnt lgkmcnt(0)
	v_mul_f32_e32 v14, 0x3b124925, v11
	v_cmp_gt_u32_e32 vcc, s9, v1
	v_rcp_iflag_f32_e32 v10, v10
	s_mov_b64 s[14:15], 0
	v_mul_f32_e32 v10, 0x4f7ffffe, v10
	v_cvt_u32_f32_e32 v10, v10
	v_mul_lo_u32 v11, s0, v10
	v_mul_hi_u32 v11, v10, v11
	v_add_u32_e32 v10, v10, v11
	v_mul_hi_u32 v10, v0, v10
	v_mul_lo_u32 v11, v10, s2
	v_sub_u32_e32 v11, v0, v11
	v_add_u32_e32 v15, 1, v10
	v_cmp_le_u32_e64 s[0:1], s2, v11
	v_cndmask_b32_e64 v10, v10, v15, s[0:1]
	v_subrev_u32_e32 v15, s2, v11
	v_cndmask_b32_e64 v11, v11, v15, s[0:1]
	v_add_u32_e32 v15, 1, v10
	v_cmp_le_u32_e64 s[0:1], s2, v11
	v_cndmask_b32_e64 v15, v10, v15, s[0:1]
	v_mul_lo_u32 v10, v15, s2
	v_sub_u32_e32 v10, v0, v10
	v_cmp_eq_u32_e64 s[0:1], 0, v10
	s_and_b64 s[16:17], s[0:1], vcc
	s_mov_b64 s[0:1], 0
                                        ; implicit-def: $vgpr10_vgpr11
	s_and_saveexec_b64 s[20:21], s[16:17]
	s_xor_b64 s[16:17], exec, s[20:21]
	s_cbranch_execz .LBB67_40
; %bb.32:
	s_bitcmp0_b32 s18, 0
	s_cbranch_scc0 .LBB67_37
; %bb.33:
	s_ashr_i32 s0, s9, 31
	s_mul_hi_u32 s1, s9, s6
	s_mul_i32 s0, s0, s6
	s_add_i32 s19, s1, s0
	s_mul_i32 s18, s9, s6
	s_mov_b32 s2, s11
	s_or_b64 s[0:1], s[18:19], s[2:3]
	s_mov_b32 s0, 0
	s_cmp_lg_u64 s[0:1], 0
	s_cbranch_scc0 .LBB67_46
; %bb.34:
	s_add_u32 s0, s2, s3
	s_mov_b32 s22, s3
	s_mov_b32 s23, s3
	s_addc_u32 s1, s3, s3
	s_xor_b64 s[24:25], s[0:1], s[22:23]
	v_cvt_f32_u32_e32 v10, s24
	v_cvt_f32_u32_e32 v11, s25
	s_sub_u32 s0, 0, s24
	s_subb_u32 s1, 0, s25
	v_madmk_f32 v10, v11, 0x4f800000, v10
	v_rcp_f32_e32 v10, v10
	v_mul_f32_e32 v10, 0x5f7ffffc, v10
	v_mul_f32_e32 v11, 0x2f800000, v10
	v_trunc_f32_e32 v11, v11
	v_madmk_f32 v10, v11, 0xcf800000, v10
	v_cvt_u32_f32_e32 v11, v11
	v_cvt_u32_f32_e32 v10, v10
	v_readfirstlane_b32 s3, v11
	v_readfirstlane_b32 s11, v10
	s_mul_i32 s26, s0, s3
	s_mul_hi_u32 s28, s0, s11
	s_mul_i32 s27, s1, s11
	s_add_i32 s26, s28, s26
	s_add_i32 s26, s26, s27
	s_mul_i32 s29, s0, s11
	s_mul_hi_u32 s27, s11, s26
	s_mul_i32 s28, s11, s26
	s_mul_hi_u32 s11, s11, s29
	s_add_u32 s11, s11, s28
	s_addc_u32 s27, 0, s27
	s_mul_hi_u32 s30, s3, s29
	s_mul_i32 s29, s3, s29
	s_add_u32 s11, s11, s29
	s_mul_hi_u32 s28, s3, s26
	s_addc_u32 s11, s27, s30
	s_addc_u32 s27, s28, 0
	s_mul_i32 s26, s3, s26
	s_add_u32 s11, s11, s26
	s_addc_u32 s26, 0, s27
	v_add_co_u32_e32 v10, vcc, s11, v10
	s_cmp_lg_u64 vcc, 0
	s_addc_u32 s3, s3, s26
	v_readfirstlane_b32 s26, v10
	s_mul_i32 s11, s0, s3
	s_mul_hi_u32 s27, s0, s26
	s_add_i32 s11, s27, s11
	s_mul_i32 s1, s1, s26
	s_add_i32 s11, s11, s1
	s_mul_i32 s0, s0, s26
	s_mul_hi_u32 s27, s3, s0
	s_mul_i32 s28, s3, s0
	s_mul_i32 s30, s26, s11
	s_mul_hi_u32 s0, s26, s0
	s_mul_hi_u32 s29, s26, s11
	s_add_u32 s0, s0, s30
	s_addc_u32 s26, 0, s29
	s_add_u32 s0, s0, s28
	s_mul_hi_u32 s1, s3, s11
	s_addc_u32 s0, s26, s27
	s_addc_u32 s1, s1, 0
	s_mul_i32 s11, s3, s11
	s_add_u32 s0, s0, s11
	s_addc_u32 s1, 0, s1
	v_add_co_u32_e32 v10, vcc, s0, v10
	s_cmp_lg_u64 vcc, 0
	s_addc_u32 s3, s3, s1
	s_ashr_i32 s26, s19, 31
	s_add_u32 s0, s18, s26
	s_mov_b32 s27, s26
	s_addc_u32 s1, s19, s26
	s_xor_b64 s[28:29], s[0:1], s[26:27]
	v_readfirstlane_b32 s11, v10
	s_mul_i32 s1, s28, s3
	s_mul_hi_u32 s19, s28, s11
	s_mul_hi_u32 s0, s28, s3
	s_add_u32 s1, s19, s1
	s_addc_u32 s0, 0, s0
	s_mul_hi_u32 s30, s29, s11
	s_mul_i32 s11, s29, s11
	s_add_u32 s1, s1, s11
	s_mul_hi_u32 s19, s29, s3
	s_addc_u32 s0, s0, s30
	s_addc_u32 s1, s19, 0
	s_mul_i32 s3, s29, s3
	s_add_u32 s3, s0, s3
	s_addc_u32 s11, 0, s1
	s_mul_i32 s0, s24, s11
	s_mul_hi_u32 s1, s24, s3
	s_add_i32 s0, s1, s0
	s_mul_i32 s1, s25, s3
	s_add_i32 s19, s0, s1
	s_mul_i32 s1, s24, s3
	v_mov_b32_e32 v10, s1
	s_sub_i32 s0, s29, s19
	v_sub_co_u32_e32 v10, vcc, s28, v10
	s_cmp_lg_u64 vcc, 0
	s_subb_u32 s28, s0, s25
	v_subrev_co_u32_e64 v11, s[0:1], s24, v10
	s_cmp_lg_u64 s[0:1], 0
	s_subb_u32 s28, s28, 0
	s_cmp_ge_u32 s28, s25
	s_cselect_b32 s30, -1, 0
	v_cmp_le_u32_e64 s[0:1], s24, v11
	s_cmp_eq_u32 s28, s25
	v_cndmask_b32_e64 v11, 0, -1, s[0:1]
	v_mov_b32_e32 v16, s30
	s_cselect_b64 s[0:1], -1, 0
	v_cndmask_b32_e64 v11, v16, v11, s[0:1]
	s_add_u32 s0, s3, 1
	s_addc_u32 s28, s11, 0
	s_add_u32 s1, s3, 2
	s_addc_u32 s30, s11, 0
	v_mov_b32_e32 v16, s0
	v_mov_b32_e32 v17, s1
	v_cmp_ne_u32_e64 s[0:1], 0, v11
	v_cndmask_b32_e64 v11, v16, v17, s[0:1]
	v_mov_b32_e32 v16, s28
	v_mov_b32_e32 v17, s30
	s_cmp_lg_u64 vcc, 0
	v_cndmask_b32_e64 v16, v16, v17, s[0:1]
	s_subb_u32 s0, s29, s19
	s_cmp_ge_u32 s0, s25
	s_cselect_b32 s1, -1, 0
	v_cmp_le_u32_e32 vcc, s24, v10
	s_cmp_eq_u32 s0, s25
	v_cndmask_b32_e64 v10, 0, -1, vcc
	v_mov_b32_e32 v17, s1
	s_cselect_b64 vcc, -1, 0
	v_cndmask_b32_e32 v10, v17, v10, vcc
	v_mov_b32_e32 v17, s11
	v_cmp_ne_u32_e32 vcc, 0, v10
	v_cndmask_b32_e32 v10, v17, v16, vcc
	v_mov_b32_e32 v16, s3
	v_cndmask_b32_e32 v11, v16, v11, vcc
	s_xor_b64 s[0:1], s[26:27], s[22:23]
	v_xor_b32_e32 v11, s0, v11
	v_xor_b32_e32 v16, s1, v10
	v_mov_b32_e32 v17, s1
	v_subrev_co_u32_e32 v10, vcc, s0, v11
	v_subb_co_u32_e32 v11, vcc, v16, v17, vcc
	s_cbranch_execnz .LBB67_36
.LBB67_35:
	v_cvt_f32_u32_e32 v10, s2
	s_sub_i32 s0, 0, s2
	s_mov_b32 s1, 0
	v_rcp_iflag_f32_e32 v10, v10
	v_mul_f32_e32 v10, 0x4f7ffffe, v10
	v_cvt_u32_f32_e32 v10, v10
	v_readfirstlane_b32 s3, v10
	s_mul_i32 s0, s0, s3
	s_mul_hi_u32 s0, s3, s0
	s_add_i32 s3, s3, s0
	s_mul_hi_u32 s0, s18, s3
	s_mul_i32 s11, s0, s2
	s_sub_i32 s11, s18, s11
	s_add_i32 s3, s0, 1
	s_sub_i32 s18, s11, s2
	s_cmp_ge_u32 s11, s2
	s_cselect_b32 s0, s3, s0
	s_cselect_b32 s11, s18, s11
	s_add_i32 s3, s0, 1
	s_cmp_ge_u32 s11, s2
	s_cselect_b32 s0, s3, s0
	v_pk_mov_b32 v[10:11], s[0:1], s[0:1] op_sel:[0,1]
.LBB67_36:
	v_add_co_u32_e32 v10, vcc, v10, v15
	v_addc_co_u32_e32 v11, vcc, 0, v11, vcc
	s_branch .LBB67_39
.LBB67_37:
                                        ; implicit-def: $vgpr10_vgpr11
	s_cbranch_execz .LBB67_39
; %bb.38:
	v_mul_lo_u32 v10, v15, s8
	v_ashrrev_i32_e32 v11, 31, v10
	v_mov_b32_e32 v15, s7
	v_add_co_u32_e32 v10, vcc, s6, v10
	v_addc_co_u32_e32 v11, vcc, v11, v15, vcc
.LBB67_39:
	s_mov_b64 s[0:1], exec
.LBB67_40:
	s_or_b64 exec, exec, s[16:17]
	s_and_b64 vcc, exec, s[14:15]
	s_cbranch_vccz .LBB67_42
.LBB67_41:
	v_mov_b32_dpp v10, v13 quad_perm:[1,0,3,2] row_mask:0xf bank_mask:0xf
	v_cmp_gt_f32_e32 vcc, v13, v10
	v_cndmask_b32_e32 v10, v10, v13, vcc
	s_andn2_b64 s[0:1], s[0:1], exec
	s_nop 0
	v_mov_b32_dpp v11, v10 quad_perm:[2,3,0,1] row_mask:0xf bank_mask:0xf
	v_cmp_gt_f32_e32 vcc, v10, v11
	v_cndmask_b32_e32 v10, v11, v10, vcc
	s_nop 1
	v_mov_b32_dpp v11, v10 row_half_mirror row_mask:0xf bank_mask:0xf
	v_cmp_gt_f32_e32 vcc, v10, v11
	v_cndmask_b32_e32 v10, v11, v10, vcc
	s_nop 1
	v_mov_b32_dpp v11, v10 row_mirror row_mask:0xf bank_mask:0xf
	v_cmp_gt_f32_e32 vcc, v10, v11
	v_cndmask_b32_e32 v10, v11, v10, vcc
	s_nop 1
	v_mov_b32_dpp v11, v10 row_bcast:15 row_mask:0xf bank_mask:0xf
	v_cmp_gt_f32_e32 vcc, v10, v11
	v_cndmask_b32_e32 v10, v11, v10, vcc
	s_nop 1
	v_mov_b32_dpp v11, v10 row_bcast:31 row_mask:0xf bank_mask:0xf
	v_cmp_gt_f32_e32 vcc, v10, v11
	v_cndmask_b32_e32 v10, v11, v10, vcc
	ds_bpermute_b32 v10, v12, v10
	v_cmp_eq_u32_e32 vcc, 0, v0
	s_and_b64 s[2:3], vcc, exec
	s_or_b64 s[0:1], s[0:1], s[2:3]
	s_waitcnt lgkmcnt(0)
	v_mul_f32_e32 v14, 0x3b124925, v10
	v_pk_mov_b32 v[10:11], s[6:7], s[6:7] op_sel:[0,1]
.LBB67_42:
	s_and_saveexec_b64 s[2:3], s[0:1]
	s_cbranch_execz .LBB67_44
; %bb.43:
	v_lshlrev_b64 v[10:11], 2, v[10:11]
	v_mov_b32_e32 v0, s13
	v_add_co_u32_e32 v10, vcc, s12, v10
	v_addc_co_u32_e32 v11, vcc, v0, v11, vcc
	global_store_dword v[10:11], v14, off
.LBB67_44:
	s_or_b64 exec, exec, s[2:3]
	s_add_i32 s2, s9, 3
	s_load_dwordx2 s[0:1], s[4:5], 0x0
	s_ashr_i32 s3, s2, 31
	s_lshr_b32 s3, s3, 30
	;;#ASMSTART
	v_rcp_f32 v10, v14
	;;#ASMEND
	v_mov_b32_e32 v11, v10
	;;#ASMSTART
	v_pk_mul_f32 v[8:9], v[8:9], v[10:11]
	;;#ASMEND
	s_add_i32 s2, s2, s3
	s_ashr_i32 s3, s10, 31
	v_mov_b32_e32 v0, 0xc3e00000
	v_mov_b32_e32 v12, 0x43e00000
	;;#ASMSTART
	v_med3_f32 v8, v8, v0, v12
v_med3_f32 v9, v9, v0, v12
v_cvt_pk_fp8_f32 v13, v8, v9
	;;#ASMEND
	;;#ASMSTART
	v_pk_mul_f32 v[6:7], v[6:7], v[10:11]
	;;#ASMEND
	s_mul_hi_u32 s4, s10, s6
	s_mul_i32 s3, s3, s6
	;;#ASMSTART
	v_med3_f32 v6, v6, v0, v12
v_med3_f32 v7, v7, v0, v12
v_cvt_pk_fp8_f32 v8, v6, v7
	;;#ASMEND
	s_mov_b32 s5, 0x5040100
	s_and_b32 s2, s2, -4
	s_add_i32 s4, s4, s3
	s_mul_i32 s3, s10, s6
	v_perm_b32 v7, v8, v13, s5
	s_movk_i32 s5, 0xff
	s_waitcnt lgkmcnt(0)
	s_add_u32 s0, s0, s3
	v_and_b32_e32 v6, 0xffffff00, v8
	v_and_b32_sdwa v8, v7, s5 dst_sel:DWORD dst_unused:UNUSED_PAD src0_sel:WORD_1 src1_sel:DWORD
	s_addc_u32 s1, s1, s4
	s_mov_b32 s4, 0xffff
	v_or_b32_sdwa v6, v8, v6 dst_sel:WORD_1 dst_unused:UNUSED_PAD src0_sel:DWORD src1_sel:DWORD
	;;#ASMSTART
	v_pk_mul_f32 v[4:5], v[4:5], v[10:11]
	;;#ASMEND
	v_and_or_b32 v6, v7, s4, v6
	;;#ASMSTART
	v_med3_f32 v4, v4, v0, v12
v_med3_f32 v5, v5, v0, v12
v_cvt_pk_fp8_f32 v7, v4, v5
	;;#ASMEND
	;;#ASMSTART
	v_pk_mul_f32 v[2:3], v[2:3], v[10:11]
	;;#ASMEND
	;;#ASMSTART
	v_med3_f32 v2, v2, v0, v12
v_med3_f32 v3, v3, v0, v12
v_cvt_pk_fp8_f32 v0, v2, v3
	;;#ASMEND
	v_lshlrev_b32_e32 v0, 16, v0
	s_and_b32 s1, s1, 0xffff
	s_mov_b32 s3, 0x20000
	v_and_or_b32 v7, v7, s4, v0
	buffer_store_dwordx2 v[6:7], v1, s[0:3], 0 offen
	;;#ASMSTART
	s_nop 0
	;;#ASMEND
.LBB67_45:
	s_endpgm
.LBB67_46:
                                        ; implicit-def: $vgpr10_vgpr11
	s_branch .LBB67_35
	.section	.rodata,"a",@progbits
	.p2align	6, 0x0
	.amdhsa_kernel _ZN5aiter24add_rmsnorm_quant_kernelIDF16_DB8_Li64ELi8ELb0ELb1ELb0ELi1EEEvPT0_PT_PfS5_S5_S5_diiiiiiib
		.amdhsa_group_segment_fixed_size 0
		.amdhsa_private_segment_fixed_size 0
		.amdhsa_kernarg_size 88
		.amdhsa_user_sgpr_count 6
		.amdhsa_user_sgpr_private_segment_buffer 1
		.amdhsa_user_sgpr_dispatch_ptr 0
		.amdhsa_user_sgpr_queue_ptr 0
		.amdhsa_user_sgpr_kernarg_segment_ptr 1
		.amdhsa_user_sgpr_dispatch_id 0
		.amdhsa_user_sgpr_flat_scratch_init 0
		.amdhsa_user_sgpr_kernarg_preload_length 0
		.amdhsa_user_sgpr_kernarg_preload_offset 0
		.amdhsa_user_sgpr_private_segment_size 0
		.amdhsa_uses_dynamic_stack 0
		.amdhsa_system_sgpr_private_segment_wavefront_offset 0
		.amdhsa_system_sgpr_workgroup_id_x 1
		.amdhsa_system_sgpr_workgroup_id_y 0
		.amdhsa_system_sgpr_workgroup_id_z 0
		.amdhsa_system_sgpr_workgroup_info 0
		.amdhsa_system_vgpr_workitem_id 0
		.amdhsa_next_free_vgpr 28
		.amdhsa_next_free_sgpr 31
		.amdhsa_accum_offset 28
		.amdhsa_reserve_vcc 1
		.amdhsa_reserve_flat_scratch 0
		.amdhsa_float_round_mode_32 0
		.amdhsa_float_round_mode_16_64 0
		.amdhsa_float_denorm_mode_32 3
		.amdhsa_float_denorm_mode_16_64 3
		.amdhsa_dx10_clamp 1
		.amdhsa_ieee_mode 1
		.amdhsa_fp16_overflow 0
		.amdhsa_tg_split 0
		.amdhsa_exception_fp_ieee_invalid_op 0
		.amdhsa_exception_fp_denorm_src 0
		.amdhsa_exception_fp_ieee_div_zero 0
		.amdhsa_exception_fp_ieee_overflow 0
		.amdhsa_exception_fp_ieee_underflow 0
		.amdhsa_exception_fp_ieee_inexact 0
		.amdhsa_exception_int_div_zero 0
	.end_amdhsa_kernel
	.section	.text._ZN5aiter24add_rmsnorm_quant_kernelIDF16_DB8_Li64ELi8ELb0ELb1ELb0ELi1EEEvPT0_PT_PfS5_S5_S5_diiiiiiib,"axG",@progbits,_ZN5aiter24add_rmsnorm_quant_kernelIDF16_DB8_Li64ELi8ELb0ELb1ELb0ELi1EEEvPT0_PT_PfS5_S5_S5_diiiiiiib,comdat
.Lfunc_end67:
	.size	_ZN5aiter24add_rmsnorm_quant_kernelIDF16_DB8_Li64ELi8ELb0ELb1ELb0ELi1EEEvPT0_PT_PfS5_S5_S5_diiiiiiib, .Lfunc_end67-_ZN5aiter24add_rmsnorm_quant_kernelIDF16_DB8_Li64ELi8ELb0ELb1ELb0ELi1EEEvPT0_PT_PfS5_S5_S5_diiiiiiib
                                        ; -- End function
	.section	.AMDGPU.csdata,"",@progbits
; Kernel info:
; codeLenInByte = 2960
; NumSgprs: 35
; NumVgprs: 28
; NumAgprs: 0
; TotalNumVgprs: 28
; ScratchSize: 0
; MemoryBound: 0
; FloatMode: 240
; IeeeMode: 1
; LDSByteSize: 0 bytes/workgroup (compile time only)
; SGPRBlocks: 4
; VGPRBlocks: 3
; NumSGPRsForWavesPerEU: 35
; NumVGPRsForWavesPerEU: 28
; AccumOffset: 28
; Occupancy: 8
; WaveLimiterHint : 0
; COMPUTE_PGM_RSRC2:SCRATCH_EN: 0
; COMPUTE_PGM_RSRC2:USER_SGPR: 6
; COMPUTE_PGM_RSRC2:TRAP_HANDLER: 0
; COMPUTE_PGM_RSRC2:TGID_X_EN: 1
; COMPUTE_PGM_RSRC2:TGID_Y_EN: 0
; COMPUTE_PGM_RSRC2:TGID_Z_EN: 0
; COMPUTE_PGM_RSRC2:TIDIG_COMP_CNT: 0
; COMPUTE_PGM_RSRC3_GFX90A:ACCUM_OFFSET: 6
; COMPUTE_PGM_RSRC3_GFX90A:TG_SPLIT: 0
	.section	.text._ZN5aiter24add_rmsnorm_quant_kernelItDB8_Li64ELi8ELb0ELb1ELb0ELi1EEEvPT0_PT_PfS5_S5_S5_diiiiiiib,"axG",@progbits,_ZN5aiter24add_rmsnorm_quant_kernelItDB8_Li64ELi8ELb0ELb1ELb0ELi1EEEvPT0_PT_PfS5_S5_S5_diiiiiiib,comdat
	.protected	_ZN5aiter24add_rmsnorm_quant_kernelItDB8_Li64ELi8ELb0ELb1ELb0ELi1EEEvPT0_PT_PfS5_S5_S5_diiiiiiib ; -- Begin function _ZN5aiter24add_rmsnorm_quant_kernelItDB8_Li64ELi8ELb0ELb1ELb0ELi1EEEvPT0_PT_PfS5_S5_S5_diiiiiiib
	.globl	_ZN5aiter24add_rmsnorm_quant_kernelItDB8_Li64ELi8ELb0ELb1ELb0ELi1EEEvPT0_PT_PfS5_S5_S5_diiiiiiib
	.p2align	8
	.type	_ZN5aiter24add_rmsnorm_quant_kernelItDB8_Li64ELi8ELb0ELb1ELb0ELi1EEEvPT0_PT_PfS5_S5_S5_diiiiiiib,@function
_ZN5aiter24add_rmsnorm_quant_kernelItDB8_Li64ELi8ELb0ELb1ELb0ELi1EEEvPT0_PT_PfS5_S5_S5_diiiiiiib: ; @_ZN5aiter24add_rmsnorm_quant_kernelItDB8_Li64ELi8ELb0ELb1ELb0ELi1EEEvPT0_PT_PfS5_S5_S5_diiiiiiib
; %bb.0:
	s_load_dwordx4 s[8:11], s[4:5], 0x38
	s_mov_b32 s7, 0
	s_waitcnt lgkmcnt(0)
	s_ashr_i32 s0, s8, 31
	v_mov_b32_e32 v2, s8
	v_mov_b32_e32 v3, s0
	v_cmp_ge_i64_e32 vcc, s[6:7], v[2:3]
	s_cbranch_vccnz .LBB68_45
; %bb.1:
	s_load_dwordx4 s[12:15], s[4:5], 0x10
	s_load_dwordx4 s[0:3], s[4:5], 0x28
	s_ashr_i32 s11, s10, 31
	s_mul_hi_u32 s16, s10, s6
	s_mul_i32 s11, s11, s6
	s_add_i32 s11, s16, s11
	s_mul_i32 s10, s10, s6
	s_lshl_b64 s[10:11], s[10:11], 1
	s_waitcnt lgkmcnt(0)
	s_add_u32 s16, s14, s10
	s_addc_u32 s10, s15, s11
	s_add_i32 s11, s9, 1
	s_lshr_b32 s14, s11, 31
	s_add_i32 s11, s11, s14
	s_lshl_b32 s11, s11, 1
	s_and_b32 s18, s11, -4
	s_and_b32 s17, s10, 0xffff
	s_mov_b32 s19, 0x20000
	v_lshlrev_b32_e32 v1, 4, v0
	buffer_load_dwordx4 v[6:9], v1, s[16:19], 0 offen glc slc
	s_and_b32 s17, s1, 0xffff
	s_mov_b32 s16, s0
	buffer_load_dwordx4 v[2:5], v1, s[16:19], 0 offen
	v_mbcnt_lo_u32_b32 v10, -1, 0
	v_mbcnt_hi_u32_b32 v10, -1, v10
	v_lshlrev_b32_e32 v10, 2, v10
	v_or_b32_e32 v12, 0xfc, v10
	v_cvt_f32_i32_e32 v11, s9
	s_mov_b32 s14, 0x800000
	s_load_dwordx2 s[10:11], s[4:5], 0x4c
	s_load_dword s18, s[4:5], 0x54
	v_mov_b32_e32 v13, 0x2edbe6ff
	v_lshlrev_b32_e32 v1, 3, v0
	s_waitcnt lgkmcnt(0)
	s_cmp_lg_u32 s11, 0
	s_waitcnt vmcnt(1)
	v_cvt_f32_u32_sdwa v15, v6 dst_sel:DWORD dst_unused:UNUSED_PAD src0_sel:WORD_1
	v_cvt_f32_u32_sdwa v14, v6 dst_sel:DWORD dst_unused:UNUSED_PAD src0_sel:WORD_0
	v_cvt_f32_u32_sdwa v17, v7 dst_sel:DWORD dst_unused:UNUSED_PAD src0_sel:WORD_1
	v_cvt_f32_u32_sdwa v16, v7 dst_sel:DWORD dst_unused:UNUSED_PAD src0_sel:WORD_0
	;; [unrolled: 2-line block ×3, first 2 shown]
	v_pk_mul_f32 v[20:21], v[14:15], v[14:15]
	v_cvt_f32_u32_sdwa v19, v9 dst_sel:DWORD dst_unused:UNUSED_PAD src0_sel:WORD_1
	v_cvt_f32_u32_sdwa v18, v9 dst_sel:DWORD dst_unused:UNUSED_PAD src0_sel:WORD_0
	v_pk_mul_f32 v[22:23], v[16:17], v[16:17]
	v_add_f32_e32 v8, v20, v21
	v_add_f32_e32 v8, v22, v8
	v_pk_mul_f32 v[24:25], v[6:7], v[6:7]
	v_add_f32_e32 v8, v23, v8
	v_add_f32_e32 v8, v24, v8
	;; [unrolled: 3-line block ×3, first 2 shown]
	v_add_f32_e32 v8, v27, v8
	s_waitcnt vmcnt(0)
	v_cvt_f32_u32_sdwa v9, v2 dst_sel:DWORD dst_unused:UNUSED_PAD src0_sel:WORD_1
	v_cvt_f32_u32_sdwa v21, v3 dst_sel:DWORD dst_unused:UNUSED_PAD src0_sel:WORD_1
	v_mov_b32_dpp v20, v8 quad_perm:[1,0,3,2] row_mask:0xf bank_mask:0xf
	v_add_f32_e32 v8, v8, v20
	s_nop 1
	v_mov_b32_dpp v20, v8 quad_perm:[2,3,0,1] row_mask:0xf bank_mask:0xf
	v_add_f32_e32 v8, v8, v20
	s_nop 1
	v_mov_b32_dpp v20, v8 row_half_mirror row_mask:0xf bank_mask:0xf
	v_add_f32_e32 v8, v8, v20
	s_nop 1
	v_mov_b32_dpp v20, v8 row_mirror row_mask:0xf bank_mask:0xf
	v_add_f32_e32 v8, v8, v20
	s_nop 1
	v_mov_b32_dpp v20, v8 row_bcast:15 row_mask:0xf bank_mask:0xf
	v_add_f32_e32 v8, v8, v20
	s_nop 1
	v_mov_b32_dpp v20, v8 row_bcast:31 row_mask:0xf bank_mask:0xf
	v_add_f32_e32 v8, v8, v20
	ds_bpermute_b32 v22, v12, v8
	v_cvt_f32_u32_sdwa v8, v2 dst_sel:DWORD dst_unused:UNUSED_PAD src0_sel:WORD_0
	v_cvt_f32_u32_sdwa v20, v3 dst_sel:DWORD dst_unused:UNUSED_PAD src0_sel:WORD_0
	v_cvt_f32_u32_sdwa v3, v4 dst_sel:DWORD dst_unused:UNUSED_PAD src0_sel:WORD_1
	s_waitcnt lgkmcnt(0)
	v_div_scale_f32 v2, s[0:1], v11, v11, v22
	v_rcp_f32_e32 v23, v2
	v_div_scale_f32 v24, vcc, v22, v11, v22
	v_fma_f32 v25, -v2, v23, 1.0
	v_fmac_f32_e32 v23, v25, v23
	v_mul_f32_e32 v25, v24, v23
	v_fma_f32 v26, -v2, v25, v24
	v_fmac_f32_e32 v25, v26, v23
	v_fma_f32 v2, -v2, v25, v24
	v_div_fmas_f32 v2, v2, v23, v25
	v_div_fixup_f32 v2, v2, v11, v22
	v_cvt_f64_f32_e32 v[22:23], v2
	v_add_f64 v[22:23], v[22:23], s[2:3]
	v_cvt_f32_f64_e32 v2, v[22:23]
	v_mul_f32_e32 v11, 0x4b800000, v2
	v_cmp_gt_f32_e32 vcc, s14, v2
	v_cndmask_b32_e32 v2, v2, v11, vcc
	v_rsq_f32_e32 v11, v2
	v_cvt_f32_u32_sdwa v2, v4 dst_sel:DWORD dst_unused:UNUSED_PAD src0_sel:WORD_0
	v_cvt_f32_u32_sdwa v23, v5 dst_sel:DWORD dst_unused:UNUSED_PAD src0_sel:WORD_1
	v_cvt_f32_u32_sdwa v22, v5 dst_sel:DWORD dst_unused:UNUSED_PAD src0_sel:WORD_0
	v_mul_f32_e32 v4, 0x45800000, v11
	v_cndmask_b32_e32 v4, v11, v4, vcc
	v_mov_b32_e32 v5, v4
	;;#ASMSTART
	v_pk_mul_f32 v[14:15], v[14:15], v[4:5]
	;;#ASMEND
	;;#ASMSTART
	v_pk_mul_f32 v[16:17], v[16:17], v[4:5]
	;;#ASMEND
	;; [unrolled: 3-line block ×5, first 2 shown]
	v_and_b32_e32 v11, 0x7fffffff, v8
	;;#ASMSTART
	v_pk_mul_f32 v[6:7], v[16:17], v[20:21]
	;;#ASMEND
	;;#ASMSTART
	v_pk_mul_f32 v[4:5], v[24:25], v[2:3]
	;;#ASMEND
	;; [unrolled: 3-line block ×3, first 2 shown]
	v_and_b32_e32 v14, 0x7fffffff, v9
	;;#ASMSTART
	v_max3_f32 v11, v13, v11, v14

	;;#ASMEND
	v_and_b32_e32 v15, 0x7fffffff, v6
	v_and_b32_e32 v16, 0x7fffffff, v7
	;;#ASMSTART
	v_max3_f32 v11, v11, v15, v16

	;;#ASMEND
	v_and_b32_e32 v17, 0x7fffffff, v4
	v_and_b32_e32 v18, 0x7fffffff, v5
	;; [unrolled: 1-line block ×4, first 2 shown]
	;;#ASMSTART
	v_max3_f32 v11, v11, v17, v18

	;;#ASMEND
	;;#ASMSTART
	v_max3_f32 v13, v11, v19, v20

	;;#ASMEND
	s_cbranch_scc0 .LBB68_8
; %bb.2:
	s_ashr_i32 s3, s11, 31
	s_lshr_b32 s0, s3, 29
	s_add_i32 s0, s11, s0
	s_ashr_i32 s2, s0, 3
	s_cmp_lt_i32 s2, 16
	s_cbranch_scc1 .LBB68_9
; %bb.3:
	s_cmp_lt_i32 s2, 32
	s_cbranch_scc1 .LBB68_10
; %bb.4:
	;; [unrolled: 3-line block ×3, first 2 shown]
	s_cmp_eq_u32 s2, 64
	v_mov_b32_e32 v11, v13
	s_cbranch_scc0 .LBB68_7
; %bb.6:
	s_nop 0
	v_mov_b32_dpp v11, v13 quad_perm:[1,0,3,2] row_mask:0xf bank_mask:0xf
	v_cmp_gt_f32_e32 vcc, v13, v11
	v_cndmask_b32_e32 v11, v11, v13, vcc
	s_nop 1
	v_mov_b32_dpp v14, v11 quad_perm:[2,3,0,1] row_mask:0xf bank_mask:0xf
	v_cmp_gt_f32_e32 vcc, v11, v14
	v_cndmask_b32_e32 v11, v14, v11, vcc
	s_nop 1
	v_mov_b32_dpp v14, v11 row_ror:4 row_mask:0xf bank_mask:0xf
	v_cmp_gt_f32_e32 vcc, v11, v14
	v_cndmask_b32_e32 v11, v14, v11, vcc
	s_nop 1
	v_mov_b32_dpp v14, v11 row_ror:8 row_mask:0xf bank_mask:0xf
	v_cmp_gt_f32_e32 vcc, v11, v14
	v_cndmask_b32_e32 v11, v14, v11, vcc
	s_nop 1
	v_mov_b32_dpp v14, v11 row_bcast:15 row_mask:0xf bank_mask:0xf
	v_cmp_gt_f32_e32 vcc, v11, v14
	v_cndmask_b32_e32 v11, v14, v11, vcc
	s_nop 1
	v_mov_b32_dpp v14, v11 row_bcast:31 row_mask:0xf bank_mask:0xf
	v_cmp_gt_f32_e32 vcc, v11, v14
	v_cndmask_b32_e32 v11, v14, v11, vcc
	ds_bpermute_b32 v11, v12, v11
.LBB68_7:
	s_mov_b64 s[0:1], 0
	s_branch .LBB68_12
.LBB68_8:
	s_mov_b64 s[0:1], 0
                                        ; implicit-def: $vgpr14
                                        ; implicit-def: $vgpr10_vgpr11
	s_cbranch_execnz .LBB68_41
	s_branch .LBB68_42
.LBB68_9:
                                        ; implicit-def: $vgpr11
	s_branch .LBB68_19
.LBB68_10:
                                        ; implicit-def: $vgpr11
	s_branch .LBB68_16
.LBB68_11:
	s_mov_b64 s[0:1], -1
                                        ; implicit-def: $vgpr11
.LBB68_12:
	s_andn2_b64 vcc, exec, s[0:1]
	s_cbranch_vccnz .LBB68_15
; %bb.13:
	s_cmp_eq_u32 s2, 32
	s_waitcnt lgkmcnt(0)
	v_mov_b32_e32 v11, v13
	s_cbranch_scc0 .LBB68_15
; %bb.14:
	s_nop 0
	v_mov_b32_dpp v11, v13 quad_perm:[1,0,3,2] row_mask:0xf bank_mask:0xf
	v_cmp_gt_f32_e32 vcc, v13, v11
	v_cndmask_b32_e32 v11, v11, v13, vcc
	v_or_b32_e32 v10, 0x7c, v10
	s_nop 0
	v_mov_b32_dpp v14, v11 quad_perm:[2,3,0,1] row_mask:0xf bank_mask:0xf
	v_cmp_gt_f32_e32 vcc, v11, v14
	v_cndmask_b32_e32 v11, v14, v11, vcc
	s_nop 1
	v_mov_b32_dpp v14, v11 row_half_mirror row_mask:0xf bank_mask:0xf
	v_cmp_gt_f32_e32 vcc, v11, v14
	v_cndmask_b32_e32 v11, v14, v11, vcc
	s_nop 1
	v_mov_b32_dpp v14, v11 row_mirror row_mask:0xf bank_mask:0xf
	v_cmp_gt_f32_e32 vcc, v11, v14
	v_cndmask_b32_e32 v11, v14, v11, vcc
	s_nop 1
	v_mov_b32_dpp v14, v11 row_bcast:15 row_mask:0xa bank_mask:0xf
	v_cmp_gt_f32_e32 vcc, v11, v14
	v_cndmask_b32_e32 v11, v14, v11, vcc
	ds_bpermute_b32 v11, v10, v11
.LBB68_15:
	s_cbranch_execnz .LBB68_18
.LBB68_16:
	s_cmp_eq_u32 s2, 16
	s_waitcnt lgkmcnt(0)
	v_mov_b32_e32 v11, v13
	s_cbranch_scc0 .LBB68_18
; %bb.17:
	v_mov_b32_dpp v10, v13 quad_perm:[1,0,3,2] row_mask:0xf bank_mask:0xf
	v_cmp_gt_f32_e32 vcc, v13, v10
	v_cndmask_b32_e32 v10, v10, v13, vcc
	s_nop 1
	v_mov_b32_dpp v11, v10 quad_perm:[2,3,0,1] row_mask:0xf bank_mask:0xf
	v_cmp_gt_f32_e32 vcc, v10, v11
	v_cndmask_b32_e32 v10, v11, v10, vcc
	s_nop 1
	v_mov_b32_dpp v11, v10 row_half_mirror row_mask:0xf bank_mask:0xf
	v_cmp_gt_f32_e32 vcc, v10, v11
	v_cndmask_b32_e32 v10, v11, v10, vcc
	s_nop 1
	v_mov_b32_dpp v11, v10 row_mirror row_mask:0xf bank_mask:0xf
	v_cmp_gt_f32_e32 vcc, v10, v11
	v_cndmask_b32_e32 v11, v11, v10, vcc
.LBB68_18:
	s_cbranch_execnz .LBB68_31
.LBB68_19:
	s_cmp_lt_i32 s2, 4
	s_cbranch_scc1 .LBB68_23
; %bb.20:
	s_cmp_lt_i32 s2, 8
	s_cbranch_scc1 .LBB68_24
; %bb.21:
	s_cmp_eq_u32 s2, 8
	s_waitcnt lgkmcnt(0)
	v_mov_b32_e32 v11, v13
	s_cbranch_scc0 .LBB68_25
; %bb.22:
	v_mov_b32_dpp v10, v13 quad_perm:[1,0,3,2] row_mask:0xf bank_mask:0xf
	v_cmp_gt_f32_e32 vcc, v13, v10
	v_cndmask_b32_e32 v10, v10, v13, vcc
	s_nop 1
	v_mov_b32_dpp v11, v10 quad_perm:[2,3,0,1] row_mask:0xf bank_mask:0xf
	v_cmp_gt_f32_e32 vcc, v10, v11
	v_cndmask_b32_e32 v10, v11, v10, vcc
	s_nop 1
	v_mov_b32_dpp v11, v10 row_half_mirror row_mask:0xf bank_mask:0xf
	v_cmp_gt_f32_e32 vcc, v10, v11
	v_cndmask_b32_e32 v11, v11, v10, vcc
	s_cbranch_execz .LBB68_26
	s_branch .LBB68_28
.LBB68_23:
                                        ; implicit-def: $vgpr11
	s_branch .LBB68_29
.LBB68_24:
                                        ; implicit-def: $vgpr11
	s_branch .LBB68_26
.LBB68_25:
	s_cbranch_execnz .LBB68_28
.LBB68_26:
	s_cmp_eq_u32 s2, 4
	s_waitcnt lgkmcnt(0)
	v_mov_b32_e32 v11, v13
	s_cbranch_scc0 .LBB68_28
; %bb.27:
	v_mov_b32_dpp v10, v13 quad_perm:[1,0,3,2] row_mask:0xf bank_mask:0xf
	v_cmp_gt_f32_e32 vcc, v13, v10
	v_cndmask_b32_e32 v10, v10, v13, vcc
	s_nop 1
	v_mov_b32_dpp v11, v10 quad_perm:[2,3,0,1] row_mask:0xf bank_mask:0xf
	v_cmp_gt_f32_e32 vcc, v10, v11
	v_cndmask_b32_e32 v11, v11, v10, vcc
.LBB68_28:
	s_cbranch_execnz .LBB68_31
.LBB68_29:
	s_cmp_lg_u32 s2, 2
	s_waitcnt lgkmcnt(0)
	v_mov_b32_e32 v11, v13
	s_cbranch_scc1 .LBB68_31
; %bb.30:
	v_mov_b32_dpp v10, v13 quad_perm:[1,0,3,2] row_mask:0xf bank_mask:0xf
	v_cmp_gt_f32_e32 vcc, v13, v10
	v_cndmask_b32_e32 v11, v10, v13, vcc
.LBB68_31:
	v_cvt_f32_u32_e32 v10, s2
	s_sub_i32 s0, 0, s2
	s_waitcnt lgkmcnt(0)
	v_mul_f32_e32 v14, 0x3b124925, v11
	v_cmp_gt_u32_e32 vcc, s9, v1
	v_rcp_iflag_f32_e32 v10, v10
	s_mov_b64 s[14:15], 0
	v_mul_f32_e32 v10, 0x4f7ffffe, v10
	v_cvt_u32_f32_e32 v10, v10
	v_mul_lo_u32 v11, s0, v10
	v_mul_hi_u32 v11, v10, v11
	v_add_u32_e32 v10, v10, v11
	v_mul_hi_u32 v10, v0, v10
	v_mul_lo_u32 v11, v10, s2
	v_sub_u32_e32 v11, v0, v11
	v_add_u32_e32 v15, 1, v10
	v_cmp_le_u32_e64 s[0:1], s2, v11
	v_cndmask_b32_e64 v10, v10, v15, s[0:1]
	v_subrev_u32_e32 v15, s2, v11
	v_cndmask_b32_e64 v11, v11, v15, s[0:1]
	v_add_u32_e32 v15, 1, v10
	v_cmp_le_u32_e64 s[0:1], s2, v11
	v_cndmask_b32_e64 v15, v10, v15, s[0:1]
	v_mul_lo_u32 v10, v15, s2
	v_sub_u32_e32 v10, v0, v10
	v_cmp_eq_u32_e64 s[0:1], 0, v10
	s_and_b64 s[16:17], s[0:1], vcc
	s_mov_b64 s[0:1], 0
                                        ; implicit-def: $vgpr10_vgpr11
	s_and_saveexec_b64 s[20:21], s[16:17]
	s_xor_b64 s[16:17], exec, s[20:21]
	s_cbranch_execz .LBB68_40
; %bb.32:
	s_bitcmp0_b32 s18, 0
	s_cbranch_scc0 .LBB68_37
; %bb.33:
	s_ashr_i32 s0, s9, 31
	s_mul_hi_u32 s1, s9, s6
	s_mul_i32 s0, s0, s6
	s_add_i32 s19, s1, s0
	s_mul_i32 s18, s9, s6
	s_mov_b32 s2, s11
	s_or_b64 s[0:1], s[18:19], s[2:3]
	s_mov_b32 s0, 0
	s_cmp_lg_u64 s[0:1], 0
	s_cbranch_scc0 .LBB68_46
; %bb.34:
	s_add_u32 s0, s2, s3
	s_mov_b32 s22, s3
	s_mov_b32 s23, s3
	s_addc_u32 s1, s3, s3
	s_xor_b64 s[24:25], s[0:1], s[22:23]
	v_cvt_f32_u32_e32 v10, s24
	v_cvt_f32_u32_e32 v11, s25
	s_sub_u32 s0, 0, s24
	s_subb_u32 s1, 0, s25
	v_madmk_f32 v10, v11, 0x4f800000, v10
	v_rcp_f32_e32 v10, v10
	v_mul_f32_e32 v10, 0x5f7ffffc, v10
	v_mul_f32_e32 v11, 0x2f800000, v10
	v_trunc_f32_e32 v11, v11
	v_madmk_f32 v10, v11, 0xcf800000, v10
	v_cvt_u32_f32_e32 v11, v11
	v_cvt_u32_f32_e32 v10, v10
	v_readfirstlane_b32 s3, v11
	v_readfirstlane_b32 s11, v10
	s_mul_i32 s26, s0, s3
	s_mul_hi_u32 s28, s0, s11
	s_mul_i32 s27, s1, s11
	s_add_i32 s26, s28, s26
	s_add_i32 s26, s26, s27
	s_mul_i32 s29, s0, s11
	s_mul_hi_u32 s27, s11, s26
	s_mul_i32 s28, s11, s26
	s_mul_hi_u32 s11, s11, s29
	s_add_u32 s11, s11, s28
	s_addc_u32 s27, 0, s27
	s_mul_hi_u32 s30, s3, s29
	s_mul_i32 s29, s3, s29
	s_add_u32 s11, s11, s29
	s_mul_hi_u32 s28, s3, s26
	s_addc_u32 s11, s27, s30
	s_addc_u32 s27, s28, 0
	s_mul_i32 s26, s3, s26
	s_add_u32 s11, s11, s26
	s_addc_u32 s26, 0, s27
	v_add_co_u32_e32 v10, vcc, s11, v10
	s_cmp_lg_u64 vcc, 0
	s_addc_u32 s3, s3, s26
	v_readfirstlane_b32 s26, v10
	s_mul_i32 s11, s0, s3
	s_mul_hi_u32 s27, s0, s26
	s_add_i32 s11, s27, s11
	s_mul_i32 s1, s1, s26
	s_add_i32 s11, s11, s1
	s_mul_i32 s0, s0, s26
	s_mul_hi_u32 s27, s3, s0
	s_mul_i32 s28, s3, s0
	s_mul_i32 s30, s26, s11
	s_mul_hi_u32 s0, s26, s0
	s_mul_hi_u32 s29, s26, s11
	s_add_u32 s0, s0, s30
	s_addc_u32 s26, 0, s29
	s_add_u32 s0, s0, s28
	s_mul_hi_u32 s1, s3, s11
	s_addc_u32 s0, s26, s27
	s_addc_u32 s1, s1, 0
	s_mul_i32 s11, s3, s11
	s_add_u32 s0, s0, s11
	s_addc_u32 s1, 0, s1
	v_add_co_u32_e32 v10, vcc, s0, v10
	s_cmp_lg_u64 vcc, 0
	s_addc_u32 s3, s3, s1
	s_ashr_i32 s26, s19, 31
	s_add_u32 s0, s18, s26
	s_mov_b32 s27, s26
	s_addc_u32 s1, s19, s26
	s_xor_b64 s[28:29], s[0:1], s[26:27]
	v_readfirstlane_b32 s11, v10
	s_mul_i32 s1, s28, s3
	s_mul_hi_u32 s19, s28, s11
	s_mul_hi_u32 s0, s28, s3
	s_add_u32 s1, s19, s1
	s_addc_u32 s0, 0, s0
	s_mul_hi_u32 s30, s29, s11
	s_mul_i32 s11, s29, s11
	s_add_u32 s1, s1, s11
	s_mul_hi_u32 s19, s29, s3
	s_addc_u32 s0, s0, s30
	s_addc_u32 s1, s19, 0
	s_mul_i32 s3, s29, s3
	s_add_u32 s3, s0, s3
	s_addc_u32 s11, 0, s1
	s_mul_i32 s0, s24, s11
	s_mul_hi_u32 s1, s24, s3
	s_add_i32 s0, s1, s0
	s_mul_i32 s1, s25, s3
	s_add_i32 s19, s0, s1
	s_mul_i32 s1, s24, s3
	v_mov_b32_e32 v10, s1
	s_sub_i32 s0, s29, s19
	v_sub_co_u32_e32 v10, vcc, s28, v10
	s_cmp_lg_u64 vcc, 0
	s_subb_u32 s28, s0, s25
	v_subrev_co_u32_e64 v11, s[0:1], s24, v10
	s_cmp_lg_u64 s[0:1], 0
	s_subb_u32 s28, s28, 0
	s_cmp_ge_u32 s28, s25
	s_cselect_b32 s30, -1, 0
	v_cmp_le_u32_e64 s[0:1], s24, v11
	s_cmp_eq_u32 s28, s25
	v_cndmask_b32_e64 v11, 0, -1, s[0:1]
	v_mov_b32_e32 v16, s30
	s_cselect_b64 s[0:1], -1, 0
	v_cndmask_b32_e64 v11, v16, v11, s[0:1]
	s_add_u32 s0, s3, 1
	s_addc_u32 s28, s11, 0
	s_add_u32 s1, s3, 2
	s_addc_u32 s30, s11, 0
	v_mov_b32_e32 v16, s0
	v_mov_b32_e32 v17, s1
	v_cmp_ne_u32_e64 s[0:1], 0, v11
	v_cndmask_b32_e64 v11, v16, v17, s[0:1]
	v_mov_b32_e32 v16, s28
	v_mov_b32_e32 v17, s30
	s_cmp_lg_u64 vcc, 0
	v_cndmask_b32_e64 v16, v16, v17, s[0:1]
	s_subb_u32 s0, s29, s19
	s_cmp_ge_u32 s0, s25
	s_cselect_b32 s1, -1, 0
	v_cmp_le_u32_e32 vcc, s24, v10
	s_cmp_eq_u32 s0, s25
	v_cndmask_b32_e64 v10, 0, -1, vcc
	v_mov_b32_e32 v17, s1
	s_cselect_b64 vcc, -1, 0
	v_cndmask_b32_e32 v10, v17, v10, vcc
	v_mov_b32_e32 v17, s11
	v_cmp_ne_u32_e32 vcc, 0, v10
	v_cndmask_b32_e32 v10, v17, v16, vcc
	v_mov_b32_e32 v16, s3
	v_cndmask_b32_e32 v11, v16, v11, vcc
	s_xor_b64 s[0:1], s[26:27], s[22:23]
	v_xor_b32_e32 v11, s0, v11
	v_xor_b32_e32 v16, s1, v10
	v_mov_b32_e32 v17, s1
	v_subrev_co_u32_e32 v10, vcc, s0, v11
	v_subb_co_u32_e32 v11, vcc, v16, v17, vcc
	s_cbranch_execnz .LBB68_36
.LBB68_35:
	v_cvt_f32_u32_e32 v10, s2
	s_sub_i32 s0, 0, s2
	s_mov_b32 s1, 0
	v_rcp_iflag_f32_e32 v10, v10
	v_mul_f32_e32 v10, 0x4f7ffffe, v10
	v_cvt_u32_f32_e32 v10, v10
	v_readfirstlane_b32 s3, v10
	s_mul_i32 s0, s0, s3
	s_mul_hi_u32 s0, s3, s0
	s_add_i32 s3, s3, s0
	s_mul_hi_u32 s0, s18, s3
	s_mul_i32 s11, s0, s2
	s_sub_i32 s11, s18, s11
	s_add_i32 s3, s0, 1
	s_sub_i32 s18, s11, s2
	s_cmp_ge_u32 s11, s2
	s_cselect_b32 s0, s3, s0
	s_cselect_b32 s11, s18, s11
	s_add_i32 s3, s0, 1
	s_cmp_ge_u32 s11, s2
	s_cselect_b32 s0, s3, s0
	v_pk_mov_b32 v[10:11], s[0:1], s[0:1] op_sel:[0,1]
.LBB68_36:
	v_add_co_u32_e32 v10, vcc, v10, v15
	v_addc_co_u32_e32 v11, vcc, 0, v11, vcc
	s_branch .LBB68_39
.LBB68_37:
                                        ; implicit-def: $vgpr10_vgpr11
	s_cbranch_execz .LBB68_39
; %bb.38:
	v_mul_lo_u32 v10, v15, s8
	v_ashrrev_i32_e32 v11, 31, v10
	v_mov_b32_e32 v15, s7
	v_add_co_u32_e32 v10, vcc, s6, v10
	v_addc_co_u32_e32 v11, vcc, v11, v15, vcc
.LBB68_39:
	s_mov_b64 s[0:1], exec
.LBB68_40:
	s_or_b64 exec, exec, s[16:17]
	s_and_b64 vcc, exec, s[14:15]
	s_cbranch_vccz .LBB68_42
.LBB68_41:
	v_mov_b32_dpp v10, v13 quad_perm:[1,0,3,2] row_mask:0xf bank_mask:0xf
	v_cmp_gt_f32_e32 vcc, v13, v10
	v_cndmask_b32_e32 v10, v10, v13, vcc
	s_andn2_b64 s[0:1], s[0:1], exec
	s_nop 0
	v_mov_b32_dpp v11, v10 quad_perm:[2,3,0,1] row_mask:0xf bank_mask:0xf
	v_cmp_gt_f32_e32 vcc, v10, v11
	v_cndmask_b32_e32 v10, v11, v10, vcc
	s_nop 1
	v_mov_b32_dpp v11, v10 row_half_mirror row_mask:0xf bank_mask:0xf
	v_cmp_gt_f32_e32 vcc, v10, v11
	v_cndmask_b32_e32 v10, v11, v10, vcc
	s_nop 1
	v_mov_b32_dpp v11, v10 row_mirror row_mask:0xf bank_mask:0xf
	v_cmp_gt_f32_e32 vcc, v10, v11
	v_cndmask_b32_e32 v10, v11, v10, vcc
	s_nop 1
	v_mov_b32_dpp v11, v10 row_bcast:15 row_mask:0xf bank_mask:0xf
	v_cmp_gt_f32_e32 vcc, v10, v11
	v_cndmask_b32_e32 v10, v11, v10, vcc
	s_nop 1
	v_mov_b32_dpp v11, v10 row_bcast:31 row_mask:0xf bank_mask:0xf
	v_cmp_gt_f32_e32 vcc, v10, v11
	v_cndmask_b32_e32 v10, v11, v10, vcc
	ds_bpermute_b32 v10, v12, v10
	v_cmp_eq_u32_e32 vcc, 0, v0
	s_and_b64 s[2:3], vcc, exec
	s_or_b64 s[0:1], s[0:1], s[2:3]
	s_waitcnt lgkmcnt(0)
	v_mul_f32_e32 v14, 0x3b124925, v10
	v_pk_mov_b32 v[10:11], s[6:7], s[6:7] op_sel:[0,1]
.LBB68_42:
	s_and_saveexec_b64 s[2:3], s[0:1]
	s_cbranch_execz .LBB68_44
; %bb.43:
	v_lshlrev_b64 v[10:11], 2, v[10:11]
	v_mov_b32_e32 v0, s13
	v_add_co_u32_e32 v10, vcc, s12, v10
	v_addc_co_u32_e32 v11, vcc, v0, v11, vcc
	global_store_dword v[10:11], v14, off
.LBB68_44:
	s_or_b64 exec, exec, s[2:3]
	s_add_i32 s2, s9, 3
	s_load_dwordx2 s[0:1], s[4:5], 0x0
	s_ashr_i32 s3, s2, 31
	s_lshr_b32 s3, s3, 30
	;;#ASMSTART
	v_rcp_f32 v10, v14
	;;#ASMEND
	v_mov_b32_e32 v11, v10
	;;#ASMSTART
	v_pk_mul_f32 v[8:9], v[8:9], v[10:11]
	;;#ASMEND
	s_add_i32 s2, s2, s3
	s_ashr_i32 s3, s10, 31
	v_mov_b32_e32 v0, 0xc3e00000
	v_mov_b32_e32 v12, 0x43e00000
	;;#ASMSTART
	v_med3_f32 v8, v8, v0, v12
v_med3_f32 v9, v9, v0, v12
v_cvt_pk_fp8_f32 v13, v8, v9
	;;#ASMEND
	;;#ASMSTART
	v_pk_mul_f32 v[6:7], v[6:7], v[10:11]
	;;#ASMEND
	s_mul_hi_u32 s4, s10, s6
	s_mul_i32 s3, s3, s6
	;;#ASMSTART
	v_med3_f32 v6, v6, v0, v12
v_med3_f32 v7, v7, v0, v12
v_cvt_pk_fp8_f32 v8, v6, v7
	;;#ASMEND
	s_mov_b32 s5, 0x5040100
	s_and_b32 s2, s2, -4
	s_add_i32 s4, s4, s3
	s_mul_i32 s3, s10, s6
	v_perm_b32 v7, v8, v13, s5
	s_movk_i32 s5, 0xff
	s_waitcnt lgkmcnt(0)
	s_add_u32 s0, s0, s3
	v_and_b32_e32 v6, 0xffffff00, v8
	v_and_b32_sdwa v8, v7, s5 dst_sel:DWORD dst_unused:UNUSED_PAD src0_sel:WORD_1 src1_sel:DWORD
	s_addc_u32 s1, s1, s4
	s_mov_b32 s4, 0xffff
	v_or_b32_sdwa v6, v8, v6 dst_sel:WORD_1 dst_unused:UNUSED_PAD src0_sel:DWORD src1_sel:DWORD
	;;#ASMSTART
	v_pk_mul_f32 v[4:5], v[4:5], v[10:11]
	;;#ASMEND
	v_and_or_b32 v6, v7, s4, v6
	;;#ASMSTART
	v_med3_f32 v4, v4, v0, v12
v_med3_f32 v5, v5, v0, v12
v_cvt_pk_fp8_f32 v7, v4, v5
	;;#ASMEND
	;;#ASMSTART
	v_pk_mul_f32 v[2:3], v[2:3], v[10:11]
	;;#ASMEND
	;;#ASMSTART
	v_med3_f32 v2, v2, v0, v12
v_med3_f32 v3, v3, v0, v12
v_cvt_pk_fp8_f32 v0, v2, v3
	;;#ASMEND
	v_lshlrev_b32_e32 v0, 16, v0
	s_and_b32 s1, s1, 0xffff
	s_mov_b32 s3, 0x20000
	v_and_or_b32 v7, v7, s4, v0
	buffer_store_dwordx2 v[6:7], v1, s[0:3], 0 offen
	;;#ASMSTART
	s_nop 0
	;;#ASMEND
.LBB68_45:
	s_endpgm
.LBB68_46:
                                        ; implicit-def: $vgpr10_vgpr11
	s_branch .LBB68_35
	.section	.rodata,"a",@progbits
	.p2align	6, 0x0
	.amdhsa_kernel _ZN5aiter24add_rmsnorm_quant_kernelItDB8_Li64ELi8ELb0ELb1ELb0ELi1EEEvPT0_PT_PfS5_S5_S5_diiiiiiib
		.amdhsa_group_segment_fixed_size 0
		.amdhsa_private_segment_fixed_size 0
		.amdhsa_kernarg_size 88
		.amdhsa_user_sgpr_count 6
		.amdhsa_user_sgpr_private_segment_buffer 1
		.amdhsa_user_sgpr_dispatch_ptr 0
		.amdhsa_user_sgpr_queue_ptr 0
		.amdhsa_user_sgpr_kernarg_segment_ptr 1
		.amdhsa_user_sgpr_dispatch_id 0
		.amdhsa_user_sgpr_flat_scratch_init 0
		.amdhsa_user_sgpr_kernarg_preload_length 0
		.amdhsa_user_sgpr_kernarg_preload_offset 0
		.amdhsa_user_sgpr_private_segment_size 0
		.amdhsa_uses_dynamic_stack 0
		.amdhsa_system_sgpr_private_segment_wavefront_offset 0
		.amdhsa_system_sgpr_workgroup_id_x 1
		.amdhsa_system_sgpr_workgroup_id_y 0
		.amdhsa_system_sgpr_workgroup_id_z 0
		.amdhsa_system_sgpr_workgroup_info 0
		.amdhsa_system_vgpr_workitem_id 0
		.amdhsa_next_free_vgpr 28
		.amdhsa_next_free_sgpr 31
		.amdhsa_accum_offset 28
		.amdhsa_reserve_vcc 1
		.amdhsa_reserve_flat_scratch 0
		.amdhsa_float_round_mode_32 0
		.amdhsa_float_round_mode_16_64 0
		.amdhsa_float_denorm_mode_32 3
		.amdhsa_float_denorm_mode_16_64 3
		.amdhsa_dx10_clamp 1
		.amdhsa_ieee_mode 1
		.amdhsa_fp16_overflow 0
		.amdhsa_tg_split 0
		.amdhsa_exception_fp_ieee_invalid_op 0
		.amdhsa_exception_fp_denorm_src 0
		.amdhsa_exception_fp_ieee_div_zero 0
		.amdhsa_exception_fp_ieee_overflow 0
		.amdhsa_exception_fp_ieee_underflow 0
		.amdhsa_exception_fp_ieee_inexact 0
		.amdhsa_exception_int_div_zero 0
	.end_amdhsa_kernel
	.section	.text._ZN5aiter24add_rmsnorm_quant_kernelItDB8_Li64ELi8ELb0ELb1ELb0ELi1EEEvPT0_PT_PfS5_S5_S5_diiiiiiib,"axG",@progbits,_ZN5aiter24add_rmsnorm_quant_kernelItDB8_Li64ELi8ELb0ELb1ELb0ELi1EEEvPT0_PT_PfS5_S5_S5_diiiiiiib,comdat
.Lfunc_end68:
	.size	_ZN5aiter24add_rmsnorm_quant_kernelItDB8_Li64ELi8ELb0ELb1ELb0ELi1EEEvPT0_PT_PfS5_S5_S5_diiiiiiib, .Lfunc_end68-_ZN5aiter24add_rmsnorm_quant_kernelItDB8_Li64ELi8ELb0ELb1ELb0ELi1EEEvPT0_PT_PfS5_S5_S5_diiiiiiib
                                        ; -- End function
	.section	.AMDGPU.csdata,"",@progbits
; Kernel info:
; codeLenInByte = 2992
; NumSgprs: 35
; NumVgprs: 28
; NumAgprs: 0
; TotalNumVgprs: 28
; ScratchSize: 0
; MemoryBound: 0
; FloatMode: 240
; IeeeMode: 1
; LDSByteSize: 0 bytes/workgroup (compile time only)
; SGPRBlocks: 4
; VGPRBlocks: 3
; NumSGPRsForWavesPerEU: 35
; NumVGPRsForWavesPerEU: 28
; AccumOffset: 28
; Occupancy: 8
; WaveLimiterHint : 0
; COMPUTE_PGM_RSRC2:SCRATCH_EN: 0
; COMPUTE_PGM_RSRC2:USER_SGPR: 6
; COMPUTE_PGM_RSRC2:TRAP_HANDLER: 0
; COMPUTE_PGM_RSRC2:TGID_X_EN: 1
; COMPUTE_PGM_RSRC2:TGID_Y_EN: 0
; COMPUTE_PGM_RSRC2:TGID_Z_EN: 0
; COMPUTE_PGM_RSRC2:TIDIG_COMP_CNT: 0
; COMPUTE_PGM_RSRC3_GFX90A:ACCUM_OFFSET: 6
; COMPUTE_PGM_RSRC3_GFX90A:TG_SPLIT: 0
	.section	.text._ZN5aiter24add_rmsnorm_quant_kernelIDF16_DB8_Li128ELi8ELb0ELb1ELb1ELi1EEEvPT0_PT_PfS5_S5_S5_diiiiiiib,"axG",@progbits,_ZN5aiter24add_rmsnorm_quant_kernelIDF16_DB8_Li128ELi8ELb0ELb1ELb1ELi1EEEvPT0_PT_PfS5_S5_S5_diiiiiiib,comdat
	.protected	_ZN5aiter24add_rmsnorm_quant_kernelIDF16_DB8_Li128ELi8ELb0ELb1ELb1ELi1EEEvPT0_PT_PfS5_S5_S5_diiiiiiib ; -- Begin function _ZN5aiter24add_rmsnorm_quant_kernelIDF16_DB8_Li128ELi8ELb0ELb1ELb1ELi1EEEvPT0_PT_PfS5_S5_S5_diiiiiiib
	.globl	_ZN5aiter24add_rmsnorm_quant_kernelIDF16_DB8_Li128ELi8ELb0ELb1ELb1ELi1EEEvPT0_PT_PfS5_S5_S5_diiiiiiib
	.p2align	8
	.type	_ZN5aiter24add_rmsnorm_quant_kernelIDF16_DB8_Li128ELi8ELb0ELb1ELb1ELi1EEEvPT0_PT_PfS5_S5_S5_diiiiiiib,@function
_ZN5aiter24add_rmsnorm_quant_kernelIDF16_DB8_Li128ELi8ELb0ELb1ELb1ELi1EEEvPT0_PT_PfS5_S5_S5_diiiiiiib: ; @_ZN5aiter24add_rmsnorm_quant_kernelIDF16_DB8_Li128ELi8ELb0ELb1ELb1ELi1EEEvPT0_PT_PfS5_S5_S5_diiiiiiib
; %bb.0:
	s_load_dwordx4 s[8:11], s[4:5], 0x38
	s_mov_b32 s7, 0
	s_waitcnt lgkmcnt(0)
	s_ashr_i32 s0, s8, 31
	v_mov_b32_e32 v2, s8
	v_mov_b32_e32 v3, s0
	v_cmp_ge_i64_e32 vcc, s[6:7], v[2:3]
	s_cbranch_vccnz .LBB69_49
; %bb.1:
	s_load_dwordx4 s[12:15], s[4:5], 0x10
	s_load_dwordx4 s[0:3], s[4:5], 0x28
	s_ashr_i32 s11, s10, 31
	s_mul_hi_u32 s16, s10, s6
	s_mul_i32 s11, s11, s6
	s_add_i32 s11, s16, s11
	s_mul_i32 s10, s10, s6
	s_lshl_b64 s[10:11], s[10:11], 1
	s_waitcnt lgkmcnt(0)
	s_add_u32 s16, s14, s10
	s_addc_u32 s10, s15, s11
	s_add_i32 s11, s9, 1
	s_lshr_b32 s14, s11, 31
	s_add_i32 s11, s11, s14
	s_lshl_b32 s11, s11, 1
	s_and_b32 s18, s11, -4
	s_and_b32 s17, s10, 0xffff
	s_mov_b32 s19, 0x20000
	v_lshlrev_b32_e32 v1, 4, v0
	buffer_load_dwordx4 v[14:17], v1, s[16:19], 0 offen glc slc
	s_mov_b32 s16, s0
	s_and_b32 s17, s1, 0xffff
	buffer_load_dwordx4 v[2:5], v1, s[16:19], 0 offen
	v_and_b32_e32 v22, 63, v0
	v_cmp_eq_u32_e64 s[0:1], 63, v22
	s_waitcnt vmcnt(1)
	v_cvt_f32_f16_e32 v12, v14
	v_cvt_f32_f16_sdwa v13, v14 dst_sel:DWORD dst_unused:UNUSED_PAD src0_sel:WORD_1
	v_cvt_f32_f16_e32 v10, v15
	v_cvt_f32_f16_sdwa v11, v15 dst_sel:DWORD dst_unused:UNUSED_PAD src0_sel:WORD_1
	;; [unrolled: 2-line block ×3, first 2 shown]
	v_pk_mul_f32 v[14:15], v[12:13], v[12:13]
	v_cvt_f32_f16_e32 v6, v17
	v_cvt_f32_f16_sdwa v7, v17 dst_sel:DWORD dst_unused:UNUSED_PAD src0_sel:WORD_1
	v_pk_mul_f32 v[16:17], v[10:11], v[10:11]
	v_add_f32_e32 v1, v14, v15
	v_add_f32_e32 v1, v16, v1
	v_pk_mul_f32 v[18:19], v[8:9], v[8:9]
	v_add_f32_e32 v1, v17, v1
	v_add_f32_e32 v1, v18, v1
	;; [unrolled: 3-line block ×3, first 2 shown]
	v_add_f32_e32 v1, v21, v1
	s_nop 1
	v_mov_b32_dpp v14, v1 quad_perm:[1,0,3,2] row_mask:0xf bank_mask:0xf
	v_add_f32_e32 v1, v1, v14
	s_nop 1
	v_mov_b32_dpp v14, v1 quad_perm:[2,3,0,1] row_mask:0xf bank_mask:0xf
	v_add_f32_e32 v1, v1, v14
	s_nop 1
	v_mov_b32_dpp v14, v1 row_half_mirror row_mask:0xf bank_mask:0xf
	v_add_f32_e32 v1, v1, v14
	s_nop 1
	v_mov_b32_dpp v14, v1 row_mirror row_mask:0xf bank_mask:0xf
	v_add_f32_e32 v1, v1, v14
	s_nop 1
	v_mov_b32_dpp v14, v1 row_bcast:15 row_mask:0xf bank_mask:0xf
	v_add_f32_e32 v1, v1, v14
	s_nop 1
	v_mov_b32_dpp v14, v1 row_bcast:31 row_mask:0xf bank_mask:0xf
	s_and_saveexec_b64 s[10:11], s[0:1]
	s_cbranch_execz .LBB69_3
; %bb.2:
	v_lshrrev_b32_e32 v15, 4, v0
	v_and_b32_e32 v15, 60, v15
	v_add_f32_e32 v1, v1, v14
	ds_write_b32 v15, v1 offset:8
.LBB69_3:
	s_or_b64 exec, exec, s[10:11]
	v_and_b32_e32 v1, 1, v0
	v_lshlrev_b32_e32 v14, 2, v1
	s_waitcnt lgkmcnt(0)
	s_barrier
	ds_read_b32 v1, v14 offset:8
	v_cvt_f32_i32_e32 v15, s9
	s_waitcnt vmcnt(0)
	v_cvt_f32_f16_sdwa v21, v3 dst_sel:DWORD dst_unused:UNUSED_PAD src0_sel:WORD_1
	v_cvt_f32_f16_sdwa v23, v5 dst_sel:DWORD dst_unused:UNUSED_PAD src0_sel:WORD_1
	v_cvt_f32_f16_e32 v22, v5
	s_waitcnt lgkmcnt(0)
	v_mov_b32_dpp v16, v1 quad_perm:[1,0,3,2] row_mask:0xf bank_mask:0xf
	v_add_f32_e32 v1, v1, v16
	v_div_scale_f32 v16, s[10:11], v15, v15, v1
	v_rcp_f32_e32 v17, v16
	v_div_scale_f32 v18, vcc, v1, v15, v1
	s_load_dwordx2 s[10:11], s[4:5], 0x4c
	s_load_dword s14, s[4:5], 0x54
	v_fma_f32 v19, -v16, v17, 1.0
	v_fmac_f32_e32 v17, v19, v17
	v_mul_f32_e32 v19, v18, v17
	v_fma_f32 v20, -v16, v19, v18
	v_fmac_f32_e32 v19, v20, v17
	v_fma_f32 v16, -v16, v19, v18
	v_div_fmas_f32 v16, v16, v17, v19
	v_div_fixup_f32 v1, v16, v15, v1
	v_cvt_f64_f32_e32 v[16:17], v1
	v_add_f64 v[16:17], v[16:17], s[2:3]
	v_cvt_f32_f64_e32 v1, v[16:17]
	s_mov_b32 s2, 0x800000
	v_mul_f32_e32 v15, 0x4b800000, v1
	v_cmp_gt_f32_e32 vcc, s2, v1
	v_cndmask_b32_e32 v1, v1, v15, vcc
	v_rsq_f32_e32 v15, v1
	v_cvt_f32_f16_e32 v20, v3
	v_cvt_f32_f16_sdwa v3, v4 dst_sel:DWORD dst_unused:UNUSED_PAD src0_sel:WORD_1
	v_lshlrev_b32_e32 v1, 3, v0
	v_mul_f32_e32 v16, 0x45800000, v15
	v_cndmask_b32_e32 v16, v15, v16, vcc
	v_mov_b32_e32 v17, v16
	;;#ASMSTART
	v_pk_mul_f32 v[12:13], v[12:13], v[16:17]
	;;#ASMEND
	;;#ASMSTART
	v_pk_mul_f32 v[10:11], v[10:11], v[16:17]
	;;#ASMEND
	;; [unrolled: 3-line block ×4, first 2 shown]
	v_cvt_f32_f16_sdwa v7, v2 dst_sel:DWORD dst_unused:UNUSED_PAD src0_sel:WORD_1
	v_cvt_f32_f16_e32 v6, v2
	v_cvt_f32_f16_e32 v2, v4
	;;#ASMSTART
	v_pk_mul_f32 v[8:9], v[12:13], v[6:7]
	;;#ASMEND
	;;#ASMSTART
	v_pk_mul_f32 v[6:7], v[10:11], v[20:21]
	;;#ASMEND
	v_and_b32_e32 v10, 0x7fffffff, v8
	v_mov_b32_e32 v12, 0x2edbe6ff
	;;#ASMSTART
	v_pk_mul_f32 v[4:5], v[18:19], v[2:3]
	;;#ASMEND
	;;#ASMSTART
	v_pk_mul_f32 v[2:3], v[16:17], v[22:23]
	;;#ASMEND
	v_and_b32_e32 v11, 0x7fffffff, v9
	;;#ASMSTART
	v_max3_f32 v10, v12, v10, v11

	;;#ASMEND
	v_and_b32_e32 v12, 0x7fffffff, v7
	v_and_b32_e32 v11, 0x7fffffff, v6
	;;#ASMSTART
	v_max3_f32 v10, v10, v11, v12

	;;#ASMEND
	v_and_b32_e32 v12, 0x7fffffff, v5
	;; [unrolled: 6-line block ×3, first 2 shown]
	s_waitcnt lgkmcnt(0)
	s_cmp_lg_u32 s11, 0
	v_and_b32_e32 v11, 0x7fffffff, v2
	;;#ASMSTART
	v_max3_f32 v12, v10, v11, v12

	;;#ASMEND
	s_cbranch_scc0 .LBB69_10
; %bb.4:
	s_ashr_i32 s15, s11, 31
	s_lshr_b32 s2, s15, 29
	s_add_i32 s2, s11, s2
	s_ashr_i32 s18, s2, 3
	s_cmp_lt_i32 s18, 16
	s_cbranch_scc1 .LBB69_11
; %bb.5:
	s_cmp_lt_i32 s18, 32
	s_cbranch_scc1 .LBB69_12
; %bb.6:
	;; [unrolled: 3-line block ×3, first 2 shown]
	s_cmp_eq_u32 s18, 64
	v_mov_b32_e32 v10, v12
	s_cbranch_scc0 .LBB69_9
; %bb.8:
	s_nop 0
	v_mov_b32_dpp v10, v12 quad_perm:[1,0,3,2] row_mask:0xf bank_mask:0xf
	v_cmp_gt_f32_e32 vcc, v12, v10
	v_cndmask_b32_e32 v10, v10, v12, vcc
	v_bfrev_b32_e32 v13, 0.5
	s_nop 0
	v_mov_b32_dpp v11, v10 quad_perm:[2,3,0,1] row_mask:0xf bank_mask:0xf
	v_cmp_gt_f32_e32 vcc, v10, v11
	v_cndmask_b32_e32 v10, v11, v10, vcc
	s_nop 1
	v_mov_b32_dpp v11, v10 row_ror:4 row_mask:0xf bank_mask:0xf
	v_cmp_gt_f32_e32 vcc, v10, v11
	v_cndmask_b32_e32 v10, v11, v10, vcc
	s_nop 1
	v_mov_b32_dpp v11, v10 row_ror:8 row_mask:0xf bank_mask:0xf
	v_cmp_gt_f32_e32 vcc, v10, v11
	v_cndmask_b32_e32 v10, v11, v10, vcc
	s_nop 1
	v_mov_b32_dpp v11, v10 row_bcast:15 row_mask:0xf bank_mask:0xf
	v_cmp_gt_f32_e32 vcc, v10, v11
	v_cndmask_b32_e32 v10, v11, v10, vcc
	s_nop 1
	v_mov_b32_dpp v11, v10 row_bcast:31 row_mask:0xf bank_mask:0xf
	v_cmp_gt_f32_e32 vcc, v10, v11
	v_cndmask_b32_e32 v10, v11, v10, vcc
	v_mbcnt_lo_u32_b32 v11, -1, 0
	v_mbcnt_hi_u32_b32 v11, -1, v11
	v_lshl_or_b32 v11, v11, 2, v13
	ds_bpermute_b32 v10, v11, v10
.LBB69_9:
	s_mov_b64 s[2:3], 0
	s_branch .LBB69_14
.LBB69_10:
	s_mov_b64 s[2:3], 0
                                        ; implicit-def: $vgpr13
                                        ; implicit-def: $vgpr10_vgpr11
	s_cbranch_execnz .LBB69_43
	s_branch .LBB69_46
.LBB69_11:
                                        ; implicit-def: $vgpr10
	s_branch .LBB69_21
.LBB69_12:
                                        ; implicit-def: $vgpr10
	s_branch .LBB69_18
.LBB69_13:
	s_mov_b64 s[2:3], -1
                                        ; implicit-def: $vgpr10
.LBB69_14:
	s_andn2_b64 vcc, exec, s[2:3]
	s_cbranch_vccnz .LBB69_17
; %bb.15:
	s_cmp_eq_u32 s18, 32
	s_waitcnt lgkmcnt(0)
	v_mov_b32_e32 v10, v12
	s_cbranch_scc0 .LBB69_17
; %bb.16:
	s_nop 0
	v_mov_b32_dpp v10, v12 quad_perm:[1,0,3,2] row_mask:0xf bank_mask:0xf
	v_cmp_gt_f32_e32 vcc, v12, v10
	v_cndmask_b32_e32 v10, v10, v12, vcc
	v_mov_b32_e32 v13, 0x7c
	s_nop 0
	v_mov_b32_dpp v11, v10 quad_perm:[2,3,0,1] row_mask:0xf bank_mask:0xf
	v_cmp_gt_f32_e32 vcc, v10, v11
	v_cndmask_b32_e32 v10, v11, v10, vcc
	s_nop 1
	v_mov_b32_dpp v11, v10 row_half_mirror row_mask:0xf bank_mask:0xf
	v_cmp_gt_f32_e32 vcc, v10, v11
	v_cndmask_b32_e32 v10, v11, v10, vcc
	s_nop 1
	v_mov_b32_dpp v11, v10 row_mirror row_mask:0xf bank_mask:0xf
	v_cmp_gt_f32_e32 vcc, v10, v11
	v_cndmask_b32_e32 v10, v11, v10, vcc
	s_nop 1
	v_mov_b32_dpp v11, v10 row_bcast:15 row_mask:0xa bank_mask:0xf
	v_cmp_gt_f32_e32 vcc, v10, v11
	v_cndmask_b32_e32 v10, v11, v10, vcc
	v_mbcnt_lo_u32_b32 v11, -1, 0
	v_mbcnt_hi_u32_b32 v11, -1, v11
	v_lshl_or_b32 v11, v11, 2, v13
	ds_bpermute_b32 v10, v11, v10
.LBB69_17:
	s_cbranch_execnz .LBB69_20
.LBB69_18:
	s_cmp_eq_u32 s18, 16
	s_waitcnt lgkmcnt(0)
	v_mov_b32_e32 v10, v12
	s_cbranch_scc0 .LBB69_20
; %bb.19:
	s_nop 0
	v_mov_b32_dpp v10, v12 quad_perm:[1,0,3,2] row_mask:0xf bank_mask:0xf
	v_cmp_gt_f32_e32 vcc, v12, v10
	v_cndmask_b32_e32 v10, v10, v12, vcc
	s_nop 1
	v_mov_b32_dpp v11, v10 quad_perm:[2,3,0,1] row_mask:0xf bank_mask:0xf
	v_cmp_gt_f32_e32 vcc, v10, v11
	v_cndmask_b32_e32 v10, v11, v10, vcc
	s_nop 1
	v_mov_b32_dpp v11, v10 row_half_mirror row_mask:0xf bank_mask:0xf
	v_cmp_gt_f32_e32 vcc, v10, v11
	v_cndmask_b32_e32 v10, v11, v10, vcc
	s_nop 1
	v_mov_b32_dpp v11, v10 row_mirror row_mask:0xf bank_mask:0xf
	v_cmp_gt_f32_e32 vcc, v10, v11
	v_cndmask_b32_e32 v10, v11, v10, vcc
.LBB69_20:
	s_cbranch_execnz .LBB69_33
.LBB69_21:
	s_cmp_lt_i32 s18, 4
	s_cbranch_scc1 .LBB69_25
; %bb.22:
	s_cmp_lt_i32 s18, 8
	s_cbranch_scc1 .LBB69_26
; %bb.23:
	s_cmp_eq_u32 s18, 8
	s_waitcnt lgkmcnt(0)
	v_mov_b32_e32 v10, v12
	s_cbranch_scc0 .LBB69_27
; %bb.24:
	s_nop 0
	v_mov_b32_dpp v10, v12 quad_perm:[1,0,3,2] row_mask:0xf bank_mask:0xf
	v_cmp_gt_f32_e32 vcc, v12, v10
	v_cndmask_b32_e32 v10, v10, v12, vcc
	s_nop 1
	v_mov_b32_dpp v11, v10 quad_perm:[2,3,0,1] row_mask:0xf bank_mask:0xf
	v_cmp_gt_f32_e32 vcc, v10, v11
	v_cndmask_b32_e32 v10, v11, v10, vcc
	s_nop 1
	v_mov_b32_dpp v11, v10 row_half_mirror row_mask:0xf bank_mask:0xf
	v_cmp_gt_f32_e32 vcc, v10, v11
	v_cndmask_b32_e32 v10, v11, v10, vcc
	s_cbranch_execz .LBB69_28
	s_branch .LBB69_30
.LBB69_25:
                                        ; implicit-def: $vgpr10
	s_branch .LBB69_31
.LBB69_26:
                                        ; implicit-def: $vgpr10
	s_branch .LBB69_28
.LBB69_27:
	s_cbranch_execnz .LBB69_30
.LBB69_28:
	s_cmp_eq_u32 s18, 4
	s_waitcnt lgkmcnt(0)
	v_mov_b32_e32 v10, v12
	s_cbranch_scc0 .LBB69_30
; %bb.29:
	s_nop 0
	v_mov_b32_dpp v10, v12 quad_perm:[1,0,3,2] row_mask:0xf bank_mask:0xf
	v_cmp_gt_f32_e32 vcc, v12, v10
	v_cndmask_b32_e32 v10, v10, v12, vcc
	s_nop 1
	v_mov_b32_dpp v11, v10 quad_perm:[2,3,0,1] row_mask:0xf bank_mask:0xf
	v_cmp_gt_f32_e32 vcc, v10, v11
	v_cndmask_b32_e32 v10, v11, v10, vcc
.LBB69_30:
	s_cbranch_execnz .LBB69_33
.LBB69_31:
	s_cmp_lg_u32 s18, 2
	s_waitcnt lgkmcnt(0)
	v_mov_b32_e32 v10, v12
	s_cbranch_scc1 .LBB69_33
; %bb.32:
	s_nop 0
	v_mov_b32_dpp v10, v12 quad_perm:[1,0,3,2] row_mask:0xf bank_mask:0xf
	v_cmp_gt_f32_e32 vcc, v12, v10
	v_cndmask_b32_e32 v10, v10, v12, vcc
.LBB69_33:
	v_cvt_f32_u32_e32 v11, s18
	s_waitcnt lgkmcnt(0)
	v_mul_f32_e32 v13, 0x3b124925, v10
	s_sub_i32 s2, 0, s18
	v_cmp_gt_u32_e32 vcc, s9, v1
	v_rcp_iflag_f32_e32 v11, v11
	s_mov_b64 s[16:17], 0
	v_mul_f32_e32 v10, 0x4f7ffffe, v11
	v_cvt_u32_f32_e32 v10, v10
	v_mul_lo_u32 v11, s2, v10
	v_mul_hi_u32 v11, v10, v11
	v_add_u32_e32 v10, v10, v11
	v_mul_hi_u32 v10, v0, v10
	v_mul_lo_u32 v11, v10, s18
	v_sub_u32_e32 v11, v0, v11
	v_add_u32_e32 v15, 1, v10
	v_cmp_le_u32_e64 s[2:3], s18, v11
	v_cndmask_b32_e64 v10, v10, v15, s[2:3]
	v_subrev_u32_e32 v15, s18, v11
	v_cndmask_b32_e64 v11, v11, v15, s[2:3]
	v_add_u32_e32 v15, 1, v10
	v_cmp_le_u32_e64 s[2:3], s18, v11
	v_cndmask_b32_e64 v15, v10, v15, s[2:3]
	v_mul_lo_u32 v10, v15, s18
	v_sub_u32_e32 v10, v0, v10
	v_cmp_eq_u32_e64 s[2:3], 0, v10
	s_and_b64 s[18:19], s[2:3], vcc
	s_mov_b64 s[2:3], 0
                                        ; implicit-def: $vgpr10_vgpr11
	s_and_saveexec_b64 s[20:21], s[18:19]
	s_xor_b64 s[18:19], exec, s[20:21]
	s_cbranch_execz .LBB69_42
; %bb.34:
	s_bitcmp0_b32 s14, 0
	s_cbranch_scc0 .LBB69_39
; %bb.35:
	s_ashr_i32 s2, s9, 31
	s_mul_hi_u32 s3, s9, s6
	s_mul_i32 s2, s2, s6
	s_add_i32 s21, s3, s2
	s_mul_i32 s20, s9, s6
	s_mov_b32 s14, s11
	s_or_b64 s[2:3], s[20:21], s[14:15]
	s_mov_b32 s2, 0
	s_cmp_lg_u64 s[2:3], 0
	s_cbranch_scc0 .LBB69_50
; %bb.36:
	s_add_u32 s2, s14, s15
	s_mov_b32 s24, s15
	s_mov_b32 s25, s15
	s_addc_u32 s3, s15, s15
	s_xor_b64 s[26:27], s[2:3], s[24:25]
	v_cvt_f32_u32_e32 v10, s26
	v_cvt_f32_u32_e32 v11, s27
	s_sub_u32 s2, 0, s26
	s_subb_u32 s3, 0, s27
	v_madmk_f32 v10, v11, 0x4f800000, v10
	v_rcp_f32_e32 v10, v10
	v_mul_f32_e32 v10, 0x5f7ffffc, v10
	v_mul_f32_e32 v11, 0x2f800000, v10
	v_trunc_f32_e32 v11, v11
	v_madmk_f32 v10, v11, 0xcf800000, v10
	v_cvt_u32_f32_e32 v11, v11
	v_cvt_u32_f32_e32 v10, v10
	v_readfirstlane_b32 s11, v11
	v_readfirstlane_b32 s15, v10
	s_mul_i32 s28, s2, s11
	s_mul_hi_u32 s30, s2, s15
	s_mul_i32 s29, s3, s15
	s_add_i32 s28, s30, s28
	s_add_i32 s28, s28, s29
	s_mul_i32 s31, s2, s15
	s_mul_hi_u32 s29, s15, s28
	s_mul_i32 s30, s15, s28
	s_mul_hi_u32 s15, s15, s31
	s_add_u32 s15, s15, s30
	s_addc_u32 s29, 0, s29
	s_mul_hi_u32 s33, s11, s31
	s_mul_i32 s31, s11, s31
	s_add_u32 s15, s15, s31
	s_mul_hi_u32 s30, s11, s28
	s_addc_u32 s15, s29, s33
	s_addc_u32 s29, s30, 0
	s_mul_i32 s28, s11, s28
	s_add_u32 s15, s15, s28
	s_addc_u32 s28, 0, s29
	v_add_co_u32_e32 v10, vcc, s15, v10
	s_cmp_lg_u64 vcc, 0
	s_addc_u32 s11, s11, s28
	v_readfirstlane_b32 s28, v10
	s_mul_i32 s15, s2, s11
	s_mul_hi_u32 s29, s2, s28
	s_add_i32 s15, s29, s15
	s_mul_i32 s3, s3, s28
	s_add_i32 s15, s15, s3
	s_mul_i32 s2, s2, s28
	s_mul_hi_u32 s29, s11, s2
	s_mul_i32 s30, s11, s2
	s_mul_i32 s33, s28, s15
	s_mul_hi_u32 s2, s28, s2
	s_mul_hi_u32 s31, s28, s15
	s_add_u32 s2, s2, s33
	s_addc_u32 s28, 0, s31
	s_add_u32 s2, s2, s30
	s_mul_hi_u32 s3, s11, s15
	s_addc_u32 s2, s28, s29
	s_addc_u32 s3, s3, 0
	s_mul_i32 s15, s11, s15
	s_add_u32 s2, s2, s15
	s_addc_u32 s3, 0, s3
	v_add_co_u32_e32 v10, vcc, s2, v10
	s_cmp_lg_u64 vcc, 0
	s_addc_u32 s11, s11, s3
	s_ashr_i32 s28, s21, 31
	s_add_u32 s2, s20, s28
	s_mov_b32 s29, s28
	s_addc_u32 s3, s21, s28
	s_xor_b64 s[30:31], s[2:3], s[28:29]
	v_readfirstlane_b32 s15, v10
	s_mul_i32 s3, s30, s11
	s_mul_hi_u32 s21, s30, s15
	s_mul_hi_u32 s2, s30, s11
	s_add_u32 s3, s21, s3
	s_addc_u32 s2, 0, s2
	s_mul_hi_u32 s33, s31, s15
	s_mul_i32 s15, s31, s15
	s_add_u32 s3, s3, s15
	s_mul_hi_u32 s21, s31, s11
	s_addc_u32 s2, s2, s33
	s_addc_u32 s3, s21, 0
	s_mul_i32 s11, s31, s11
	s_add_u32 s11, s2, s11
	s_addc_u32 s15, 0, s3
	s_mul_i32 s2, s26, s15
	s_mul_hi_u32 s3, s26, s11
	s_add_i32 s2, s3, s2
	s_mul_i32 s3, s27, s11
	s_add_i32 s21, s2, s3
	s_mul_i32 s3, s26, s11
	v_mov_b32_e32 v10, s3
	s_sub_i32 s2, s31, s21
	v_sub_co_u32_e32 v10, vcc, s30, v10
	s_cmp_lg_u64 vcc, 0
	s_subb_u32 s30, s2, s27
	v_subrev_co_u32_e64 v11, s[2:3], s26, v10
	s_cmp_lg_u64 s[2:3], 0
	s_subb_u32 s30, s30, 0
	s_cmp_ge_u32 s30, s27
	s_cselect_b32 s33, -1, 0
	v_cmp_le_u32_e64 s[2:3], s26, v11
	s_cmp_eq_u32 s30, s27
	v_cndmask_b32_e64 v11, 0, -1, s[2:3]
	v_mov_b32_e32 v16, s33
	s_cselect_b64 s[2:3], -1, 0
	v_cndmask_b32_e64 v11, v16, v11, s[2:3]
	s_add_u32 s2, s11, 1
	s_addc_u32 s30, s15, 0
	s_add_u32 s3, s11, 2
	s_addc_u32 s33, s15, 0
	v_mov_b32_e32 v16, s2
	v_mov_b32_e32 v17, s3
	v_cmp_ne_u32_e64 s[2:3], 0, v11
	v_cndmask_b32_e64 v11, v16, v17, s[2:3]
	v_mov_b32_e32 v16, s30
	v_mov_b32_e32 v17, s33
	s_cmp_lg_u64 vcc, 0
	v_cndmask_b32_e64 v16, v16, v17, s[2:3]
	s_subb_u32 s2, s31, s21
	s_cmp_ge_u32 s2, s27
	s_cselect_b32 s3, -1, 0
	v_cmp_le_u32_e32 vcc, s26, v10
	s_cmp_eq_u32 s2, s27
	v_cndmask_b32_e64 v10, 0, -1, vcc
	v_mov_b32_e32 v17, s3
	s_cselect_b64 vcc, -1, 0
	v_cndmask_b32_e32 v10, v17, v10, vcc
	v_mov_b32_e32 v17, s15
	v_cmp_ne_u32_e32 vcc, 0, v10
	v_cndmask_b32_e32 v10, v17, v16, vcc
	v_mov_b32_e32 v16, s11
	v_cndmask_b32_e32 v11, v16, v11, vcc
	s_xor_b64 s[2:3], s[28:29], s[24:25]
	v_xor_b32_e32 v11, s2, v11
	v_xor_b32_e32 v16, s3, v10
	v_mov_b32_e32 v17, s3
	v_subrev_co_u32_e32 v10, vcc, s2, v11
	v_subb_co_u32_e32 v11, vcc, v16, v17, vcc
	s_cbranch_execnz .LBB69_38
.LBB69_37:
	v_cvt_f32_u32_e32 v10, s14
	s_sub_i32 s2, 0, s14
	s_mov_b32 s3, 0
	v_rcp_iflag_f32_e32 v10, v10
	v_mul_f32_e32 v10, 0x4f7ffffe, v10
	v_cvt_u32_f32_e32 v10, v10
	v_readfirstlane_b32 s11, v10
	s_mul_i32 s2, s2, s11
	s_mul_hi_u32 s2, s11, s2
	s_add_i32 s11, s11, s2
	s_mul_hi_u32 s2, s20, s11
	s_mul_i32 s15, s2, s14
	s_sub_i32 s15, s20, s15
	s_add_i32 s11, s2, 1
	s_sub_i32 s20, s15, s14
	s_cmp_ge_u32 s15, s14
	s_cselect_b32 s2, s11, s2
	s_cselect_b32 s15, s20, s15
	s_add_i32 s11, s2, 1
	s_cmp_ge_u32 s15, s14
	s_cselect_b32 s2, s11, s2
	v_pk_mov_b32 v[10:11], s[2:3], s[2:3] op_sel:[0,1]
.LBB69_38:
	v_add_co_u32_e32 v10, vcc, v10, v15
	v_addc_co_u32_e32 v11, vcc, 0, v11, vcc
	s_branch .LBB69_41
.LBB69_39:
                                        ; implicit-def: $vgpr10_vgpr11
	s_cbranch_execz .LBB69_41
; %bb.40:
	v_mul_lo_u32 v10, v15, s8
	v_ashrrev_i32_e32 v11, 31, v10
	v_mov_b32_e32 v15, s7
	v_add_co_u32_e32 v10, vcc, s6, v10
	v_addc_co_u32_e32 v11, vcc, v11, v15, vcc
.LBB69_41:
	s_mov_b64 s[2:3], exec
.LBB69_42:
	s_or_b64 exec, exec, s[18:19]
	s_and_b64 vcc, exec, s[16:17]
	s_cbranch_vccz .LBB69_46
.LBB69_43:
	v_mov_b32_dpp v10, v12 quad_perm:[1,0,3,2] row_mask:0xf bank_mask:0xf
	v_cmp_gt_f32_e32 vcc, v12, v10
	v_cndmask_b32_e32 v10, v10, v12, vcc
	s_nop 1
	v_mov_b32_dpp v11, v10 quad_perm:[2,3,0,1] row_mask:0xf bank_mask:0xf
	v_cmp_gt_f32_e32 vcc, v10, v11
	v_cndmask_b32_e32 v10, v11, v10, vcc
	s_nop 1
	v_mov_b32_dpp v11, v10 row_half_mirror row_mask:0xf bank_mask:0xf
	v_cmp_gt_f32_e32 vcc, v10, v11
	v_cndmask_b32_e32 v10, v11, v10, vcc
	s_nop 1
	v_mov_b32_dpp v11, v10 row_mirror row_mask:0xf bank_mask:0xf
	v_cmp_gt_f32_e32 vcc, v10, v11
	v_cndmask_b32_e32 v10, v11, v10, vcc
	s_nop 1
	v_mov_b32_dpp v11, v10 row_bcast:15 row_mask:0xf bank_mask:0xf
	v_cmp_gt_f32_e32 vcc, v10, v11
	v_cndmask_b32_e32 v10, v11, v10, vcc
	s_nop 1
	v_mov_b32_dpp v11, v10 row_bcast:31 row_mask:0xf bank_mask:0xf
	s_and_saveexec_b64 s[2:3], s[0:1]
	s_cbranch_execz .LBB69_45
; %bb.44:
	v_lshrrev_b32_e32 v12, 4, v0
	v_cmp_gt_f32_e32 vcc, v10, v11
	v_and_b32_e32 v12, 60, v12
	v_cndmask_b32_e32 v10, v11, v10, vcc
	ds_write_b32 v12, v10
.LBB69_45:
	s_or_b64 exec, exec, s[2:3]
	s_waitcnt lgkmcnt(0)
	s_barrier
	ds_read_b32 v10, v14
	v_cmp_eq_u32_e64 s[2:3], 0, v0
	s_waitcnt lgkmcnt(0)
	v_mov_b32_dpp v11, v10 quad_perm:[1,0,3,2] row_mask:0xf bank_mask:0xf
	v_cmp_gt_f32_e32 vcc, v10, v11
	v_cndmask_b32_e32 v10, v11, v10, vcc
	v_mul_f32_e32 v13, 0x3b124925, v10
	v_pk_mov_b32 v[10:11], s[6:7], s[6:7] op_sel:[0,1]
.LBB69_46:
	s_and_saveexec_b64 s[0:1], s[2:3]
	s_cbranch_execz .LBB69_48
; %bb.47:
	v_lshlrev_b64 v[10:11], 2, v[10:11]
	v_mov_b32_e32 v0, s13
	v_add_co_u32_e32 v10, vcc, s12, v10
	v_addc_co_u32_e32 v11, vcc, v0, v11, vcc
	global_store_dword v[10:11], v13, off
.LBB69_48:
	s_or_b64 exec, exec, s[0:1]
	s_add_i32 s2, s9, 3
	s_load_dwordx2 s[0:1], s[4:5], 0x0
	s_ashr_i32 s3, s2, 31
	s_lshr_b32 s3, s3, 30
	;;#ASMSTART
	v_rcp_f32 v10, v13
	;;#ASMEND
	v_mov_b32_e32 v11, v10
	;;#ASMSTART
	v_pk_mul_f32 v[8:9], v[8:9], v[10:11]
	;;#ASMEND
	s_add_i32 s2, s2, s3
	s_ashr_i32 s3, s10, 31
	v_mov_b32_e32 v0, 0xc3e00000
	v_mov_b32_e32 v12, 0x43e00000
	;;#ASMSTART
	v_med3_f32 v8, v8, v0, v12
v_med3_f32 v9, v9, v0, v12
v_cvt_pk_fp8_f32 v13, v8, v9
	;;#ASMEND
	;;#ASMSTART
	v_pk_mul_f32 v[6:7], v[6:7], v[10:11]
	;;#ASMEND
	s_mul_hi_u32 s4, s10, s6
	s_mul_i32 s3, s3, s6
	;;#ASMSTART
	v_med3_f32 v6, v6, v0, v12
v_med3_f32 v7, v7, v0, v12
v_cvt_pk_fp8_f32 v8, v6, v7
	;;#ASMEND
	s_mov_b32 s5, 0x5040100
	s_and_b32 s2, s2, -4
	s_add_i32 s4, s4, s3
	s_mul_i32 s3, s10, s6
	v_perm_b32 v7, v8, v13, s5
	s_movk_i32 s5, 0xff
	s_waitcnt lgkmcnt(0)
	s_add_u32 s0, s0, s3
	v_and_b32_e32 v6, 0xffffff00, v8
	v_and_b32_sdwa v8, v7, s5 dst_sel:DWORD dst_unused:UNUSED_PAD src0_sel:WORD_1 src1_sel:DWORD
	s_addc_u32 s1, s1, s4
	s_mov_b32 s4, 0xffff
	v_or_b32_sdwa v6, v8, v6 dst_sel:WORD_1 dst_unused:UNUSED_PAD src0_sel:DWORD src1_sel:DWORD
	;;#ASMSTART
	v_pk_mul_f32 v[4:5], v[4:5], v[10:11]
	;;#ASMEND
	v_and_or_b32 v6, v7, s4, v6
	;;#ASMSTART
	v_med3_f32 v4, v4, v0, v12
v_med3_f32 v5, v5, v0, v12
v_cvt_pk_fp8_f32 v7, v4, v5
	;;#ASMEND
	;;#ASMSTART
	v_pk_mul_f32 v[2:3], v[2:3], v[10:11]
	;;#ASMEND
	;;#ASMSTART
	v_med3_f32 v2, v2, v0, v12
v_med3_f32 v3, v3, v0, v12
v_cvt_pk_fp8_f32 v0, v2, v3
	;;#ASMEND
	v_lshlrev_b32_e32 v0, 16, v0
	s_and_b32 s1, s1, 0xffff
	s_mov_b32 s3, 0x20000
	v_and_or_b32 v7, v7, s4, v0
	buffer_store_dwordx2 v[6:7], v1, s[0:3], 0 offen
	;;#ASMSTART
	s_nop 0
	;;#ASMEND
.LBB69_49:
	s_endpgm
.LBB69_50:
                                        ; implicit-def: $vgpr10_vgpr11
	s_branch .LBB69_37
	.section	.rodata,"a",@progbits
	.p2align	6, 0x0
	.amdhsa_kernel _ZN5aiter24add_rmsnorm_quant_kernelIDF16_DB8_Li128ELi8ELb0ELb1ELb1ELi1EEEvPT0_PT_PfS5_S5_S5_diiiiiiib
		.amdhsa_group_segment_fixed_size 16
		.amdhsa_private_segment_fixed_size 0
		.amdhsa_kernarg_size 88
		.amdhsa_user_sgpr_count 6
		.amdhsa_user_sgpr_private_segment_buffer 1
		.amdhsa_user_sgpr_dispatch_ptr 0
		.amdhsa_user_sgpr_queue_ptr 0
		.amdhsa_user_sgpr_kernarg_segment_ptr 1
		.amdhsa_user_sgpr_dispatch_id 0
		.amdhsa_user_sgpr_flat_scratch_init 0
		.amdhsa_user_sgpr_kernarg_preload_length 0
		.amdhsa_user_sgpr_kernarg_preload_offset 0
		.amdhsa_user_sgpr_private_segment_size 0
		.amdhsa_uses_dynamic_stack 0
		.amdhsa_system_sgpr_private_segment_wavefront_offset 0
		.amdhsa_system_sgpr_workgroup_id_x 1
		.amdhsa_system_sgpr_workgroup_id_y 0
		.amdhsa_system_sgpr_workgroup_id_z 0
		.amdhsa_system_sgpr_workgroup_info 0
		.amdhsa_system_vgpr_workitem_id 0
		.amdhsa_next_free_vgpr 24
		.amdhsa_next_free_sgpr 34
		.amdhsa_accum_offset 24
		.amdhsa_reserve_vcc 1
		.amdhsa_reserve_flat_scratch 0
		.amdhsa_float_round_mode_32 0
		.amdhsa_float_round_mode_16_64 0
		.amdhsa_float_denorm_mode_32 3
		.amdhsa_float_denorm_mode_16_64 3
		.amdhsa_dx10_clamp 1
		.amdhsa_ieee_mode 1
		.amdhsa_fp16_overflow 0
		.amdhsa_tg_split 0
		.amdhsa_exception_fp_ieee_invalid_op 0
		.amdhsa_exception_fp_denorm_src 0
		.amdhsa_exception_fp_ieee_div_zero 0
		.amdhsa_exception_fp_ieee_overflow 0
		.amdhsa_exception_fp_ieee_underflow 0
		.amdhsa_exception_fp_ieee_inexact 0
		.amdhsa_exception_int_div_zero 0
	.end_amdhsa_kernel
	.section	.text._ZN5aiter24add_rmsnorm_quant_kernelIDF16_DB8_Li128ELi8ELb0ELb1ELb1ELi1EEEvPT0_PT_PfS5_S5_S5_diiiiiiib,"axG",@progbits,_ZN5aiter24add_rmsnorm_quant_kernelIDF16_DB8_Li128ELi8ELb0ELb1ELb1ELi1EEEvPT0_PT_PfS5_S5_S5_diiiiiiib,comdat
.Lfunc_end69:
	.size	_ZN5aiter24add_rmsnorm_quant_kernelIDF16_DB8_Li128ELi8ELb0ELb1ELb1ELi1EEEvPT0_PT_PfS5_S5_S5_diiiiiiib, .Lfunc_end69-_ZN5aiter24add_rmsnorm_quant_kernelIDF16_DB8_Li128ELi8ELb0ELb1ELb1ELi1EEEvPT0_PT_PfS5_S5_S5_diiiiiiib
                                        ; -- End function
	.section	.AMDGPU.csdata,"",@progbits
; Kernel info:
; codeLenInByte = 3116
; NumSgprs: 38
; NumVgprs: 24
; NumAgprs: 0
; TotalNumVgprs: 24
; ScratchSize: 0
; MemoryBound: 0
; FloatMode: 240
; IeeeMode: 1
; LDSByteSize: 16 bytes/workgroup (compile time only)
; SGPRBlocks: 4
; VGPRBlocks: 2
; NumSGPRsForWavesPerEU: 38
; NumVGPRsForWavesPerEU: 24
; AccumOffset: 24
; Occupancy: 8
; WaveLimiterHint : 0
; COMPUTE_PGM_RSRC2:SCRATCH_EN: 0
; COMPUTE_PGM_RSRC2:USER_SGPR: 6
; COMPUTE_PGM_RSRC2:TRAP_HANDLER: 0
; COMPUTE_PGM_RSRC2:TGID_X_EN: 1
; COMPUTE_PGM_RSRC2:TGID_Y_EN: 0
; COMPUTE_PGM_RSRC2:TGID_Z_EN: 0
; COMPUTE_PGM_RSRC2:TIDIG_COMP_CNT: 0
; COMPUTE_PGM_RSRC3_GFX90A:ACCUM_OFFSET: 5
; COMPUTE_PGM_RSRC3_GFX90A:TG_SPLIT: 0
	.section	.text._ZN5aiter24add_rmsnorm_quant_kernelItDB8_Li128ELi8ELb0ELb1ELb1ELi1EEEvPT0_PT_PfS5_S5_S5_diiiiiiib,"axG",@progbits,_ZN5aiter24add_rmsnorm_quant_kernelItDB8_Li128ELi8ELb0ELb1ELb1ELi1EEEvPT0_PT_PfS5_S5_S5_diiiiiiib,comdat
	.protected	_ZN5aiter24add_rmsnorm_quant_kernelItDB8_Li128ELi8ELb0ELb1ELb1ELi1EEEvPT0_PT_PfS5_S5_S5_diiiiiiib ; -- Begin function _ZN5aiter24add_rmsnorm_quant_kernelItDB8_Li128ELi8ELb0ELb1ELb1ELi1EEEvPT0_PT_PfS5_S5_S5_diiiiiiib
	.globl	_ZN5aiter24add_rmsnorm_quant_kernelItDB8_Li128ELi8ELb0ELb1ELb1ELi1EEEvPT0_PT_PfS5_S5_S5_diiiiiiib
	.p2align	8
	.type	_ZN5aiter24add_rmsnorm_quant_kernelItDB8_Li128ELi8ELb0ELb1ELb1ELi1EEEvPT0_PT_PfS5_S5_S5_diiiiiiib,@function
_ZN5aiter24add_rmsnorm_quant_kernelItDB8_Li128ELi8ELb0ELb1ELb1ELi1EEEvPT0_PT_PfS5_S5_S5_diiiiiiib: ; @_ZN5aiter24add_rmsnorm_quant_kernelItDB8_Li128ELi8ELb0ELb1ELb1ELi1EEEvPT0_PT_PfS5_S5_S5_diiiiiiib
; %bb.0:
	s_load_dwordx4 s[8:11], s[4:5], 0x38
	s_mov_b32 s7, 0
	s_waitcnt lgkmcnt(0)
	s_ashr_i32 s0, s8, 31
	v_mov_b32_e32 v2, s8
	v_mov_b32_e32 v3, s0
	v_cmp_ge_i64_e32 vcc, s[6:7], v[2:3]
	s_cbranch_vccnz .LBB70_49
; %bb.1:
	s_load_dwordx4 s[12:15], s[4:5], 0x10
	s_load_dwordx4 s[0:3], s[4:5], 0x28
	s_ashr_i32 s11, s10, 31
	s_mul_hi_u32 s16, s10, s6
	s_mul_i32 s11, s11, s6
	s_add_i32 s11, s16, s11
	s_mul_i32 s10, s10, s6
	s_lshl_b64 s[10:11], s[10:11], 1
	s_waitcnt lgkmcnt(0)
	s_add_u32 s16, s14, s10
	s_addc_u32 s10, s15, s11
	s_add_i32 s11, s9, 1
	s_lshr_b32 s14, s11, 31
	s_add_i32 s11, s11, s14
	s_lshl_b32 s11, s11, 1
	s_and_b32 s18, s11, -4
	s_and_b32 s17, s10, 0xffff
	s_mov_b32 s19, 0x20000
	v_lshlrev_b32_e32 v1, 4, v0
	buffer_load_dwordx4 v[14:17], v1, s[16:19], 0 offen glc slc
	s_mov_b32 s16, s0
	s_and_b32 s17, s1, 0xffff
	buffer_load_dwordx4 v[2:5], v1, s[16:19], 0 offen
	v_and_b32_e32 v22, 63, v0
	v_cmp_eq_u32_e64 s[0:1], 63, v22
	s_waitcnt vmcnt(1)
	v_cvt_f32_u32_sdwa v13, v14 dst_sel:DWORD dst_unused:UNUSED_PAD src0_sel:WORD_1
	v_cvt_f32_u32_sdwa v12, v14 dst_sel:DWORD dst_unused:UNUSED_PAD src0_sel:WORD_0
	v_cvt_f32_u32_sdwa v11, v15 dst_sel:DWORD dst_unused:UNUSED_PAD src0_sel:WORD_1
	v_cvt_f32_u32_sdwa v10, v15 dst_sel:DWORD dst_unused:UNUSED_PAD src0_sel:WORD_0
	;; [unrolled: 2-line block ×3, first 2 shown]
	v_pk_mul_f32 v[14:15], v[12:13], v[12:13]
	v_cvt_f32_u32_sdwa v7, v17 dst_sel:DWORD dst_unused:UNUSED_PAD src0_sel:WORD_1
	v_cvt_f32_u32_sdwa v6, v17 dst_sel:DWORD dst_unused:UNUSED_PAD src0_sel:WORD_0
	v_pk_mul_f32 v[16:17], v[10:11], v[10:11]
	v_add_f32_e32 v1, v14, v15
	v_add_f32_e32 v1, v16, v1
	v_pk_mul_f32 v[18:19], v[8:9], v[8:9]
	v_add_f32_e32 v1, v17, v1
	v_add_f32_e32 v1, v18, v1
	;; [unrolled: 3-line block ×3, first 2 shown]
	v_add_f32_e32 v1, v21, v1
	s_nop 1
	v_mov_b32_dpp v14, v1 quad_perm:[1,0,3,2] row_mask:0xf bank_mask:0xf
	v_add_f32_e32 v1, v1, v14
	s_nop 1
	v_mov_b32_dpp v14, v1 quad_perm:[2,3,0,1] row_mask:0xf bank_mask:0xf
	v_add_f32_e32 v1, v1, v14
	s_nop 1
	v_mov_b32_dpp v14, v1 row_half_mirror row_mask:0xf bank_mask:0xf
	v_add_f32_e32 v1, v1, v14
	s_nop 1
	v_mov_b32_dpp v14, v1 row_mirror row_mask:0xf bank_mask:0xf
	v_add_f32_e32 v1, v1, v14
	s_nop 1
	v_mov_b32_dpp v14, v1 row_bcast:15 row_mask:0xf bank_mask:0xf
	v_add_f32_e32 v1, v1, v14
	s_nop 1
	v_mov_b32_dpp v14, v1 row_bcast:31 row_mask:0xf bank_mask:0xf
	s_and_saveexec_b64 s[10:11], s[0:1]
	s_cbranch_execz .LBB70_3
; %bb.2:
	v_lshrrev_b32_e32 v15, 4, v0
	v_and_b32_e32 v15, 60, v15
	v_add_f32_e32 v1, v1, v14
	ds_write_b32 v15, v1 offset:8
.LBB70_3:
	s_or_b64 exec, exec, s[10:11]
	v_and_b32_e32 v1, 1, v0
	v_lshlrev_b32_e32 v14, 2, v1
	s_waitcnt lgkmcnt(0)
	s_barrier
	ds_read_b32 v1, v14 offset:8
	v_cvt_f32_i32_e32 v15, s9
	s_waitcnt vmcnt(0)
	v_cvt_f32_u32_sdwa v21, v3 dst_sel:DWORD dst_unused:UNUSED_PAD src0_sel:WORD_1
	v_cvt_f32_u32_sdwa v23, v5 dst_sel:DWORD dst_unused:UNUSED_PAD src0_sel:WORD_1
	v_cvt_f32_u32_sdwa v22, v5 dst_sel:DWORD dst_unused:UNUSED_PAD src0_sel:WORD_0
	s_waitcnt lgkmcnt(0)
	v_mov_b32_dpp v16, v1 quad_perm:[1,0,3,2] row_mask:0xf bank_mask:0xf
	v_add_f32_e32 v1, v1, v16
	v_div_scale_f32 v16, s[10:11], v15, v15, v1
	v_rcp_f32_e32 v17, v16
	v_div_scale_f32 v18, vcc, v1, v15, v1
	s_load_dwordx2 s[10:11], s[4:5], 0x4c
	s_load_dword s14, s[4:5], 0x54
	v_fma_f32 v19, -v16, v17, 1.0
	v_fmac_f32_e32 v17, v19, v17
	v_mul_f32_e32 v19, v18, v17
	v_fma_f32 v20, -v16, v19, v18
	v_fmac_f32_e32 v19, v20, v17
	v_fma_f32 v16, -v16, v19, v18
	v_div_fmas_f32 v16, v16, v17, v19
	v_div_fixup_f32 v1, v16, v15, v1
	v_cvt_f64_f32_e32 v[16:17], v1
	v_add_f64 v[16:17], v[16:17], s[2:3]
	v_cvt_f32_f64_e32 v1, v[16:17]
	s_mov_b32 s2, 0x800000
	v_mul_f32_e32 v15, 0x4b800000, v1
	v_cmp_gt_f32_e32 vcc, s2, v1
	v_cndmask_b32_e32 v1, v1, v15, vcc
	v_rsq_f32_e32 v15, v1
	v_cvt_f32_u32_sdwa v20, v3 dst_sel:DWORD dst_unused:UNUSED_PAD src0_sel:WORD_0
	v_cvt_f32_u32_sdwa v3, v4 dst_sel:DWORD dst_unused:UNUSED_PAD src0_sel:WORD_1
	v_lshlrev_b32_e32 v1, 3, v0
	v_mul_f32_e32 v16, 0x45800000, v15
	v_cndmask_b32_e32 v16, v15, v16, vcc
	v_mov_b32_e32 v17, v16
	;;#ASMSTART
	v_pk_mul_f32 v[12:13], v[12:13], v[16:17]
	;;#ASMEND
	;;#ASMSTART
	v_pk_mul_f32 v[10:11], v[10:11], v[16:17]
	;;#ASMEND
	;; [unrolled: 3-line block ×4, first 2 shown]
	v_cvt_f32_u32_sdwa v7, v2 dst_sel:DWORD dst_unused:UNUSED_PAD src0_sel:WORD_1
	v_cvt_f32_u32_sdwa v6, v2 dst_sel:DWORD dst_unused:UNUSED_PAD src0_sel:WORD_0
	v_cvt_f32_u32_sdwa v2, v4 dst_sel:DWORD dst_unused:UNUSED_PAD src0_sel:WORD_0
	;;#ASMSTART
	v_pk_mul_f32 v[8:9], v[12:13], v[6:7]
	;;#ASMEND
	;;#ASMSTART
	v_pk_mul_f32 v[6:7], v[10:11], v[20:21]
	;;#ASMEND
	v_and_b32_e32 v10, 0x7fffffff, v8
	v_mov_b32_e32 v12, 0x2edbe6ff
	;;#ASMSTART
	v_pk_mul_f32 v[4:5], v[18:19], v[2:3]
	;;#ASMEND
	;;#ASMSTART
	v_pk_mul_f32 v[2:3], v[16:17], v[22:23]
	;;#ASMEND
	v_and_b32_e32 v11, 0x7fffffff, v9
	;;#ASMSTART
	v_max3_f32 v10, v12, v10, v11

	;;#ASMEND
	v_and_b32_e32 v12, 0x7fffffff, v7
	v_and_b32_e32 v11, 0x7fffffff, v6
	;;#ASMSTART
	v_max3_f32 v10, v10, v11, v12

	;;#ASMEND
	v_and_b32_e32 v12, 0x7fffffff, v5
	v_and_b32_e32 v11, 0x7fffffff, v4
	;;#ASMSTART
	v_max3_f32 v10, v10, v11, v12

	;;#ASMEND
	v_and_b32_e32 v12, 0x7fffffff, v3
	s_waitcnt lgkmcnt(0)
	s_cmp_lg_u32 s11, 0
	v_and_b32_e32 v11, 0x7fffffff, v2
	;;#ASMSTART
	v_max3_f32 v12, v10, v11, v12

	;;#ASMEND
	s_cbranch_scc0 .LBB70_10
; %bb.4:
	s_ashr_i32 s15, s11, 31
	s_lshr_b32 s2, s15, 29
	s_add_i32 s2, s11, s2
	s_ashr_i32 s18, s2, 3
	s_cmp_lt_i32 s18, 16
	s_cbranch_scc1 .LBB70_11
; %bb.5:
	s_cmp_lt_i32 s18, 32
	s_cbranch_scc1 .LBB70_12
; %bb.6:
	;; [unrolled: 3-line block ×3, first 2 shown]
	s_cmp_eq_u32 s18, 64
	v_mov_b32_e32 v10, v12
	s_cbranch_scc0 .LBB70_9
; %bb.8:
	s_nop 0
	v_mov_b32_dpp v10, v12 quad_perm:[1,0,3,2] row_mask:0xf bank_mask:0xf
	v_cmp_gt_f32_e32 vcc, v12, v10
	v_cndmask_b32_e32 v10, v10, v12, vcc
	v_bfrev_b32_e32 v13, 0.5
	s_nop 0
	v_mov_b32_dpp v11, v10 quad_perm:[2,3,0,1] row_mask:0xf bank_mask:0xf
	v_cmp_gt_f32_e32 vcc, v10, v11
	v_cndmask_b32_e32 v10, v11, v10, vcc
	s_nop 1
	v_mov_b32_dpp v11, v10 row_ror:4 row_mask:0xf bank_mask:0xf
	v_cmp_gt_f32_e32 vcc, v10, v11
	v_cndmask_b32_e32 v10, v11, v10, vcc
	s_nop 1
	v_mov_b32_dpp v11, v10 row_ror:8 row_mask:0xf bank_mask:0xf
	v_cmp_gt_f32_e32 vcc, v10, v11
	v_cndmask_b32_e32 v10, v11, v10, vcc
	s_nop 1
	v_mov_b32_dpp v11, v10 row_bcast:15 row_mask:0xf bank_mask:0xf
	v_cmp_gt_f32_e32 vcc, v10, v11
	v_cndmask_b32_e32 v10, v11, v10, vcc
	s_nop 1
	v_mov_b32_dpp v11, v10 row_bcast:31 row_mask:0xf bank_mask:0xf
	v_cmp_gt_f32_e32 vcc, v10, v11
	v_cndmask_b32_e32 v10, v11, v10, vcc
	v_mbcnt_lo_u32_b32 v11, -1, 0
	v_mbcnt_hi_u32_b32 v11, -1, v11
	v_lshl_or_b32 v11, v11, 2, v13
	ds_bpermute_b32 v10, v11, v10
.LBB70_9:
	s_mov_b64 s[2:3], 0
	s_branch .LBB70_14
.LBB70_10:
	s_mov_b64 s[2:3], 0
                                        ; implicit-def: $vgpr13
                                        ; implicit-def: $vgpr10_vgpr11
	s_cbranch_execnz .LBB70_43
	s_branch .LBB70_46
.LBB70_11:
                                        ; implicit-def: $vgpr10
	s_branch .LBB70_21
.LBB70_12:
                                        ; implicit-def: $vgpr10
	s_branch .LBB70_18
.LBB70_13:
	s_mov_b64 s[2:3], -1
                                        ; implicit-def: $vgpr10
.LBB70_14:
	s_andn2_b64 vcc, exec, s[2:3]
	s_cbranch_vccnz .LBB70_17
; %bb.15:
	s_cmp_eq_u32 s18, 32
	s_waitcnt lgkmcnt(0)
	v_mov_b32_e32 v10, v12
	s_cbranch_scc0 .LBB70_17
; %bb.16:
	s_nop 0
	v_mov_b32_dpp v10, v12 quad_perm:[1,0,3,2] row_mask:0xf bank_mask:0xf
	v_cmp_gt_f32_e32 vcc, v12, v10
	v_cndmask_b32_e32 v10, v10, v12, vcc
	v_mov_b32_e32 v13, 0x7c
	s_nop 0
	v_mov_b32_dpp v11, v10 quad_perm:[2,3,0,1] row_mask:0xf bank_mask:0xf
	v_cmp_gt_f32_e32 vcc, v10, v11
	v_cndmask_b32_e32 v10, v11, v10, vcc
	s_nop 1
	v_mov_b32_dpp v11, v10 row_half_mirror row_mask:0xf bank_mask:0xf
	v_cmp_gt_f32_e32 vcc, v10, v11
	v_cndmask_b32_e32 v10, v11, v10, vcc
	s_nop 1
	v_mov_b32_dpp v11, v10 row_mirror row_mask:0xf bank_mask:0xf
	v_cmp_gt_f32_e32 vcc, v10, v11
	v_cndmask_b32_e32 v10, v11, v10, vcc
	s_nop 1
	v_mov_b32_dpp v11, v10 row_bcast:15 row_mask:0xa bank_mask:0xf
	v_cmp_gt_f32_e32 vcc, v10, v11
	v_cndmask_b32_e32 v10, v11, v10, vcc
	v_mbcnt_lo_u32_b32 v11, -1, 0
	v_mbcnt_hi_u32_b32 v11, -1, v11
	v_lshl_or_b32 v11, v11, 2, v13
	ds_bpermute_b32 v10, v11, v10
.LBB70_17:
	s_cbranch_execnz .LBB70_20
.LBB70_18:
	s_cmp_eq_u32 s18, 16
	s_waitcnt lgkmcnt(0)
	v_mov_b32_e32 v10, v12
	s_cbranch_scc0 .LBB70_20
; %bb.19:
	s_nop 0
	v_mov_b32_dpp v10, v12 quad_perm:[1,0,3,2] row_mask:0xf bank_mask:0xf
	v_cmp_gt_f32_e32 vcc, v12, v10
	v_cndmask_b32_e32 v10, v10, v12, vcc
	s_nop 1
	v_mov_b32_dpp v11, v10 quad_perm:[2,3,0,1] row_mask:0xf bank_mask:0xf
	v_cmp_gt_f32_e32 vcc, v10, v11
	v_cndmask_b32_e32 v10, v11, v10, vcc
	s_nop 1
	v_mov_b32_dpp v11, v10 row_half_mirror row_mask:0xf bank_mask:0xf
	v_cmp_gt_f32_e32 vcc, v10, v11
	v_cndmask_b32_e32 v10, v11, v10, vcc
	s_nop 1
	v_mov_b32_dpp v11, v10 row_mirror row_mask:0xf bank_mask:0xf
	v_cmp_gt_f32_e32 vcc, v10, v11
	v_cndmask_b32_e32 v10, v11, v10, vcc
.LBB70_20:
	s_cbranch_execnz .LBB70_33
.LBB70_21:
	s_cmp_lt_i32 s18, 4
	s_cbranch_scc1 .LBB70_25
; %bb.22:
	s_cmp_lt_i32 s18, 8
	s_cbranch_scc1 .LBB70_26
; %bb.23:
	s_cmp_eq_u32 s18, 8
	s_waitcnt lgkmcnt(0)
	v_mov_b32_e32 v10, v12
	s_cbranch_scc0 .LBB70_27
; %bb.24:
	s_nop 0
	v_mov_b32_dpp v10, v12 quad_perm:[1,0,3,2] row_mask:0xf bank_mask:0xf
	v_cmp_gt_f32_e32 vcc, v12, v10
	v_cndmask_b32_e32 v10, v10, v12, vcc
	s_nop 1
	v_mov_b32_dpp v11, v10 quad_perm:[2,3,0,1] row_mask:0xf bank_mask:0xf
	v_cmp_gt_f32_e32 vcc, v10, v11
	v_cndmask_b32_e32 v10, v11, v10, vcc
	s_nop 1
	v_mov_b32_dpp v11, v10 row_half_mirror row_mask:0xf bank_mask:0xf
	v_cmp_gt_f32_e32 vcc, v10, v11
	v_cndmask_b32_e32 v10, v11, v10, vcc
	s_cbranch_execz .LBB70_28
	s_branch .LBB70_30
.LBB70_25:
                                        ; implicit-def: $vgpr10
	s_branch .LBB70_31
.LBB70_26:
                                        ; implicit-def: $vgpr10
	s_branch .LBB70_28
.LBB70_27:
	s_cbranch_execnz .LBB70_30
.LBB70_28:
	s_cmp_eq_u32 s18, 4
	s_waitcnt lgkmcnt(0)
	v_mov_b32_e32 v10, v12
	s_cbranch_scc0 .LBB70_30
; %bb.29:
	s_nop 0
	v_mov_b32_dpp v10, v12 quad_perm:[1,0,3,2] row_mask:0xf bank_mask:0xf
	v_cmp_gt_f32_e32 vcc, v12, v10
	v_cndmask_b32_e32 v10, v10, v12, vcc
	s_nop 1
	v_mov_b32_dpp v11, v10 quad_perm:[2,3,0,1] row_mask:0xf bank_mask:0xf
	v_cmp_gt_f32_e32 vcc, v10, v11
	v_cndmask_b32_e32 v10, v11, v10, vcc
.LBB70_30:
	s_cbranch_execnz .LBB70_33
.LBB70_31:
	s_cmp_lg_u32 s18, 2
	s_waitcnt lgkmcnt(0)
	v_mov_b32_e32 v10, v12
	s_cbranch_scc1 .LBB70_33
; %bb.32:
	s_nop 0
	v_mov_b32_dpp v10, v12 quad_perm:[1,0,3,2] row_mask:0xf bank_mask:0xf
	v_cmp_gt_f32_e32 vcc, v12, v10
	v_cndmask_b32_e32 v10, v10, v12, vcc
.LBB70_33:
	v_cvt_f32_u32_e32 v11, s18
	s_waitcnt lgkmcnt(0)
	v_mul_f32_e32 v13, 0x3b124925, v10
	s_sub_i32 s2, 0, s18
	v_cmp_gt_u32_e32 vcc, s9, v1
	v_rcp_iflag_f32_e32 v11, v11
	s_mov_b64 s[16:17], 0
	v_mul_f32_e32 v10, 0x4f7ffffe, v11
	v_cvt_u32_f32_e32 v10, v10
	v_mul_lo_u32 v11, s2, v10
	v_mul_hi_u32 v11, v10, v11
	v_add_u32_e32 v10, v10, v11
	v_mul_hi_u32 v10, v0, v10
	v_mul_lo_u32 v11, v10, s18
	v_sub_u32_e32 v11, v0, v11
	v_add_u32_e32 v15, 1, v10
	v_cmp_le_u32_e64 s[2:3], s18, v11
	v_cndmask_b32_e64 v10, v10, v15, s[2:3]
	v_subrev_u32_e32 v15, s18, v11
	v_cndmask_b32_e64 v11, v11, v15, s[2:3]
	v_add_u32_e32 v15, 1, v10
	v_cmp_le_u32_e64 s[2:3], s18, v11
	v_cndmask_b32_e64 v15, v10, v15, s[2:3]
	v_mul_lo_u32 v10, v15, s18
	v_sub_u32_e32 v10, v0, v10
	v_cmp_eq_u32_e64 s[2:3], 0, v10
	s_and_b64 s[18:19], s[2:3], vcc
	s_mov_b64 s[2:3], 0
                                        ; implicit-def: $vgpr10_vgpr11
	s_and_saveexec_b64 s[20:21], s[18:19]
	s_xor_b64 s[18:19], exec, s[20:21]
	s_cbranch_execz .LBB70_42
; %bb.34:
	s_bitcmp0_b32 s14, 0
	s_cbranch_scc0 .LBB70_39
; %bb.35:
	s_ashr_i32 s2, s9, 31
	s_mul_hi_u32 s3, s9, s6
	s_mul_i32 s2, s2, s6
	s_add_i32 s21, s3, s2
	s_mul_i32 s20, s9, s6
	s_mov_b32 s14, s11
	s_or_b64 s[2:3], s[20:21], s[14:15]
	s_mov_b32 s2, 0
	s_cmp_lg_u64 s[2:3], 0
	s_cbranch_scc0 .LBB70_50
; %bb.36:
	s_add_u32 s2, s14, s15
	s_mov_b32 s24, s15
	s_mov_b32 s25, s15
	s_addc_u32 s3, s15, s15
	s_xor_b64 s[26:27], s[2:3], s[24:25]
	v_cvt_f32_u32_e32 v10, s26
	v_cvt_f32_u32_e32 v11, s27
	s_sub_u32 s2, 0, s26
	s_subb_u32 s3, 0, s27
	v_madmk_f32 v10, v11, 0x4f800000, v10
	v_rcp_f32_e32 v10, v10
	v_mul_f32_e32 v10, 0x5f7ffffc, v10
	v_mul_f32_e32 v11, 0x2f800000, v10
	v_trunc_f32_e32 v11, v11
	v_madmk_f32 v10, v11, 0xcf800000, v10
	v_cvt_u32_f32_e32 v11, v11
	v_cvt_u32_f32_e32 v10, v10
	v_readfirstlane_b32 s11, v11
	v_readfirstlane_b32 s15, v10
	s_mul_i32 s28, s2, s11
	s_mul_hi_u32 s30, s2, s15
	s_mul_i32 s29, s3, s15
	s_add_i32 s28, s30, s28
	s_add_i32 s28, s28, s29
	s_mul_i32 s31, s2, s15
	s_mul_hi_u32 s29, s15, s28
	s_mul_i32 s30, s15, s28
	s_mul_hi_u32 s15, s15, s31
	s_add_u32 s15, s15, s30
	s_addc_u32 s29, 0, s29
	s_mul_hi_u32 s33, s11, s31
	s_mul_i32 s31, s11, s31
	s_add_u32 s15, s15, s31
	s_mul_hi_u32 s30, s11, s28
	s_addc_u32 s15, s29, s33
	s_addc_u32 s29, s30, 0
	s_mul_i32 s28, s11, s28
	s_add_u32 s15, s15, s28
	s_addc_u32 s28, 0, s29
	v_add_co_u32_e32 v10, vcc, s15, v10
	s_cmp_lg_u64 vcc, 0
	s_addc_u32 s11, s11, s28
	v_readfirstlane_b32 s28, v10
	s_mul_i32 s15, s2, s11
	s_mul_hi_u32 s29, s2, s28
	s_add_i32 s15, s29, s15
	s_mul_i32 s3, s3, s28
	s_add_i32 s15, s15, s3
	s_mul_i32 s2, s2, s28
	s_mul_hi_u32 s29, s11, s2
	s_mul_i32 s30, s11, s2
	s_mul_i32 s33, s28, s15
	s_mul_hi_u32 s2, s28, s2
	s_mul_hi_u32 s31, s28, s15
	s_add_u32 s2, s2, s33
	s_addc_u32 s28, 0, s31
	s_add_u32 s2, s2, s30
	s_mul_hi_u32 s3, s11, s15
	s_addc_u32 s2, s28, s29
	s_addc_u32 s3, s3, 0
	s_mul_i32 s15, s11, s15
	s_add_u32 s2, s2, s15
	s_addc_u32 s3, 0, s3
	v_add_co_u32_e32 v10, vcc, s2, v10
	s_cmp_lg_u64 vcc, 0
	s_addc_u32 s11, s11, s3
	s_ashr_i32 s28, s21, 31
	s_add_u32 s2, s20, s28
	s_mov_b32 s29, s28
	s_addc_u32 s3, s21, s28
	s_xor_b64 s[30:31], s[2:3], s[28:29]
	v_readfirstlane_b32 s15, v10
	s_mul_i32 s3, s30, s11
	s_mul_hi_u32 s21, s30, s15
	s_mul_hi_u32 s2, s30, s11
	s_add_u32 s3, s21, s3
	s_addc_u32 s2, 0, s2
	s_mul_hi_u32 s33, s31, s15
	s_mul_i32 s15, s31, s15
	s_add_u32 s3, s3, s15
	s_mul_hi_u32 s21, s31, s11
	s_addc_u32 s2, s2, s33
	s_addc_u32 s3, s21, 0
	s_mul_i32 s11, s31, s11
	s_add_u32 s11, s2, s11
	s_addc_u32 s15, 0, s3
	s_mul_i32 s2, s26, s15
	s_mul_hi_u32 s3, s26, s11
	s_add_i32 s2, s3, s2
	s_mul_i32 s3, s27, s11
	s_add_i32 s21, s2, s3
	s_mul_i32 s3, s26, s11
	v_mov_b32_e32 v10, s3
	s_sub_i32 s2, s31, s21
	v_sub_co_u32_e32 v10, vcc, s30, v10
	s_cmp_lg_u64 vcc, 0
	s_subb_u32 s30, s2, s27
	v_subrev_co_u32_e64 v11, s[2:3], s26, v10
	s_cmp_lg_u64 s[2:3], 0
	s_subb_u32 s30, s30, 0
	s_cmp_ge_u32 s30, s27
	s_cselect_b32 s33, -1, 0
	v_cmp_le_u32_e64 s[2:3], s26, v11
	s_cmp_eq_u32 s30, s27
	v_cndmask_b32_e64 v11, 0, -1, s[2:3]
	v_mov_b32_e32 v16, s33
	s_cselect_b64 s[2:3], -1, 0
	v_cndmask_b32_e64 v11, v16, v11, s[2:3]
	s_add_u32 s2, s11, 1
	s_addc_u32 s30, s15, 0
	s_add_u32 s3, s11, 2
	s_addc_u32 s33, s15, 0
	v_mov_b32_e32 v16, s2
	v_mov_b32_e32 v17, s3
	v_cmp_ne_u32_e64 s[2:3], 0, v11
	v_cndmask_b32_e64 v11, v16, v17, s[2:3]
	v_mov_b32_e32 v16, s30
	v_mov_b32_e32 v17, s33
	s_cmp_lg_u64 vcc, 0
	v_cndmask_b32_e64 v16, v16, v17, s[2:3]
	s_subb_u32 s2, s31, s21
	s_cmp_ge_u32 s2, s27
	s_cselect_b32 s3, -1, 0
	v_cmp_le_u32_e32 vcc, s26, v10
	s_cmp_eq_u32 s2, s27
	v_cndmask_b32_e64 v10, 0, -1, vcc
	v_mov_b32_e32 v17, s3
	s_cselect_b64 vcc, -1, 0
	v_cndmask_b32_e32 v10, v17, v10, vcc
	v_mov_b32_e32 v17, s15
	v_cmp_ne_u32_e32 vcc, 0, v10
	v_cndmask_b32_e32 v10, v17, v16, vcc
	v_mov_b32_e32 v16, s11
	v_cndmask_b32_e32 v11, v16, v11, vcc
	s_xor_b64 s[2:3], s[28:29], s[24:25]
	v_xor_b32_e32 v11, s2, v11
	v_xor_b32_e32 v16, s3, v10
	v_mov_b32_e32 v17, s3
	v_subrev_co_u32_e32 v10, vcc, s2, v11
	v_subb_co_u32_e32 v11, vcc, v16, v17, vcc
	s_cbranch_execnz .LBB70_38
.LBB70_37:
	v_cvt_f32_u32_e32 v10, s14
	s_sub_i32 s2, 0, s14
	s_mov_b32 s3, 0
	v_rcp_iflag_f32_e32 v10, v10
	v_mul_f32_e32 v10, 0x4f7ffffe, v10
	v_cvt_u32_f32_e32 v10, v10
	v_readfirstlane_b32 s11, v10
	s_mul_i32 s2, s2, s11
	s_mul_hi_u32 s2, s11, s2
	s_add_i32 s11, s11, s2
	s_mul_hi_u32 s2, s20, s11
	s_mul_i32 s15, s2, s14
	s_sub_i32 s15, s20, s15
	s_add_i32 s11, s2, 1
	s_sub_i32 s20, s15, s14
	s_cmp_ge_u32 s15, s14
	s_cselect_b32 s2, s11, s2
	s_cselect_b32 s15, s20, s15
	s_add_i32 s11, s2, 1
	s_cmp_ge_u32 s15, s14
	s_cselect_b32 s2, s11, s2
	v_pk_mov_b32 v[10:11], s[2:3], s[2:3] op_sel:[0,1]
.LBB70_38:
	v_add_co_u32_e32 v10, vcc, v10, v15
	v_addc_co_u32_e32 v11, vcc, 0, v11, vcc
	s_branch .LBB70_41
.LBB70_39:
                                        ; implicit-def: $vgpr10_vgpr11
	s_cbranch_execz .LBB70_41
; %bb.40:
	v_mul_lo_u32 v10, v15, s8
	v_ashrrev_i32_e32 v11, 31, v10
	v_mov_b32_e32 v15, s7
	v_add_co_u32_e32 v10, vcc, s6, v10
	v_addc_co_u32_e32 v11, vcc, v11, v15, vcc
.LBB70_41:
	s_mov_b64 s[2:3], exec
.LBB70_42:
	s_or_b64 exec, exec, s[18:19]
	s_and_b64 vcc, exec, s[16:17]
	s_cbranch_vccz .LBB70_46
.LBB70_43:
	v_mov_b32_dpp v10, v12 quad_perm:[1,0,3,2] row_mask:0xf bank_mask:0xf
	v_cmp_gt_f32_e32 vcc, v12, v10
	v_cndmask_b32_e32 v10, v10, v12, vcc
	s_nop 1
	v_mov_b32_dpp v11, v10 quad_perm:[2,3,0,1] row_mask:0xf bank_mask:0xf
	v_cmp_gt_f32_e32 vcc, v10, v11
	v_cndmask_b32_e32 v10, v11, v10, vcc
	s_nop 1
	v_mov_b32_dpp v11, v10 row_half_mirror row_mask:0xf bank_mask:0xf
	v_cmp_gt_f32_e32 vcc, v10, v11
	v_cndmask_b32_e32 v10, v11, v10, vcc
	s_nop 1
	v_mov_b32_dpp v11, v10 row_mirror row_mask:0xf bank_mask:0xf
	v_cmp_gt_f32_e32 vcc, v10, v11
	v_cndmask_b32_e32 v10, v11, v10, vcc
	s_nop 1
	v_mov_b32_dpp v11, v10 row_bcast:15 row_mask:0xf bank_mask:0xf
	v_cmp_gt_f32_e32 vcc, v10, v11
	v_cndmask_b32_e32 v10, v11, v10, vcc
	s_nop 1
	v_mov_b32_dpp v11, v10 row_bcast:31 row_mask:0xf bank_mask:0xf
	s_and_saveexec_b64 s[2:3], s[0:1]
	s_cbranch_execz .LBB70_45
; %bb.44:
	v_lshrrev_b32_e32 v12, 4, v0
	v_cmp_gt_f32_e32 vcc, v10, v11
	v_and_b32_e32 v12, 60, v12
	v_cndmask_b32_e32 v10, v11, v10, vcc
	ds_write_b32 v12, v10
.LBB70_45:
	s_or_b64 exec, exec, s[2:3]
	s_waitcnt lgkmcnt(0)
	s_barrier
	ds_read_b32 v10, v14
	v_cmp_eq_u32_e64 s[2:3], 0, v0
	s_waitcnt lgkmcnt(0)
	v_mov_b32_dpp v11, v10 quad_perm:[1,0,3,2] row_mask:0xf bank_mask:0xf
	v_cmp_gt_f32_e32 vcc, v10, v11
	v_cndmask_b32_e32 v10, v11, v10, vcc
	v_mul_f32_e32 v13, 0x3b124925, v10
	v_pk_mov_b32 v[10:11], s[6:7], s[6:7] op_sel:[0,1]
.LBB70_46:
	s_and_saveexec_b64 s[0:1], s[2:3]
	s_cbranch_execz .LBB70_48
; %bb.47:
	v_lshlrev_b64 v[10:11], 2, v[10:11]
	v_mov_b32_e32 v0, s13
	v_add_co_u32_e32 v10, vcc, s12, v10
	v_addc_co_u32_e32 v11, vcc, v0, v11, vcc
	global_store_dword v[10:11], v13, off
.LBB70_48:
	s_or_b64 exec, exec, s[0:1]
	s_add_i32 s2, s9, 3
	s_load_dwordx2 s[0:1], s[4:5], 0x0
	s_ashr_i32 s3, s2, 31
	s_lshr_b32 s3, s3, 30
	;;#ASMSTART
	v_rcp_f32 v10, v13
	;;#ASMEND
	v_mov_b32_e32 v11, v10
	;;#ASMSTART
	v_pk_mul_f32 v[8:9], v[8:9], v[10:11]
	;;#ASMEND
	s_add_i32 s2, s2, s3
	s_ashr_i32 s3, s10, 31
	v_mov_b32_e32 v0, 0xc3e00000
	v_mov_b32_e32 v12, 0x43e00000
	;;#ASMSTART
	v_med3_f32 v8, v8, v0, v12
v_med3_f32 v9, v9, v0, v12
v_cvt_pk_fp8_f32 v13, v8, v9
	;;#ASMEND
	;;#ASMSTART
	v_pk_mul_f32 v[6:7], v[6:7], v[10:11]
	;;#ASMEND
	s_mul_hi_u32 s4, s10, s6
	s_mul_i32 s3, s3, s6
	;;#ASMSTART
	v_med3_f32 v6, v6, v0, v12
v_med3_f32 v7, v7, v0, v12
v_cvt_pk_fp8_f32 v8, v6, v7
	;;#ASMEND
	s_mov_b32 s5, 0x5040100
	s_and_b32 s2, s2, -4
	s_add_i32 s4, s4, s3
	s_mul_i32 s3, s10, s6
	v_perm_b32 v7, v8, v13, s5
	s_movk_i32 s5, 0xff
	s_waitcnt lgkmcnt(0)
	s_add_u32 s0, s0, s3
	v_and_b32_e32 v6, 0xffffff00, v8
	v_and_b32_sdwa v8, v7, s5 dst_sel:DWORD dst_unused:UNUSED_PAD src0_sel:WORD_1 src1_sel:DWORD
	s_addc_u32 s1, s1, s4
	s_mov_b32 s4, 0xffff
	v_or_b32_sdwa v6, v8, v6 dst_sel:WORD_1 dst_unused:UNUSED_PAD src0_sel:DWORD src1_sel:DWORD
	;;#ASMSTART
	v_pk_mul_f32 v[4:5], v[4:5], v[10:11]
	;;#ASMEND
	v_and_or_b32 v6, v7, s4, v6
	;;#ASMSTART
	v_med3_f32 v4, v4, v0, v12
v_med3_f32 v5, v5, v0, v12
v_cvt_pk_fp8_f32 v7, v4, v5
	;;#ASMEND
	;;#ASMSTART
	v_pk_mul_f32 v[2:3], v[2:3], v[10:11]
	;;#ASMEND
	;;#ASMSTART
	v_med3_f32 v2, v2, v0, v12
v_med3_f32 v3, v3, v0, v12
v_cvt_pk_fp8_f32 v0, v2, v3
	;;#ASMEND
	v_lshlrev_b32_e32 v0, 16, v0
	s_and_b32 s1, s1, 0xffff
	s_mov_b32 s3, 0x20000
	v_and_or_b32 v7, v7, s4, v0
	buffer_store_dwordx2 v[6:7], v1, s[0:3], 0 offen
	;;#ASMSTART
	s_nop 0
	;;#ASMEND
.LBB70_49:
	s_endpgm
.LBB70_50:
                                        ; implicit-def: $vgpr10_vgpr11
	s_branch .LBB70_37
	.section	.rodata,"a",@progbits
	.p2align	6, 0x0
	.amdhsa_kernel _ZN5aiter24add_rmsnorm_quant_kernelItDB8_Li128ELi8ELb0ELb1ELb1ELi1EEEvPT0_PT_PfS5_S5_S5_diiiiiiib
		.amdhsa_group_segment_fixed_size 16
		.amdhsa_private_segment_fixed_size 0
		.amdhsa_kernarg_size 88
		.amdhsa_user_sgpr_count 6
		.amdhsa_user_sgpr_private_segment_buffer 1
		.amdhsa_user_sgpr_dispatch_ptr 0
		.amdhsa_user_sgpr_queue_ptr 0
		.amdhsa_user_sgpr_kernarg_segment_ptr 1
		.amdhsa_user_sgpr_dispatch_id 0
		.amdhsa_user_sgpr_flat_scratch_init 0
		.amdhsa_user_sgpr_kernarg_preload_length 0
		.amdhsa_user_sgpr_kernarg_preload_offset 0
		.amdhsa_user_sgpr_private_segment_size 0
		.amdhsa_uses_dynamic_stack 0
		.amdhsa_system_sgpr_private_segment_wavefront_offset 0
		.amdhsa_system_sgpr_workgroup_id_x 1
		.amdhsa_system_sgpr_workgroup_id_y 0
		.amdhsa_system_sgpr_workgroup_id_z 0
		.amdhsa_system_sgpr_workgroup_info 0
		.amdhsa_system_vgpr_workitem_id 0
		.amdhsa_next_free_vgpr 24
		.amdhsa_next_free_sgpr 34
		.amdhsa_accum_offset 24
		.amdhsa_reserve_vcc 1
		.amdhsa_reserve_flat_scratch 0
		.amdhsa_float_round_mode_32 0
		.amdhsa_float_round_mode_16_64 0
		.amdhsa_float_denorm_mode_32 3
		.amdhsa_float_denorm_mode_16_64 3
		.amdhsa_dx10_clamp 1
		.amdhsa_ieee_mode 1
		.amdhsa_fp16_overflow 0
		.amdhsa_tg_split 0
		.amdhsa_exception_fp_ieee_invalid_op 0
		.amdhsa_exception_fp_denorm_src 0
		.amdhsa_exception_fp_ieee_div_zero 0
		.amdhsa_exception_fp_ieee_overflow 0
		.amdhsa_exception_fp_ieee_underflow 0
		.amdhsa_exception_fp_ieee_inexact 0
		.amdhsa_exception_int_div_zero 0
	.end_amdhsa_kernel
	.section	.text._ZN5aiter24add_rmsnorm_quant_kernelItDB8_Li128ELi8ELb0ELb1ELb1ELi1EEEvPT0_PT_PfS5_S5_S5_diiiiiiib,"axG",@progbits,_ZN5aiter24add_rmsnorm_quant_kernelItDB8_Li128ELi8ELb0ELb1ELb1ELi1EEEvPT0_PT_PfS5_S5_S5_diiiiiiib,comdat
.Lfunc_end70:
	.size	_ZN5aiter24add_rmsnorm_quant_kernelItDB8_Li128ELi8ELb0ELb1ELb1ELi1EEEvPT0_PT_PfS5_S5_S5_diiiiiiib, .Lfunc_end70-_ZN5aiter24add_rmsnorm_quant_kernelItDB8_Li128ELi8ELb0ELb1ELb1ELi1EEEvPT0_PT_PfS5_S5_S5_diiiiiiib
                                        ; -- End function
	.section	.AMDGPU.csdata,"",@progbits
; Kernel info:
; codeLenInByte = 3148
; NumSgprs: 38
; NumVgprs: 24
; NumAgprs: 0
; TotalNumVgprs: 24
; ScratchSize: 0
; MemoryBound: 0
; FloatMode: 240
; IeeeMode: 1
; LDSByteSize: 16 bytes/workgroup (compile time only)
; SGPRBlocks: 4
; VGPRBlocks: 2
; NumSGPRsForWavesPerEU: 38
; NumVGPRsForWavesPerEU: 24
; AccumOffset: 24
; Occupancy: 8
; WaveLimiterHint : 0
; COMPUTE_PGM_RSRC2:SCRATCH_EN: 0
; COMPUTE_PGM_RSRC2:USER_SGPR: 6
; COMPUTE_PGM_RSRC2:TRAP_HANDLER: 0
; COMPUTE_PGM_RSRC2:TGID_X_EN: 1
; COMPUTE_PGM_RSRC2:TGID_Y_EN: 0
; COMPUTE_PGM_RSRC2:TGID_Z_EN: 0
; COMPUTE_PGM_RSRC2:TIDIG_COMP_CNT: 0
; COMPUTE_PGM_RSRC3_GFX90A:ACCUM_OFFSET: 5
; COMPUTE_PGM_RSRC3_GFX90A:TG_SPLIT: 0
	.section	.text._ZN5aiter24add_rmsnorm_quant_kernelIDF16_DB8_Li128ELi8ELb0ELb1ELb0ELi1EEEvPT0_PT_PfS5_S5_S5_diiiiiiib,"axG",@progbits,_ZN5aiter24add_rmsnorm_quant_kernelIDF16_DB8_Li128ELi8ELb0ELb1ELb0ELi1EEEvPT0_PT_PfS5_S5_S5_diiiiiiib,comdat
	.protected	_ZN5aiter24add_rmsnorm_quant_kernelIDF16_DB8_Li128ELi8ELb0ELb1ELb0ELi1EEEvPT0_PT_PfS5_S5_S5_diiiiiiib ; -- Begin function _ZN5aiter24add_rmsnorm_quant_kernelIDF16_DB8_Li128ELi8ELb0ELb1ELb0ELi1EEEvPT0_PT_PfS5_S5_S5_diiiiiiib
	.globl	_ZN5aiter24add_rmsnorm_quant_kernelIDF16_DB8_Li128ELi8ELb0ELb1ELb0ELi1EEEvPT0_PT_PfS5_S5_S5_diiiiiiib
	.p2align	8
	.type	_ZN5aiter24add_rmsnorm_quant_kernelIDF16_DB8_Li128ELi8ELb0ELb1ELb0ELi1EEEvPT0_PT_PfS5_S5_S5_diiiiiiib,@function
_ZN5aiter24add_rmsnorm_quant_kernelIDF16_DB8_Li128ELi8ELb0ELb1ELb0ELi1EEEvPT0_PT_PfS5_S5_S5_diiiiiiib: ; @_ZN5aiter24add_rmsnorm_quant_kernelIDF16_DB8_Li128ELi8ELb0ELb1ELb0ELi1EEEvPT0_PT_PfS5_S5_S5_diiiiiiib
; %bb.0:
	s_load_dwordx4 s[8:11], s[4:5], 0x38
	s_mov_b32 s7, 0
	s_waitcnt lgkmcnt(0)
	s_ashr_i32 s0, s8, 31
	v_mov_b32_e32 v2, s8
	v_mov_b32_e32 v3, s0
	v_cmp_ge_i64_e32 vcc, s[6:7], v[2:3]
	s_cbranch_vccnz .LBB71_49
; %bb.1:
	s_load_dwordx4 s[12:15], s[4:5], 0x10
	s_load_dwordx4 s[0:3], s[4:5], 0x28
	s_ashr_i32 s11, s10, 31
	s_mul_hi_u32 s16, s10, s6
	s_mul_i32 s11, s11, s6
	s_add_i32 s11, s16, s11
	s_mul_i32 s10, s10, s6
	s_lshl_b64 s[10:11], s[10:11], 1
	s_waitcnt lgkmcnt(0)
	s_add_u32 s16, s14, s10
	s_addc_u32 s10, s15, s11
	s_add_i32 s11, s9, 1
	s_lshr_b32 s14, s11, 31
	s_add_i32 s11, s11, s14
	s_lshl_b32 s11, s11, 1
	s_and_b32 s18, s11, -4
	s_and_b32 s17, s10, 0xffff
	s_mov_b32 s19, 0x20000
	v_lshlrev_b32_e32 v1, 4, v0
	buffer_load_dwordx4 v[14:17], v1, s[16:19], 0 offen glc slc
	s_mov_b32 s16, s0
	s_and_b32 s17, s1, 0xffff
	buffer_load_dwordx4 v[2:5], v1, s[16:19], 0 offen
	v_and_b32_e32 v22, 63, v0
	v_cmp_eq_u32_e64 s[0:1], 63, v22
	s_waitcnt vmcnt(1)
	v_cvt_f32_f16_e32 v12, v14
	v_cvt_f32_f16_sdwa v13, v14 dst_sel:DWORD dst_unused:UNUSED_PAD src0_sel:WORD_1
	v_cvt_f32_f16_e32 v10, v15
	v_cvt_f32_f16_sdwa v11, v15 dst_sel:DWORD dst_unused:UNUSED_PAD src0_sel:WORD_1
	;; [unrolled: 2-line block ×3, first 2 shown]
	v_pk_mul_f32 v[14:15], v[12:13], v[12:13]
	v_cvt_f32_f16_e32 v6, v17
	v_cvt_f32_f16_sdwa v7, v17 dst_sel:DWORD dst_unused:UNUSED_PAD src0_sel:WORD_1
	v_pk_mul_f32 v[16:17], v[10:11], v[10:11]
	v_add_f32_e32 v1, v14, v15
	v_add_f32_e32 v1, v16, v1
	v_pk_mul_f32 v[18:19], v[8:9], v[8:9]
	v_add_f32_e32 v1, v17, v1
	v_add_f32_e32 v1, v18, v1
	;; [unrolled: 3-line block ×3, first 2 shown]
	v_add_f32_e32 v1, v21, v1
	s_nop 1
	v_mov_b32_dpp v14, v1 quad_perm:[1,0,3,2] row_mask:0xf bank_mask:0xf
	v_add_f32_e32 v1, v1, v14
	s_nop 1
	v_mov_b32_dpp v14, v1 quad_perm:[2,3,0,1] row_mask:0xf bank_mask:0xf
	v_add_f32_e32 v1, v1, v14
	s_nop 1
	v_mov_b32_dpp v14, v1 row_half_mirror row_mask:0xf bank_mask:0xf
	v_add_f32_e32 v1, v1, v14
	s_nop 1
	v_mov_b32_dpp v14, v1 row_mirror row_mask:0xf bank_mask:0xf
	v_add_f32_e32 v1, v1, v14
	s_nop 1
	v_mov_b32_dpp v14, v1 row_bcast:15 row_mask:0xf bank_mask:0xf
	v_add_f32_e32 v1, v1, v14
	s_nop 1
	v_mov_b32_dpp v14, v1 row_bcast:31 row_mask:0xf bank_mask:0xf
	s_and_saveexec_b64 s[10:11], s[0:1]
	s_cbranch_execz .LBB71_3
; %bb.2:
	v_lshrrev_b32_e32 v15, 4, v0
	v_and_b32_e32 v15, 60, v15
	v_add_f32_e32 v1, v1, v14
	ds_write_b32 v15, v1 offset:8
.LBB71_3:
	s_or_b64 exec, exec, s[10:11]
	v_and_b32_e32 v1, 1, v0
	v_lshlrev_b32_e32 v14, 2, v1
	s_waitcnt lgkmcnt(0)
	s_barrier
	ds_read_b32 v1, v14 offset:8
	v_cvt_f32_i32_e32 v15, s9
	s_waitcnt vmcnt(0)
	v_cvt_f32_f16_sdwa v21, v3 dst_sel:DWORD dst_unused:UNUSED_PAD src0_sel:WORD_1
	v_cvt_f32_f16_sdwa v23, v5 dst_sel:DWORD dst_unused:UNUSED_PAD src0_sel:WORD_1
	v_cvt_f32_f16_e32 v22, v5
	s_waitcnt lgkmcnt(0)
	v_mov_b32_dpp v16, v1 quad_perm:[1,0,3,2] row_mask:0xf bank_mask:0xf
	v_add_f32_e32 v1, v1, v16
	v_div_scale_f32 v16, s[10:11], v15, v15, v1
	v_rcp_f32_e32 v17, v16
	v_div_scale_f32 v18, vcc, v1, v15, v1
	s_load_dwordx2 s[10:11], s[4:5], 0x4c
	s_load_dword s14, s[4:5], 0x54
	v_fma_f32 v19, -v16, v17, 1.0
	v_fmac_f32_e32 v17, v19, v17
	v_mul_f32_e32 v19, v18, v17
	v_fma_f32 v20, -v16, v19, v18
	v_fmac_f32_e32 v19, v20, v17
	v_fma_f32 v16, -v16, v19, v18
	v_div_fmas_f32 v16, v16, v17, v19
	v_div_fixup_f32 v1, v16, v15, v1
	v_cvt_f64_f32_e32 v[16:17], v1
	v_add_f64 v[16:17], v[16:17], s[2:3]
	v_cvt_f32_f64_e32 v1, v[16:17]
	s_mov_b32 s2, 0x800000
	v_mul_f32_e32 v15, 0x4b800000, v1
	v_cmp_gt_f32_e32 vcc, s2, v1
	v_cndmask_b32_e32 v1, v1, v15, vcc
	v_rsq_f32_e32 v15, v1
	v_cvt_f32_f16_e32 v20, v3
	v_cvt_f32_f16_sdwa v3, v4 dst_sel:DWORD dst_unused:UNUSED_PAD src0_sel:WORD_1
	v_lshlrev_b32_e32 v1, 3, v0
	v_mul_f32_e32 v16, 0x45800000, v15
	v_cndmask_b32_e32 v16, v15, v16, vcc
	v_mov_b32_e32 v17, v16
	;;#ASMSTART
	v_pk_mul_f32 v[12:13], v[12:13], v[16:17]
	;;#ASMEND
	;;#ASMSTART
	v_pk_mul_f32 v[10:11], v[10:11], v[16:17]
	;;#ASMEND
	;; [unrolled: 3-line block ×4, first 2 shown]
	v_cvt_f32_f16_sdwa v7, v2 dst_sel:DWORD dst_unused:UNUSED_PAD src0_sel:WORD_1
	v_cvt_f32_f16_e32 v6, v2
	v_cvt_f32_f16_e32 v2, v4
	;;#ASMSTART
	v_pk_mul_f32 v[8:9], v[12:13], v[6:7]
	;;#ASMEND
	;;#ASMSTART
	v_pk_mul_f32 v[6:7], v[10:11], v[20:21]
	;;#ASMEND
	v_and_b32_e32 v10, 0x7fffffff, v8
	v_mov_b32_e32 v12, 0x2edbe6ff
	;;#ASMSTART
	v_pk_mul_f32 v[4:5], v[18:19], v[2:3]
	;;#ASMEND
	;;#ASMSTART
	v_pk_mul_f32 v[2:3], v[16:17], v[22:23]
	;;#ASMEND
	v_and_b32_e32 v11, 0x7fffffff, v9
	;;#ASMSTART
	v_max3_f32 v10, v12, v10, v11

	;;#ASMEND
	v_and_b32_e32 v12, 0x7fffffff, v7
	v_and_b32_e32 v11, 0x7fffffff, v6
	;;#ASMSTART
	v_max3_f32 v10, v10, v11, v12

	;;#ASMEND
	v_and_b32_e32 v12, 0x7fffffff, v5
	;; [unrolled: 6-line block ×3, first 2 shown]
	s_waitcnt lgkmcnt(0)
	s_cmp_lg_u32 s11, 0
	v_and_b32_e32 v11, 0x7fffffff, v2
	;;#ASMSTART
	v_max3_f32 v12, v10, v11, v12

	;;#ASMEND
	s_cbranch_scc0 .LBB71_10
; %bb.4:
	s_ashr_i32 s15, s11, 31
	s_lshr_b32 s2, s15, 29
	s_add_i32 s2, s11, s2
	s_ashr_i32 s18, s2, 3
	s_cmp_lt_i32 s18, 16
	s_cbranch_scc1 .LBB71_11
; %bb.5:
	s_cmp_lt_i32 s18, 32
	s_cbranch_scc1 .LBB71_12
; %bb.6:
	;; [unrolled: 3-line block ×3, first 2 shown]
	s_cmp_eq_u32 s18, 64
	v_mov_b32_e32 v10, v12
	s_cbranch_scc0 .LBB71_9
; %bb.8:
	s_nop 0
	v_mov_b32_dpp v10, v12 quad_perm:[1,0,3,2] row_mask:0xf bank_mask:0xf
	v_cmp_gt_f32_e32 vcc, v12, v10
	v_cndmask_b32_e32 v10, v10, v12, vcc
	v_bfrev_b32_e32 v13, 0.5
	s_nop 0
	v_mov_b32_dpp v11, v10 quad_perm:[2,3,0,1] row_mask:0xf bank_mask:0xf
	v_cmp_gt_f32_e32 vcc, v10, v11
	v_cndmask_b32_e32 v10, v11, v10, vcc
	s_nop 1
	v_mov_b32_dpp v11, v10 row_ror:4 row_mask:0xf bank_mask:0xf
	v_cmp_gt_f32_e32 vcc, v10, v11
	v_cndmask_b32_e32 v10, v11, v10, vcc
	s_nop 1
	v_mov_b32_dpp v11, v10 row_ror:8 row_mask:0xf bank_mask:0xf
	v_cmp_gt_f32_e32 vcc, v10, v11
	v_cndmask_b32_e32 v10, v11, v10, vcc
	s_nop 1
	v_mov_b32_dpp v11, v10 row_bcast:15 row_mask:0xf bank_mask:0xf
	v_cmp_gt_f32_e32 vcc, v10, v11
	v_cndmask_b32_e32 v10, v11, v10, vcc
	s_nop 1
	v_mov_b32_dpp v11, v10 row_bcast:31 row_mask:0xf bank_mask:0xf
	v_cmp_gt_f32_e32 vcc, v10, v11
	v_cndmask_b32_e32 v10, v11, v10, vcc
	v_mbcnt_lo_u32_b32 v11, -1, 0
	v_mbcnt_hi_u32_b32 v11, -1, v11
	v_lshl_or_b32 v11, v11, 2, v13
	ds_bpermute_b32 v10, v11, v10
.LBB71_9:
	s_mov_b64 s[2:3], 0
	s_branch .LBB71_14
.LBB71_10:
	s_mov_b64 s[2:3], 0
                                        ; implicit-def: $vgpr13
                                        ; implicit-def: $vgpr10_vgpr11
	s_cbranch_execnz .LBB71_43
	s_branch .LBB71_46
.LBB71_11:
                                        ; implicit-def: $vgpr10
	s_branch .LBB71_21
.LBB71_12:
                                        ; implicit-def: $vgpr10
	s_branch .LBB71_18
.LBB71_13:
	s_mov_b64 s[2:3], -1
                                        ; implicit-def: $vgpr10
.LBB71_14:
	s_andn2_b64 vcc, exec, s[2:3]
	s_cbranch_vccnz .LBB71_17
; %bb.15:
	s_cmp_eq_u32 s18, 32
	s_waitcnt lgkmcnt(0)
	v_mov_b32_e32 v10, v12
	s_cbranch_scc0 .LBB71_17
; %bb.16:
	s_nop 0
	v_mov_b32_dpp v10, v12 quad_perm:[1,0,3,2] row_mask:0xf bank_mask:0xf
	v_cmp_gt_f32_e32 vcc, v12, v10
	v_cndmask_b32_e32 v10, v10, v12, vcc
	v_mov_b32_e32 v13, 0x7c
	s_nop 0
	v_mov_b32_dpp v11, v10 quad_perm:[2,3,0,1] row_mask:0xf bank_mask:0xf
	v_cmp_gt_f32_e32 vcc, v10, v11
	v_cndmask_b32_e32 v10, v11, v10, vcc
	s_nop 1
	v_mov_b32_dpp v11, v10 row_half_mirror row_mask:0xf bank_mask:0xf
	v_cmp_gt_f32_e32 vcc, v10, v11
	v_cndmask_b32_e32 v10, v11, v10, vcc
	s_nop 1
	v_mov_b32_dpp v11, v10 row_mirror row_mask:0xf bank_mask:0xf
	v_cmp_gt_f32_e32 vcc, v10, v11
	v_cndmask_b32_e32 v10, v11, v10, vcc
	s_nop 1
	v_mov_b32_dpp v11, v10 row_bcast:15 row_mask:0xa bank_mask:0xf
	v_cmp_gt_f32_e32 vcc, v10, v11
	v_cndmask_b32_e32 v10, v11, v10, vcc
	v_mbcnt_lo_u32_b32 v11, -1, 0
	v_mbcnt_hi_u32_b32 v11, -1, v11
	v_lshl_or_b32 v11, v11, 2, v13
	ds_bpermute_b32 v10, v11, v10
.LBB71_17:
	s_cbranch_execnz .LBB71_20
.LBB71_18:
	s_cmp_eq_u32 s18, 16
	s_waitcnt lgkmcnt(0)
	v_mov_b32_e32 v10, v12
	s_cbranch_scc0 .LBB71_20
; %bb.19:
	s_nop 0
	v_mov_b32_dpp v10, v12 quad_perm:[1,0,3,2] row_mask:0xf bank_mask:0xf
	v_cmp_gt_f32_e32 vcc, v12, v10
	v_cndmask_b32_e32 v10, v10, v12, vcc
	s_nop 1
	v_mov_b32_dpp v11, v10 quad_perm:[2,3,0,1] row_mask:0xf bank_mask:0xf
	v_cmp_gt_f32_e32 vcc, v10, v11
	v_cndmask_b32_e32 v10, v11, v10, vcc
	s_nop 1
	v_mov_b32_dpp v11, v10 row_half_mirror row_mask:0xf bank_mask:0xf
	v_cmp_gt_f32_e32 vcc, v10, v11
	v_cndmask_b32_e32 v10, v11, v10, vcc
	s_nop 1
	v_mov_b32_dpp v11, v10 row_mirror row_mask:0xf bank_mask:0xf
	v_cmp_gt_f32_e32 vcc, v10, v11
	v_cndmask_b32_e32 v10, v11, v10, vcc
.LBB71_20:
	s_cbranch_execnz .LBB71_33
.LBB71_21:
	s_cmp_lt_i32 s18, 4
	s_cbranch_scc1 .LBB71_25
; %bb.22:
	s_cmp_lt_i32 s18, 8
	s_cbranch_scc1 .LBB71_26
; %bb.23:
	s_cmp_eq_u32 s18, 8
	s_waitcnt lgkmcnt(0)
	v_mov_b32_e32 v10, v12
	s_cbranch_scc0 .LBB71_27
; %bb.24:
	s_nop 0
	v_mov_b32_dpp v10, v12 quad_perm:[1,0,3,2] row_mask:0xf bank_mask:0xf
	v_cmp_gt_f32_e32 vcc, v12, v10
	v_cndmask_b32_e32 v10, v10, v12, vcc
	s_nop 1
	v_mov_b32_dpp v11, v10 quad_perm:[2,3,0,1] row_mask:0xf bank_mask:0xf
	v_cmp_gt_f32_e32 vcc, v10, v11
	v_cndmask_b32_e32 v10, v11, v10, vcc
	s_nop 1
	v_mov_b32_dpp v11, v10 row_half_mirror row_mask:0xf bank_mask:0xf
	v_cmp_gt_f32_e32 vcc, v10, v11
	v_cndmask_b32_e32 v10, v11, v10, vcc
	s_cbranch_execz .LBB71_28
	s_branch .LBB71_30
.LBB71_25:
                                        ; implicit-def: $vgpr10
	s_branch .LBB71_31
.LBB71_26:
                                        ; implicit-def: $vgpr10
	s_branch .LBB71_28
.LBB71_27:
	s_cbranch_execnz .LBB71_30
.LBB71_28:
	s_cmp_eq_u32 s18, 4
	s_waitcnt lgkmcnt(0)
	v_mov_b32_e32 v10, v12
	s_cbranch_scc0 .LBB71_30
; %bb.29:
	s_nop 0
	v_mov_b32_dpp v10, v12 quad_perm:[1,0,3,2] row_mask:0xf bank_mask:0xf
	v_cmp_gt_f32_e32 vcc, v12, v10
	v_cndmask_b32_e32 v10, v10, v12, vcc
	s_nop 1
	v_mov_b32_dpp v11, v10 quad_perm:[2,3,0,1] row_mask:0xf bank_mask:0xf
	v_cmp_gt_f32_e32 vcc, v10, v11
	v_cndmask_b32_e32 v10, v11, v10, vcc
.LBB71_30:
	s_cbranch_execnz .LBB71_33
.LBB71_31:
	s_cmp_lg_u32 s18, 2
	s_waitcnt lgkmcnt(0)
	v_mov_b32_e32 v10, v12
	s_cbranch_scc1 .LBB71_33
; %bb.32:
	s_nop 0
	v_mov_b32_dpp v10, v12 quad_perm:[1,0,3,2] row_mask:0xf bank_mask:0xf
	v_cmp_gt_f32_e32 vcc, v12, v10
	v_cndmask_b32_e32 v10, v10, v12, vcc
.LBB71_33:
	v_cvt_f32_u32_e32 v11, s18
	s_waitcnt lgkmcnt(0)
	v_mul_f32_e32 v13, 0x3b124925, v10
	s_sub_i32 s2, 0, s18
	v_cmp_gt_u32_e32 vcc, s9, v1
	v_rcp_iflag_f32_e32 v11, v11
	s_mov_b64 s[16:17], 0
	v_mul_f32_e32 v10, 0x4f7ffffe, v11
	v_cvt_u32_f32_e32 v10, v10
	v_mul_lo_u32 v11, s2, v10
	v_mul_hi_u32 v11, v10, v11
	v_add_u32_e32 v10, v10, v11
	v_mul_hi_u32 v10, v0, v10
	v_mul_lo_u32 v11, v10, s18
	v_sub_u32_e32 v11, v0, v11
	v_add_u32_e32 v15, 1, v10
	v_cmp_le_u32_e64 s[2:3], s18, v11
	v_cndmask_b32_e64 v10, v10, v15, s[2:3]
	v_subrev_u32_e32 v15, s18, v11
	v_cndmask_b32_e64 v11, v11, v15, s[2:3]
	v_add_u32_e32 v15, 1, v10
	v_cmp_le_u32_e64 s[2:3], s18, v11
	v_cndmask_b32_e64 v15, v10, v15, s[2:3]
	v_mul_lo_u32 v10, v15, s18
	v_sub_u32_e32 v10, v0, v10
	v_cmp_eq_u32_e64 s[2:3], 0, v10
	s_and_b64 s[18:19], s[2:3], vcc
	s_mov_b64 s[2:3], 0
                                        ; implicit-def: $vgpr10_vgpr11
	s_and_saveexec_b64 s[20:21], s[18:19]
	s_xor_b64 s[18:19], exec, s[20:21]
	s_cbranch_execz .LBB71_42
; %bb.34:
	s_bitcmp0_b32 s14, 0
	s_cbranch_scc0 .LBB71_39
; %bb.35:
	s_ashr_i32 s2, s9, 31
	s_mul_hi_u32 s3, s9, s6
	s_mul_i32 s2, s2, s6
	s_add_i32 s21, s3, s2
	s_mul_i32 s20, s9, s6
	s_mov_b32 s14, s11
	s_or_b64 s[2:3], s[20:21], s[14:15]
	s_mov_b32 s2, 0
	s_cmp_lg_u64 s[2:3], 0
	s_cbranch_scc0 .LBB71_50
; %bb.36:
	s_add_u32 s2, s14, s15
	s_mov_b32 s24, s15
	s_mov_b32 s25, s15
	s_addc_u32 s3, s15, s15
	s_xor_b64 s[26:27], s[2:3], s[24:25]
	v_cvt_f32_u32_e32 v10, s26
	v_cvt_f32_u32_e32 v11, s27
	s_sub_u32 s2, 0, s26
	s_subb_u32 s3, 0, s27
	v_madmk_f32 v10, v11, 0x4f800000, v10
	v_rcp_f32_e32 v10, v10
	v_mul_f32_e32 v10, 0x5f7ffffc, v10
	v_mul_f32_e32 v11, 0x2f800000, v10
	v_trunc_f32_e32 v11, v11
	v_madmk_f32 v10, v11, 0xcf800000, v10
	v_cvt_u32_f32_e32 v11, v11
	v_cvt_u32_f32_e32 v10, v10
	v_readfirstlane_b32 s11, v11
	v_readfirstlane_b32 s15, v10
	s_mul_i32 s28, s2, s11
	s_mul_hi_u32 s30, s2, s15
	s_mul_i32 s29, s3, s15
	s_add_i32 s28, s30, s28
	s_add_i32 s28, s28, s29
	s_mul_i32 s31, s2, s15
	s_mul_hi_u32 s29, s15, s28
	s_mul_i32 s30, s15, s28
	s_mul_hi_u32 s15, s15, s31
	s_add_u32 s15, s15, s30
	s_addc_u32 s29, 0, s29
	s_mul_hi_u32 s33, s11, s31
	s_mul_i32 s31, s11, s31
	s_add_u32 s15, s15, s31
	s_mul_hi_u32 s30, s11, s28
	s_addc_u32 s15, s29, s33
	s_addc_u32 s29, s30, 0
	s_mul_i32 s28, s11, s28
	s_add_u32 s15, s15, s28
	s_addc_u32 s28, 0, s29
	v_add_co_u32_e32 v10, vcc, s15, v10
	s_cmp_lg_u64 vcc, 0
	s_addc_u32 s11, s11, s28
	v_readfirstlane_b32 s28, v10
	s_mul_i32 s15, s2, s11
	s_mul_hi_u32 s29, s2, s28
	s_add_i32 s15, s29, s15
	s_mul_i32 s3, s3, s28
	s_add_i32 s15, s15, s3
	s_mul_i32 s2, s2, s28
	s_mul_hi_u32 s29, s11, s2
	s_mul_i32 s30, s11, s2
	s_mul_i32 s33, s28, s15
	s_mul_hi_u32 s2, s28, s2
	s_mul_hi_u32 s31, s28, s15
	s_add_u32 s2, s2, s33
	s_addc_u32 s28, 0, s31
	s_add_u32 s2, s2, s30
	s_mul_hi_u32 s3, s11, s15
	s_addc_u32 s2, s28, s29
	s_addc_u32 s3, s3, 0
	s_mul_i32 s15, s11, s15
	s_add_u32 s2, s2, s15
	s_addc_u32 s3, 0, s3
	v_add_co_u32_e32 v10, vcc, s2, v10
	s_cmp_lg_u64 vcc, 0
	s_addc_u32 s11, s11, s3
	s_ashr_i32 s28, s21, 31
	s_add_u32 s2, s20, s28
	s_mov_b32 s29, s28
	s_addc_u32 s3, s21, s28
	s_xor_b64 s[30:31], s[2:3], s[28:29]
	v_readfirstlane_b32 s15, v10
	s_mul_i32 s3, s30, s11
	s_mul_hi_u32 s21, s30, s15
	s_mul_hi_u32 s2, s30, s11
	s_add_u32 s3, s21, s3
	s_addc_u32 s2, 0, s2
	s_mul_hi_u32 s33, s31, s15
	s_mul_i32 s15, s31, s15
	s_add_u32 s3, s3, s15
	s_mul_hi_u32 s21, s31, s11
	s_addc_u32 s2, s2, s33
	s_addc_u32 s3, s21, 0
	s_mul_i32 s11, s31, s11
	s_add_u32 s11, s2, s11
	s_addc_u32 s15, 0, s3
	s_mul_i32 s2, s26, s15
	s_mul_hi_u32 s3, s26, s11
	s_add_i32 s2, s3, s2
	s_mul_i32 s3, s27, s11
	s_add_i32 s21, s2, s3
	s_mul_i32 s3, s26, s11
	v_mov_b32_e32 v10, s3
	s_sub_i32 s2, s31, s21
	v_sub_co_u32_e32 v10, vcc, s30, v10
	s_cmp_lg_u64 vcc, 0
	s_subb_u32 s30, s2, s27
	v_subrev_co_u32_e64 v11, s[2:3], s26, v10
	s_cmp_lg_u64 s[2:3], 0
	s_subb_u32 s30, s30, 0
	s_cmp_ge_u32 s30, s27
	s_cselect_b32 s33, -1, 0
	v_cmp_le_u32_e64 s[2:3], s26, v11
	s_cmp_eq_u32 s30, s27
	v_cndmask_b32_e64 v11, 0, -1, s[2:3]
	v_mov_b32_e32 v16, s33
	s_cselect_b64 s[2:3], -1, 0
	v_cndmask_b32_e64 v11, v16, v11, s[2:3]
	s_add_u32 s2, s11, 1
	s_addc_u32 s30, s15, 0
	s_add_u32 s3, s11, 2
	s_addc_u32 s33, s15, 0
	v_mov_b32_e32 v16, s2
	v_mov_b32_e32 v17, s3
	v_cmp_ne_u32_e64 s[2:3], 0, v11
	v_cndmask_b32_e64 v11, v16, v17, s[2:3]
	v_mov_b32_e32 v16, s30
	v_mov_b32_e32 v17, s33
	s_cmp_lg_u64 vcc, 0
	v_cndmask_b32_e64 v16, v16, v17, s[2:3]
	s_subb_u32 s2, s31, s21
	s_cmp_ge_u32 s2, s27
	s_cselect_b32 s3, -1, 0
	v_cmp_le_u32_e32 vcc, s26, v10
	s_cmp_eq_u32 s2, s27
	v_cndmask_b32_e64 v10, 0, -1, vcc
	v_mov_b32_e32 v17, s3
	s_cselect_b64 vcc, -1, 0
	v_cndmask_b32_e32 v10, v17, v10, vcc
	v_mov_b32_e32 v17, s15
	v_cmp_ne_u32_e32 vcc, 0, v10
	v_cndmask_b32_e32 v10, v17, v16, vcc
	v_mov_b32_e32 v16, s11
	v_cndmask_b32_e32 v11, v16, v11, vcc
	s_xor_b64 s[2:3], s[28:29], s[24:25]
	v_xor_b32_e32 v11, s2, v11
	v_xor_b32_e32 v16, s3, v10
	v_mov_b32_e32 v17, s3
	v_subrev_co_u32_e32 v10, vcc, s2, v11
	v_subb_co_u32_e32 v11, vcc, v16, v17, vcc
	s_cbranch_execnz .LBB71_38
.LBB71_37:
	v_cvt_f32_u32_e32 v10, s14
	s_sub_i32 s2, 0, s14
	s_mov_b32 s3, 0
	v_rcp_iflag_f32_e32 v10, v10
	v_mul_f32_e32 v10, 0x4f7ffffe, v10
	v_cvt_u32_f32_e32 v10, v10
	v_readfirstlane_b32 s11, v10
	s_mul_i32 s2, s2, s11
	s_mul_hi_u32 s2, s11, s2
	s_add_i32 s11, s11, s2
	s_mul_hi_u32 s2, s20, s11
	s_mul_i32 s15, s2, s14
	s_sub_i32 s15, s20, s15
	s_add_i32 s11, s2, 1
	s_sub_i32 s20, s15, s14
	s_cmp_ge_u32 s15, s14
	s_cselect_b32 s2, s11, s2
	s_cselect_b32 s15, s20, s15
	s_add_i32 s11, s2, 1
	s_cmp_ge_u32 s15, s14
	s_cselect_b32 s2, s11, s2
	v_pk_mov_b32 v[10:11], s[2:3], s[2:3] op_sel:[0,1]
.LBB71_38:
	v_add_co_u32_e32 v10, vcc, v10, v15
	v_addc_co_u32_e32 v11, vcc, 0, v11, vcc
	s_branch .LBB71_41
.LBB71_39:
                                        ; implicit-def: $vgpr10_vgpr11
	s_cbranch_execz .LBB71_41
; %bb.40:
	v_mul_lo_u32 v10, v15, s8
	v_ashrrev_i32_e32 v11, 31, v10
	v_mov_b32_e32 v15, s7
	v_add_co_u32_e32 v10, vcc, s6, v10
	v_addc_co_u32_e32 v11, vcc, v11, v15, vcc
.LBB71_41:
	s_mov_b64 s[2:3], exec
.LBB71_42:
	s_or_b64 exec, exec, s[18:19]
	s_and_b64 vcc, exec, s[16:17]
	s_cbranch_vccz .LBB71_46
.LBB71_43:
	v_mov_b32_dpp v10, v12 quad_perm:[1,0,3,2] row_mask:0xf bank_mask:0xf
	v_cmp_gt_f32_e32 vcc, v12, v10
	v_cndmask_b32_e32 v10, v10, v12, vcc
	s_nop 1
	v_mov_b32_dpp v11, v10 quad_perm:[2,3,0,1] row_mask:0xf bank_mask:0xf
	v_cmp_gt_f32_e32 vcc, v10, v11
	v_cndmask_b32_e32 v10, v11, v10, vcc
	s_nop 1
	v_mov_b32_dpp v11, v10 row_half_mirror row_mask:0xf bank_mask:0xf
	v_cmp_gt_f32_e32 vcc, v10, v11
	v_cndmask_b32_e32 v10, v11, v10, vcc
	s_nop 1
	v_mov_b32_dpp v11, v10 row_mirror row_mask:0xf bank_mask:0xf
	v_cmp_gt_f32_e32 vcc, v10, v11
	v_cndmask_b32_e32 v10, v11, v10, vcc
	s_nop 1
	v_mov_b32_dpp v11, v10 row_bcast:15 row_mask:0xf bank_mask:0xf
	v_cmp_gt_f32_e32 vcc, v10, v11
	v_cndmask_b32_e32 v10, v11, v10, vcc
	s_nop 1
	v_mov_b32_dpp v11, v10 row_bcast:31 row_mask:0xf bank_mask:0xf
	s_and_saveexec_b64 s[2:3], s[0:1]
	s_cbranch_execz .LBB71_45
; %bb.44:
	v_lshrrev_b32_e32 v12, 4, v0
	v_cmp_gt_f32_e32 vcc, v10, v11
	v_and_b32_e32 v12, 60, v12
	v_cndmask_b32_e32 v10, v11, v10, vcc
	ds_write_b32 v12, v10
.LBB71_45:
	s_or_b64 exec, exec, s[2:3]
	s_waitcnt lgkmcnt(0)
	s_barrier
	ds_read_b32 v10, v14
	v_cmp_eq_u32_e64 s[2:3], 0, v0
	s_waitcnt lgkmcnt(0)
	v_mov_b32_dpp v11, v10 quad_perm:[1,0,3,2] row_mask:0xf bank_mask:0xf
	v_cmp_gt_f32_e32 vcc, v10, v11
	v_cndmask_b32_e32 v10, v11, v10, vcc
	v_mul_f32_e32 v13, 0x3b124925, v10
	v_pk_mov_b32 v[10:11], s[6:7], s[6:7] op_sel:[0,1]
.LBB71_46:
	s_and_saveexec_b64 s[0:1], s[2:3]
	s_cbranch_execz .LBB71_48
; %bb.47:
	v_lshlrev_b64 v[10:11], 2, v[10:11]
	v_mov_b32_e32 v0, s13
	v_add_co_u32_e32 v10, vcc, s12, v10
	v_addc_co_u32_e32 v11, vcc, v0, v11, vcc
	global_store_dword v[10:11], v13, off
.LBB71_48:
	s_or_b64 exec, exec, s[0:1]
	s_add_i32 s2, s9, 3
	s_load_dwordx2 s[0:1], s[4:5], 0x0
	s_ashr_i32 s3, s2, 31
	s_lshr_b32 s3, s3, 30
	;;#ASMSTART
	v_rcp_f32 v10, v13
	;;#ASMEND
	v_mov_b32_e32 v11, v10
	;;#ASMSTART
	v_pk_mul_f32 v[8:9], v[8:9], v[10:11]
	;;#ASMEND
	s_add_i32 s2, s2, s3
	s_ashr_i32 s3, s10, 31
	v_mov_b32_e32 v0, 0xc3e00000
	v_mov_b32_e32 v12, 0x43e00000
	;;#ASMSTART
	v_med3_f32 v8, v8, v0, v12
v_med3_f32 v9, v9, v0, v12
v_cvt_pk_fp8_f32 v13, v8, v9
	;;#ASMEND
	;;#ASMSTART
	v_pk_mul_f32 v[6:7], v[6:7], v[10:11]
	;;#ASMEND
	s_mul_hi_u32 s4, s10, s6
	s_mul_i32 s3, s3, s6
	;;#ASMSTART
	v_med3_f32 v6, v6, v0, v12
v_med3_f32 v7, v7, v0, v12
v_cvt_pk_fp8_f32 v8, v6, v7
	;;#ASMEND
	s_mov_b32 s5, 0x5040100
	s_and_b32 s2, s2, -4
	s_add_i32 s4, s4, s3
	s_mul_i32 s3, s10, s6
	v_perm_b32 v7, v8, v13, s5
	s_movk_i32 s5, 0xff
	s_waitcnt lgkmcnt(0)
	s_add_u32 s0, s0, s3
	v_and_b32_e32 v6, 0xffffff00, v8
	v_and_b32_sdwa v8, v7, s5 dst_sel:DWORD dst_unused:UNUSED_PAD src0_sel:WORD_1 src1_sel:DWORD
	s_addc_u32 s1, s1, s4
	s_mov_b32 s4, 0xffff
	v_or_b32_sdwa v6, v8, v6 dst_sel:WORD_1 dst_unused:UNUSED_PAD src0_sel:DWORD src1_sel:DWORD
	;;#ASMSTART
	v_pk_mul_f32 v[4:5], v[4:5], v[10:11]
	;;#ASMEND
	v_and_or_b32 v6, v7, s4, v6
	;;#ASMSTART
	v_med3_f32 v4, v4, v0, v12
v_med3_f32 v5, v5, v0, v12
v_cvt_pk_fp8_f32 v7, v4, v5
	;;#ASMEND
	;;#ASMSTART
	v_pk_mul_f32 v[2:3], v[2:3], v[10:11]
	;;#ASMEND
	;;#ASMSTART
	v_med3_f32 v2, v2, v0, v12
v_med3_f32 v3, v3, v0, v12
v_cvt_pk_fp8_f32 v0, v2, v3
	;;#ASMEND
	v_lshlrev_b32_e32 v0, 16, v0
	s_and_b32 s1, s1, 0xffff
	s_mov_b32 s3, 0x20000
	v_and_or_b32 v7, v7, s4, v0
	buffer_store_dwordx2 v[6:7], v1, s[0:3], 0 offen
	;;#ASMSTART
	s_nop 0
	;;#ASMEND
.LBB71_49:
	s_endpgm
.LBB71_50:
                                        ; implicit-def: $vgpr10_vgpr11
	s_branch .LBB71_37
	.section	.rodata,"a",@progbits
	.p2align	6, 0x0
	.amdhsa_kernel _ZN5aiter24add_rmsnorm_quant_kernelIDF16_DB8_Li128ELi8ELb0ELb1ELb0ELi1EEEvPT0_PT_PfS5_S5_S5_diiiiiiib
		.amdhsa_group_segment_fixed_size 16
		.amdhsa_private_segment_fixed_size 0
		.amdhsa_kernarg_size 88
		.amdhsa_user_sgpr_count 6
		.amdhsa_user_sgpr_private_segment_buffer 1
		.amdhsa_user_sgpr_dispatch_ptr 0
		.amdhsa_user_sgpr_queue_ptr 0
		.amdhsa_user_sgpr_kernarg_segment_ptr 1
		.amdhsa_user_sgpr_dispatch_id 0
		.amdhsa_user_sgpr_flat_scratch_init 0
		.amdhsa_user_sgpr_kernarg_preload_length 0
		.amdhsa_user_sgpr_kernarg_preload_offset 0
		.amdhsa_user_sgpr_private_segment_size 0
		.amdhsa_uses_dynamic_stack 0
		.amdhsa_system_sgpr_private_segment_wavefront_offset 0
		.amdhsa_system_sgpr_workgroup_id_x 1
		.amdhsa_system_sgpr_workgroup_id_y 0
		.amdhsa_system_sgpr_workgroup_id_z 0
		.amdhsa_system_sgpr_workgroup_info 0
		.amdhsa_system_vgpr_workitem_id 0
		.amdhsa_next_free_vgpr 24
		.amdhsa_next_free_sgpr 34
		.amdhsa_accum_offset 24
		.amdhsa_reserve_vcc 1
		.amdhsa_reserve_flat_scratch 0
		.amdhsa_float_round_mode_32 0
		.amdhsa_float_round_mode_16_64 0
		.amdhsa_float_denorm_mode_32 3
		.amdhsa_float_denorm_mode_16_64 3
		.amdhsa_dx10_clamp 1
		.amdhsa_ieee_mode 1
		.amdhsa_fp16_overflow 0
		.amdhsa_tg_split 0
		.amdhsa_exception_fp_ieee_invalid_op 0
		.amdhsa_exception_fp_denorm_src 0
		.amdhsa_exception_fp_ieee_div_zero 0
		.amdhsa_exception_fp_ieee_overflow 0
		.amdhsa_exception_fp_ieee_underflow 0
		.amdhsa_exception_fp_ieee_inexact 0
		.amdhsa_exception_int_div_zero 0
	.end_amdhsa_kernel
	.section	.text._ZN5aiter24add_rmsnorm_quant_kernelIDF16_DB8_Li128ELi8ELb0ELb1ELb0ELi1EEEvPT0_PT_PfS5_S5_S5_diiiiiiib,"axG",@progbits,_ZN5aiter24add_rmsnorm_quant_kernelIDF16_DB8_Li128ELi8ELb0ELb1ELb0ELi1EEEvPT0_PT_PfS5_S5_S5_diiiiiiib,comdat
.Lfunc_end71:
	.size	_ZN5aiter24add_rmsnorm_quant_kernelIDF16_DB8_Li128ELi8ELb0ELb1ELb0ELi1EEEvPT0_PT_PfS5_S5_S5_diiiiiiib, .Lfunc_end71-_ZN5aiter24add_rmsnorm_quant_kernelIDF16_DB8_Li128ELi8ELb0ELb1ELb0ELi1EEEvPT0_PT_PfS5_S5_S5_diiiiiiib
                                        ; -- End function
	.section	.AMDGPU.csdata,"",@progbits
; Kernel info:
; codeLenInByte = 3116
; NumSgprs: 38
; NumVgprs: 24
; NumAgprs: 0
; TotalNumVgprs: 24
; ScratchSize: 0
; MemoryBound: 0
; FloatMode: 240
; IeeeMode: 1
; LDSByteSize: 16 bytes/workgroup (compile time only)
; SGPRBlocks: 4
; VGPRBlocks: 2
; NumSGPRsForWavesPerEU: 38
; NumVGPRsForWavesPerEU: 24
; AccumOffset: 24
; Occupancy: 8
; WaveLimiterHint : 0
; COMPUTE_PGM_RSRC2:SCRATCH_EN: 0
; COMPUTE_PGM_RSRC2:USER_SGPR: 6
; COMPUTE_PGM_RSRC2:TRAP_HANDLER: 0
; COMPUTE_PGM_RSRC2:TGID_X_EN: 1
; COMPUTE_PGM_RSRC2:TGID_Y_EN: 0
; COMPUTE_PGM_RSRC2:TGID_Z_EN: 0
; COMPUTE_PGM_RSRC2:TIDIG_COMP_CNT: 0
; COMPUTE_PGM_RSRC3_GFX90A:ACCUM_OFFSET: 5
; COMPUTE_PGM_RSRC3_GFX90A:TG_SPLIT: 0
	.section	.text._ZN5aiter24add_rmsnorm_quant_kernelItDB8_Li128ELi8ELb0ELb1ELb0ELi1EEEvPT0_PT_PfS5_S5_S5_diiiiiiib,"axG",@progbits,_ZN5aiter24add_rmsnorm_quant_kernelItDB8_Li128ELi8ELb0ELb1ELb0ELi1EEEvPT0_PT_PfS5_S5_S5_diiiiiiib,comdat
	.protected	_ZN5aiter24add_rmsnorm_quant_kernelItDB8_Li128ELi8ELb0ELb1ELb0ELi1EEEvPT0_PT_PfS5_S5_S5_diiiiiiib ; -- Begin function _ZN5aiter24add_rmsnorm_quant_kernelItDB8_Li128ELi8ELb0ELb1ELb0ELi1EEEvPT0_PT_PfS5_S5_S5_diiiiiiib
	.globl	_ZN5aiter24add_rmsnorm_quant_kernelItDB8_Li128ELi8ELb0ELb1ELb0ELi1EEEvPT0_PT_PfS5_S5_S5_diiiiiiib
	.p2align	8
	.type	_ZN5aiter24add_rmsnorm_quant_kernelItDB8_Li128ELi8ELb0ELb1ELb0ELi1EEEvPT0_PT_PfS5_S5_S5_diiiiiiib,@function
_ZN5aiter24add_rmsnorm_quant_kernelItDB8_Li128ELi8ELb0ELb1ELb0ELi1EEEvPT0_PT_PfS5_S5_S5_diiiiiiib: ; @_ZN5aiter24add_rmsnorm_quant_kernelItDB8_Li128ELi8ELb0ELb1ELb0ELi1EEEvPT0_PT_PfS5_S5_S5_diiiiiiib
; %bb.0:
	s_load_dwordx4 s[8:11], s[4:5], 0x38
	s_mov_b32 s7, 0
	s_waitcnt lgkmcnt(0)
	s_ashr_i32 s0, s8, 31
	v_mov_b32_e32 v2, s8
	v_mov_b32_e32 v3, s0
	v_cmp_ge_i64_e32 vcc, s[6:7], v[2:3]
	s_cbranch_vccnz .LBB72_49
; %bb.1:
	s_load_dwordx4 s[12:15], s[4:5], 0x10
	s_load_dwordx4 s[0:3], s[4:5], 0x28
	s_ashr_i32 s11, s10, 31
	s_mul_hi_u32 s16, s10, s6
	s_mul_i32 s11, s11, s6
	s_add_i32 s11, s16, s11
	s_mul_i32 s10, s10, s6
	s_lshl_b64 s[10:11], s[10:11], 1
	s_waitcnt lgkmcnt(0)
	s_add_u32 s16, s14, s10
	s_addc_u32 s10, s15, s11
	s_add_i32 s11, s9, 1
	s_lshr_b32 s14, s11, 31
	s_add_i32 s11, s11, s14
	s_lshl_b32 s11, s11, 1
	s_and_b32 s18, s11, -4
	s_and_b32 s17, s10, 0xffff
	s_mov_b32 s19, 0x20000
	v_lshlrev_b32_e32 v1, 4, v0
	buffer_load_dwordx4 v[14:17], v1, s[16:19], 0 offen glc slc
	s_mov_b32 s16, s0
	s_and_b32 s17, s1, 0xffff
	buffer_load_dwordx4 v[2:5], v1, s[16:19], 0 offen
	v_and_b32_e32 v22, 63, v0
	v_cmp_eq_u32_e64 s[0:1], 63, v22
	s_waitcnt vmcnt(1)
	v_cvt_f32_u32_sdwa v13, v14 dst_sel:DWORD dst_unused:UNUSED_PAD src0_sel:WORD_1
	v_cvt_f32_u32_sdwa v12, v14 dst_sel:DWORD dst_unused:UNUSED_PAD src0_sel:WORD_0
	v_cvt_f32_u32_sdwa v11, v15 dst_sel:DWORD dst_unused:UNUSED_PAD src0_sel:WORD_1
	v_cvt_f32_u32_sdwa v10, v15 dst_sel:DWORD dst_unused:UNUSED_PAD src0_sel:WORD_0
	;; [unrolled: 2-line block ×3, first 2 shown]
	v_pk_mul_f32 v[14:15], v[12:13], v[12:13]
	v_cvt_f32_u32_sdwa v7, v17 dst_sel:DWORD dst_unused:UNUSED_PAD src0_sel:WORD_1
	v_cvt_f32_u32_sdwa v6, v17 dst_sel:DWORD dst_unused:UNUSED_PAD src0_sel:WORD_0
	v_pk_mul_f32 v[16:17], v[10:11], v[10:11]
	v_add_f32_e32 v1, v14, v15
	v_add_f32_e32 v1, v16, v1
	v_pk_mul_f32 v[18:19], v[8:9], v[8:9]
	v_add_f32_e32 v1, v17, v1
	v_add_f32_e32 v1, v18, v1
	;; [unrolled: 3-line block ×3, first 2 shown]
	v_add_f32_e32 v1, v21, v1
	s_nop 1
	v_mov_b32_dpp v14, v1 quad_perm:[1,0,3,2] row_mask:0xf bank_mask:0xf
	v_add_f32_e32 v1, v1, v14
	s_nop 1
	v_mov_b32_dpp v14, v1 quad_perm:[2,3,0,1] row_mask:0xf bank_mask:0xf
	v_add_f32_e32 v1, v1, v14
	s_nop 1
	v_mov_b32_dpp v14, v1 row_half_mirror row_mask:0xf bank_mask:0xf
	v_add_f32_e32 v1, v1, v14
	s_nop 1
	v_mov_b32_dpp v14, v1 row_mirror row_mask:0xf bank_mask:0xf
	v_add_f32_e32 v1, v1, v14
	s_nop 1
	v_mov_b32_dpp v14, v1 row_bcast:15 row_mask:0xf bank_mask:0xf
	v_add_f32_e32 v1, v1, v14
	s_nop 1
	v_mov_b32_dpp v14, v1 row_bcast:31 row_mask:0xf bank_mask:0xf
	s_and_saveexec_b64 s[10:11], s[0:1]
	s_cbranch_execz .LBB72_3
; %bb.2:
	v_lshrrev_b32_e32 v15, 4, v0
	v_and_b32_e32 v15, 60, v15
	v_add_f32_e32 v1, v1, v14
	ds_write_b32 v15, v1 offset:8
.LBB72_3:
	s_or_b64 exec, exec, s[10:11]
	v_and_b32_e32 v1, 1, v0
	v_lshlrev_b32_e32 v14, 2, v1
	s_waitcnt lgkmcnt(0)
	s_barrier
	ds_read_b32 v1, v14 offset:8
	v_cvt_f32_i32_e32 v15, s9
	s_waitcnt vmcnt(0)
	v_cvt_f32_u32_sdwa v21, v3 dst_sel:DWORD dst_unused:UNUSED_PAD src0_sel:WORD_1
	v_cvt_f32_u32_sdwa v23, v5 dst_sel:DWORD dst_unused:UNUSED_PAD src0_sel:WORD_1
	v_cvt_f32_u32_sdwa v22, v5 dst_sel:DWORD dst_unused:UNUSED_PAD src0_sel:WORD_0
	s_waitcnt lgkmcnt(0)
	v_mov_b32_dpp v16, v1 quad_perm:[1,0,3,2] row_mask:0xf bank_mask:0xf
	v_add_f32_e32 v1, v1, v16
	v_div_scale_f32 v16, s[10:11], v15, v15, v1
	v_rcp_f32_e32 v17, v16
	v_div_scale_f32 v18, vcc, v1, v15, v1
	s_load_dwordx2 s[10:11], s[4:5], 0x4c
	s_load_dword s14, s[4:5], 0x54
	v_fma_f32 v19, -v16, v17, 1.0
	v_fmac_f32_e32 v17, v19, v17
	v_mul_f32_e32 v19, v18, v17
	v_fma_f32 v20, -v16, v19, v18
	v_fmac_f32_e32 v19, v20, v17
	v_fma_f32 v16, -v16, v19, v18
	v_div_fmas_f32 v16, v16, v17, v19
	v_div_fixup_f32 v1, v16, v15, v1
	v_cvt_f64_f32_e32 v[16:17], v1
	v_add_f64 v[16:17], v[16:17], s[2:3]
	v_cvt_f32_f64_e32 v1, v[16:17]
	s_mov_b32 s2, 0x800000
	v_mul_f32_e32 v15, 0x4b800000, v1
	v_cmp_gt_f32_e32 vcc, s2, v1
	v_cndmask_b32_e32 v1, v1, v15, vcc
	v_rsq_f32_e32 v15, v1
	v_cvt_f32_u32_sdwa v20, v3 dst_sel:DWORD dst_unused:UNUSED_PAD src0_sel:WORD_0
	v_cvt_f32_u32_sdwa v3, v4 dst_sel:DWORD dst_unused:UNUSED_PAD src0_sel:WORD_1
	v_lshlrev_b32_e32 v1, 3, v0
	v_mul_f32_e32 v16, 0x45800000, v15
	v_cndmask_b32_e32 v16, v15, v16, vcc
	v_mov_b32_e32 v17, v16
	;;#ASMSTART
	v_pk_mul_f32 v[12:13], v[12:13], v[16:17]
	;;#ASMEND
	;;#ASMSTART
	v_pk_mul_f32 v[10:11], v[10:11], v[16:17]
	;;#ASMEND
	;; [unrolled: 3-line block ×4, first 2 shown]
	v_cvt_f32_u32_sdwa v7, v2 dst_sel:DWORD dst_unused:UNUSED_PAD src0_sel:WORD_1
	v_cvt_f32_u32_sdwa v6, v2 dst_sel:DWORD dst_unused:UNUSED_PAD src0_sel:WORD_0
	v_cvt_f32_u32_sdwa v2, v4 dst_sel:DWORD dst_unused:UNUSED_PAD src0_sel:WORD_0
	;;#ASMSTART
	v_pk_mul_f32 v[8:9], v[12:13], v[6:7]
	;;#ASMEND
	;;#ASMSTART
	v_pk_mul_f32 v[6:7], v[10:11], v[20:21]
	;;#ASMEND
	v_and_b32_e32 v10, 0x7fffffff, v8
	v_mov_b32_e32 v12, 0x2edbe6ff
	;;#ASMSTART
	v_pk_mul_f32 v[4:5], v[18:19], v[2:3]
	;;#ASMEND
	;;#ASMSTART
	v_pk_mul_f32 v[2:3], v[16:17], v[22:23]
	;;#ASMEND
	v_and_b32_e32 v11, 0x7fffffff, v9
	;;#ASMSTART
	v_max3_f32 v10, v12, v10, v11

	;;#ASMEND
	v_and_b32_e32 v12, 0x7fffffff, v7
	v_and_b32_e32 v11, 0x7fffffff, v6
	;;#ASMSTART
	v_max3_f32 v10, v10, v11, v12

	;;#ASMEND
	v_and_b32_e32 v12, 0x7fffffff, v5
	;; [unrolled: 6-line block ×3, first 2 shown]
	s_waitcnt lgkmcnt(0)
	s_cmp_lg_u32 s11, 0
	v_and_b32_e32 v11, 0x7fffffff, v2
	;;#ASMSTART
	v_max3_f32 v12, v10, v11, v12

	;;#ASMEND
	s_cbranch_scc0 .LBB72_10
; %bb.4:
	s_ashr_i32 s15, s11, 31
	s_lshr_b32 s2, s15, 29
	s_add_i32 s2, s11, s2
	s_ashr_i32 s18, s2, 3
	s_cmp_lt_i32 s18, 16
	s_cbranch_scc1 .LBB72_11
; %bb.5:
	s_cmp_lt_i32 s18, 32
	s_cbranch_scc1 .LBB72_12
; %bb.6:
	;; [unrolled: 3-line block ×3, first 2 shown]
	s_cmp_eq_u32 s18, 64
	v_mov_b32_e32 v10, v12
	s_cbranch_scc0 .LBB72_9
; %bb.8:
	s_nop 0
	v_mov_b32_dpp v10, v12 quad_perm:[1,0,3,2] row_mask:0xf bank_mask:0xf
	v_cmp_gt_f32_e32 vcc, v12, v10
	v_cndmask_b32_e32 v10, v10, v12, vcc
	v_bfrev_b32_e32 v13, 0.5
	s_nop 0
	v_mov_b32_dpp v11, v10 quad_perm:[2,3,0,1] row_mask:0xf bank_mask:0xf
	v_cmp_gt_f32_e32 vcc, v10, v11
	v_cndmask_b32_e32 v10, v11, v10, vcc
	s_nop 1
	v_mov_b32_dpp v11, v10 row_ror:4 row_mask:0xf bank_mask:0xf
	v_cmp_gt_f32_e32 vcc, v10, v11
	v_cndmask_b32_e32 v10, v11, v10, vcc
	s_nop 1
	v_mov_b32_dpp v11, v10 row_ror:8 row_mask:0xf bank_mask:0xf
	v_cmp_gt_f32_e32 vcc, v10, v11
	v_cndmask_b32_e32 v10, v11, v10, vcc
	s_nop 1
	v_mov_b32_dpp v11, v10 row_bcast:15 row_mask:0xf bank_mask:0xf
	v_cmp_gt_f32_e32 vcc, v10, v11
	v_cndmask_b32_e32 v10, v11, v10, vcc
	s_nop 1
	v_mov_b32_dpp v11, v10 row_bcast:31 row_mask:0xf bank_mask:0xf
	v_cmp_gt_f32_e32 vcc, v10, v11
	v_cndmask_b32_e32 v10, v11, v10, vcc
	v_mbcnt_lo_u32_b32 v11, -1, 0
	v_mbcnt_hi_u32_b32 v11, -1, v11
	v_lshl_or_b32 v11, v11, 2, v13
	ds_bpermute_b32 v10, v11, v10
.LBB72_9:
	s_mov_b64 s[2:3], 0
	s_branch .LBB72_14
.LBB72_10:
	s_mov_b64 s[2:3], 0
                                        ; implicit-def: $vgpr13
                                        ; implicit-def: $vgpr10_vgpr11
	s_cbranch_execnz .LBB72_43
	s_branch .LBB72_46
.LBB72_11:
                                        ; implicit-def: $vgpr10
	s_branch .LBB72_21
.LBB72_12:
                                        ; implicit-def: $vgpr10
	s_branch .LBB72_18
.LBB72_13:
	s_mov_b64 s[2:3], -1
                                        ; implicit-def: $vgpr10
.LBB72_14:
	s_andn2_b64 vcc, exec, s[2:3]
	s_cbranch_vccnz .LBB72_17
; %bb.15:
	s_cmp_eq_u32 s18, 32
	s_waitcnt lgkmcnt(0)
	v_mov_b32_e32 v10, v12
	s_cbranch_scc0 .LBB72_17
; %bb.16:
	s_nop 0
	v_mov_b32_dpp v10, v12 quad_perm:[1,0,3,2] row_mask:0xf bank_mask:0xf
	v_cmp_gt_f32_e32 vcc, v12, v10
	v_cndmask_b32_e32 v10, v10, v12, vcc
	v_mov_b32_e32 v13, 0x7c
	s_nop 0
	v_mov_b32_dpp v11, v10 quad_perm:[2,3,0,1] row_mask:0xf bank_mask:0xf
	v_cmp_gt_f32_e32 vcc, v10, v11
	v_cndmask_b32_e32 v10, v11, v10, vcc
	s_nop 1
	v_mov_b32_dpp v11, v10 row_half_mirror row_mask:0xf bank_mask:0xf
	v_cmp_gt_f32_e32 vcc, v10, v11
	v_cndmask_b32_e32 v10, v11, v10, vcc
	s_nop 1
	v_mov_b32_dpp v11, v10 row_mirror row_mask:0xf bank_mask:0xf
	v_cmp_gt_f32_e32 vcc, v10, v11
	v_cndmask_b32_e32 v10, v11, v10, vcc
	s_nop 1
	v_mov_b32_dpp v11, v10 row_bcast:15 row_mask:0xa bank_mask:0xf
	v_cmp_gt_f32_e32 vcc, v10, v11
	v_cndmask_b32_e32 v10, v11, v10, vcc
	v_mbcnt_lo_u32_b32 v11, -1, 0
	v_mbcnt_hi_u32_b32 v11, -1, v11
	v_lshl_or_b32 v11, v11, 2, v13
	ds_bpermute_b32 v10, v11, v10
.LBB72_17:
	s_cbranch_execnz .LBB72_20
.LBB72_18:
	s_cmp_eq_u32 s18, 16
	s_waitcnt lgkmcnt(0)
	v_mov_b32_e32 v10, v12
	s_cbranch_scc0 .LBB72_20
; %bb.19:
	s_nop 0
	v_mov_b32_dpp v10, v12 quad_perm:[1,0,3,2] row_mask:0xf bank_mask:0xf
	v_cmp_gt_f32_e32 vcc, v12, v10
	v_cndmask_b32_e32 v10, v10, v12, vcc
	s_nop 1
	v_mov_b32_dpp v11, v10 quad_perm:[2,3,0,1] row_mask:0xf bank_mask:0xf
	v_cmp_gt_f32_e32 vcc, v10, v11
	v_cndmask_b32_e32 v10, v11, v10, vcc
	s_nop 1
	v_mov_b32_dpp v11, v10 row_half_mirror row_mask:0xf bank_mask:0xf
	v_cmp_gt_f32_e32 vcc, v10, v11
	v_cndmask_b32_e32 v10, v11, v10, vcc
	s_nop 1
	v_mov_b32_dpp v11, v10 row_mirror row_mask:0xf bank_mask:0xf
	v_cmp_gt_f32_e32 vcc, v10, v11
	v_cndmask_b32_e32 v10, v11, v10, vcc
.LBB72_20:
	s_cbranch_execnz .LBB72_33
.LBB72_21:
	s_cmp_lt_i32 s18, 4
	s_cbranch_scc1 .LBB72_25
; %bb.22:
	s_cmp_lt_i32 s18, 8
	s_cbranch_scc1 .LBB72_26
; %bb.23:
	s_cmp_eq_u32 s18, 8
	s_waitcnt lgkmcnt(0)
	v_mov_b32_e32 v10, v12
	s_cbranch_scc0 .LBB72_27
; %bb.24:
	s_nop 0
	v_mov_b32_dpp v10, v12 quad_perm:[1,0,3,2] row_mask:0xf bank_mask:0xf
	v_cmp_gt_f32_e32 vcc, v12, v10
	v_cndmask_b32_e32 v10, v10, v12, vcc
	s_nop 1
	v_mov_b32_dpp v11, v10 quad_perm:[2,3,0,1] row_mask:0xf bank_mask:0xf
	v_cmp_gt_f32_e32 vcc, v10, v11
	v_cndmask_b32_e32 v10, v11, v10, vcc
	s_nop 1
	v_mov_b32_dpp v11, v10 row_half_mirror row_mask:0xf bank_mask:0xf
	v_cmp_gt_f32_e32 vcc, v10, v11
	v_cndmask_b32_e32 v10, v11, v10, vcc
	s_cbranch_execz .LBB72_28
	s_branch .LBB72_30
.LBB72_25:
                                        ; implicit-def: $vgpr10
	s_branch .LBB72_31
.LBB72_26:
                                        ; implicit-def: $vgpr10
	s_branch .LBB72_28
.LBB72_27:
	s_cbranch_execnz .LBB72_30
.LBB72_28:
	s_cmp_eq_u32 s18, 4
	s_waitcnt lgkmcnt(0)
	v_mov_b32_e32 v10, v12
	s_cbranch_scc0 .LBB72_30
; %bb.29:
	s_nop 0
	v_mov_b32_dpp v10, v12 quad_perm:[1,0,3,2] row_mask:0xf bank_mask:0xf
	v_cmp_gt_f32_e32 vcc, v12, v10
	v_cndmask_b32_e32 v10, v10, v12, vcc
	s_nop 1
	v_mov_b32_dpp v11, v10 quad_perm:[2,3,0,1] row_mask:0xf bank_mask:0xf
	v_cmp_gt_f32_e32 vcc, v10, v11
	v_cndmask_b32_e32 v10, v11, v10, vcc
.LBB72_30:
	s_cbranch_execnz .LBB72_33
.LBB72_31:
	s_cmp_lg_u32 s18, 2
	s_waitcnt lgkmcnt(0)
	v_mov_b32_e32 v10, v12
	s_cbranch_scc1 .LBB72_33
; %bb.32:
	s_nop 0
	v_mov_b32_dpp v10, v12 quad_perm:[1,0,3,2] row_mask:0xf bank_mask:0xf
	v_cmp_gt_f32_e32 vcc, v12, v10
	v_cndmask_b32_e32 v10, v10, v12, vcc
.LBB72_33:
	v_cvt_f32_u32_e32 v11, s18
	s_waitcnt lgkmcnt(0)
	v_mul_f32_e32 v13, 0x3b124925, v10
	s_sub_i32 s2, 0, s18
	v_cmp_gt_u32_e32 vcc, s9, v1
	v_rcp_iflag_f32_e32 v11, v11
	s_mov_b64 s[16:17], 0
	v_mul_f32_e32 v10, 0x4f7ffffe, v11
	v_cvt_u32_f32_e32 v10, v10
	v_mul_lo_u32 v11, s2, v10
	v_mul_hi_u32 v11, v10, v11
	v_add_u32_e32 v10, v10, v11
	v_mul_hi_u32 v10, v0, v10
	v_mul_lo_u32 v11, v10, s18
	v_sub_u32_e32 v11, v0, v11
	v_add_u32_e32 v15, 1, v10
	v_cmp_le_u32_e64 s[2:3], s18, v11
	v_cndmask_b32_e64 v10, v10, v15, s[2:3]
	v_subrev_u32_e32 v15, s18, v11
	v_cndmask_b32_e64 v11, v11, v15, s[2:3]
	v_add_u32_e32 v15, 1, v10
	v_cmp_le_u32_e64 s[2:3], s18, v11
	v_cndmask_b32_e64 v15, v10, v15, s[2:3]
	v_mul_lo_u32 v10, v15, s18
	v_sub_u32_e32 v10, v0, v10
	v_cmp_eq_u32_e64 s[2:3], 0, v10
	s_and_b64 s[18:19], s[2:3], vcc
	s_mov_b64 s[2:3], 0
                                        ; implicit-def: $vgpr10_vgpr11
	s_and_saveexec_b64 s[20:21], s[18:19]
	s_xor_b64 s[18:19], exec, s[20:21]
	s_cbranch_execz .LBB72_42
; %bb.34:
	s_bitcmp0_b32 s14, 0
	s_cbranch_scc0 .LBB72_39
; %bb.35:
	s_ashr_i32 s2, s9, 31
	s_mul_hi_u32 s3, s9, s6
	s_mul_i32 s2, s2, s6
	s_add_i32 s21, s3, s2
	s_mul_i32 s20, s9, s6
	s_mov_b32 s14, s11
	s_or_b64 s[2:3], s[20:21], s[14:15]
	s_mov_b32 s2, 0
	s_cmp_lg_u64 s[2:3], 0
	s_cbranch_scc0 .LBB72_50
; %bb.36:
	s_add_u32 s2, s14, s15
	s_mov_b32 s24, s15
	s_mov_b32 s25, s15
	s_addc_u32 s3, s15, s15
	s_xor_b64 s[26:27], s[2:3], s[24:25]
	v_cvt_f32_u32_e32 v10, s26
	v_cvt_f32_u32_e32 v11, s27
	s_sub_u32 s2, 0, s26
	s_subb_u32 s3, 0, s27
	v_madmk_f32 v10, v11, 0x4f800000, v10
	v_rcp_f32_e32 v10, v10
	v_mul_f32_e32 v10, 0x5f7ffffc, v10
	v_mul_f32_e32 v11, 0x2f800000, v10
	v_trunc_f32_e32 v11, v11
	v_madmk_f32 v10, v11, 0xcf800000, v10
	v_cvt_u32_f32_e32 v11, v11
	v_cvt_u32_f32_e32 v10, v10
	v_readfirstlane_b32 s11, v11
	v_readfirstlane_b32 s15, v10
	s_mul_i32 s28, s2, s11
	s_mul_hi_u32 s30, s2, s15
	s_mul_i32 s29, s3, s15
	s_add_i32 s28, s30, s28
	s_add_i32 s28, s28, s29
	s_mul_i32 s31, s2, s15
	s_mul_hi_u32 s29, s15, s28
	s_mul_i32 s30, s15, s28
	s_mul_hi_u32 s15, s15, s31
	s_add_u32 s15, s15, s30
	s_addc_u32 s29, 0, s29
	s_mul_hi_u32 s33, s11, s31
	s_mul_i32 s31, s11, s31
	s_add_u32 s15, s15, s31
	s_mul_hi_u32 s30, s11, s28
	s_addc_u32 s15, s29, s33
	s_addc_u32 s29, s30, 0
	s_mul_i32 s28, s11, s28
	s_add_u32 s15, s15, s28
	s_addc_u32 s28, 0, s29
	v_add_co_u32_e32 v10, vcc, s15, v10
	s_cmp_lg_u64 vcc, 0
	s_addc_u32 s11, s11, s28
	v_readfirstlane_b32 s28, v10
	s_mul_i32 s15, s2, s11
	s_mul_hi_u32 s29, s2, s28
	s_add_i32 s15, s29, s15
	s_mul_i32 s3, s3, s28
	s_add_i32 s15, s15, s3
	s_mul_i32 s2, s2, s28
	s_mul_hi_u32 s29, s11, s2
	s_mul_i32 s30, s11, s2
	s_mul_i32 s33, s28, s15
	s_mul_hi_u32 s2, s28, s2
	s_mul_hi_u32 s31, s28, s15
	s_add_u32 s2, s2, s33
	s_addc_u32 s28, 0, s31
	s_add_u32 s2, s2, s30
	s_mul_hi_u32 s3, s11, s15
	s_addc_u32 s2, s28, s29
	s_addc_u32 s3, s3, 0
	s_mul_i32 s15, s11, s15
	s_add_u32 s2, s2, s15
	s_addc_u32 s3, 0, s3
	v_add_co_u32_e32 v10, vcc, s2, v10
	s_cmp_lg_u64 vcc, 0
	s_addc_u32 s11, s11, s3
	s_ashr_i32 s28, s21, 31
	s_add_u32 s2, s20, s28
	s_mov_b32 s29, s28
	s_addc_u32 s3, s21, s28
	s_xor_b64 s[30:31], s[2:3], s[28:29]
	v_readfirstlane_b32 s15, v10
	s_mul_i32 s3, s30, s11
	s_mul_hi_u32 s21, s30, s15
	s_mul_hi_u32 s2, s30, s11
	s_add_u32 s3, s21, s3
	s_addc_u32 s2, 0, s2
	s_mul_hi_u32 s33, s31, s15
	s_mul_i32 s15, s31, s15
	s_add_u32 s3, s3, s15
	s_mul_hi_u32 s21, s31, s11
	s_addc_u32 s2, s2, s33
	s_addc_u32 s3, s21, 0
	s_mul_i32 s11, s31, s11
	s_add_u32 s11, s2, s11
	s_addc_u32 s15, 0, s3
	s_mul_i32 s2, s26, s15
	s_mul_hi_u32 s3, s26, s11
	s_add_i32 s2, s3, s2
	s_mul_i32 s3, s27, s11
	s_add_i32 s21, s2, s3
	s_mul_i32 s3, s26, s11
	v_mov_b32_e32 v10, s3
	s_sub_i32 s2, s31, s21
	v_sub_co_u32_e32 v10, vcc, s30, v10
	s_cmp_lg_u64 vcc, 0
	s_subb_u32 s30, s2, s27
	v_subrev_co_u32_e64 v11, s[2:3], s26, v10
	s_cmp_lg_u64 s[2:3], 0
	s_subb_u32 s30, s30, 0
	s_cmp_ge_u32 s30, s27
	s_cselect_b32 s33, -1, 0
	v_cmp_le_u32_e64 s[2:3], s26, v11
	s_cmp_eq_u32 s30, s27
	v_cndmask_b32_e64 v11, 0, -1, s[2:3]
	v_mov_b32_e32 v16, s33
	s_cselect_b64 s[2:3], -1, 0
	v_cndmask_b32_e64 v11, v16, v11, s[2:3]
	s_add_u32 s2, s11, 1
	s_addc_u32 s30, s15, 0
	s_add_u32 s3, s11, 2
	s_addc_u32 s33, s15, 0
	v_mov_b32_e32 v16, s2
	v_mov_b32_e32 v17, s3
	v_cmp_ne_u32_e64 s[2:3], 0, v11
	v_cndmask_b32_e64 v11, v16, v17, s[2:3]
	v_mov_b32_e32 v16, s30
	v_mov_b32_e32 v17, s33
	s_cmp_lg_u64 vcc, 0
	v_cndmask_b32_e64 v16, v16, v17, s[2:3]
	s_subb_u32 s2, s31, s21
	s_cmp_ge_u32 s2, s27
	s_cselect_b32 s3, -1, 0
	v_cmp_le_u32_e32 vcc, s26, v10
	s_cmp_eq_u32 s2, s27
	v_cndmask_b32_e64 v10, 0, -1, vcc
	v_mov_b32_e32 v17, s3
	s_cselect_b64 vcc, -1, 0
	v_cndmask_b32_e32 v10, v17, v10, vcc
	v_mov_b32_e32 v17, s15
	v_cmp_ne_u32_e32 vcc, 0, v10
	v_cndmask_b32_e32 v10, v17, v16, vcc
	v_mov_b32_e32 v16, s11
	v_cndmask_b32_e32 v11, v16, v11, vcc
	s_xor_b64 s[2:3], s[28:29], s[24:25]
	v_xor_b32_e32 v11, s2, v11
	v_xor_b32_e32 v16, s3, v10
	v_mov_b32_e32 v17, s3
	v_subrev_co_u32_e32 v10, vcc, s2, v11
	v_subb_co_u32_e32 v11, vcc, v16, v17, vcc
	s_cbranch_execnz .LBB72_38
.LBB72_37:
	v_cvt_f32_u32_e32 v10, s14
	s_sub_i32 s2, 0, s14
	s_mov_b32 s3, 0
	v_rcp_iflag_f32_e32 v10, v10
	v_mul_f32_e32 v10, 0x4f7ffffe, v10
	v_cvt_u32_f32_e32 v10, v10
	v_readfirstlane_b32 s11, v10
	s_mul_i32 s2, s2, s11
	s_mul_hi_u32 s2, s11, s2
	s_add_i32 s11, s11, s2
	s_mul_hi_u32 s2, s20, s11
	s_mul_i32 s15, s2, s14
	s_sub_i32 s15, s20, s15
	s_add_i32 s11, s2, 1
	s_sub_i32 s20, s15, s14
	s_cmp_ge_u32 s15, s14
	s_cselect_b32 s2, s11, s2
	s_cselect_b32 s15, s20, s15
	s_add_i32 s11, s2, 1
	s_cmp_ge_u32 s15, s14
	s_cselect_b32 s2, s11, s2
	v_pk_mov_b32 v[10:11], s[2:3], s[2:3] op_sel:[0,1]
.LBB72_38:
	v_add_co_u32_e32 v10, vcc, v10, v15
	v_addc_co_u32_e32 v11, vcc, 0, v11, vcc
	s_branch .LBB72_41
.LBB72_39:
                                        ; implicit-def: $vgpr10_vgpr11
	s_cbranch_execz .LBB72_41
; %bb.40:
	v_mul_lo_u32 v10, v15, s8
	v_ashrrev_i32_e32 v11, 31, v10
	v_mov_b32_e32 v15, s7
	v_add_co_u32_e32 v10, vcc, s6, v10
	v_addc_co_u32_e32 v11, vcc, v11, v15, vcc
.LBB72_41:
	s_mov_b64 s[2:3], exec
.LBB72_42:
	s_or_b64 exec, exec, s[18:19]
	s_and_b64 vcc, exec, s[16:17]
	s_cbranch_vccz .LBB72_46
.LBB72_43:
	v_mov_b32_dpp v10, v12 quad_perm:[1,0,3,2] row_mask:0xf bank_mask:0xf
	v_cmp_gt_f32_e32 vcc, v12, v10
	v_cndmask_b32_e32 v10, v10, v12, vcc
	s_nop 1
	v_mov_b32_dpp v11, v10 quad_perm:[2,3,0,1] row_mask:0xf bank_mask:0xf
	v_cmp_gt_f32_e32 vcc, v10, v11
	v_cndmask_b32_e32 v10, v11, v10, vcc
	s_nop 1
	v_mov_b32_dpp v11, v10 row_half_mirror row_mask:0xf bank_mask:0xf
	v_cmp_gt_f32_e32 vcc, v10, v11
	v_cndmask_b32_e32 v10, v11, v10, vcc
	s_nop 1
	v_mov_b32_dpp v11, v10 row_mirror row_mask:0xf bank_mask:0xf
	v_cmp_gt_f32_e32 vcc, v10, v11
	v_cndmask_b32_e32 v10, v11, v10, vcc
	s_nop 1
	v_mov_b32_dpp v11, v10 row_bcast:15 row_mask:0xf bank_mask:0xf
	v_cmp_gt_f32_e32 vcc, v10, v11
	v_cndmask_b32_e32 v10, v11, v10, vcc
	s_nop 1
	v_mov_b32_dpp v11, v10 row_bcast:31 row_mask:0xf bank_mask:0xf
	s_and_saveexec_b64 s[2:3], s[0:1]
	s_cbranch_execz .LBB72_45
; %bb.44:
	v_lshrrev_b32_e32 v12, 4, v0
	v_cmp_gt_f32_e32 vcc, v10, v11
	v_and_b32_e32 v12, 60, v12
	v_cndmask_b32_e32 v10, v11, v10, vcc
	ds_write_b32 v12, v10
.LBB72_45:
	s_or_b64 exec, exec, s[2:3]
	s_waitcnt lgkmcnt(0)
	s_barrier
	ds_read_b32 v10, v14
	v_cmp_eq_u32_e64 s[2:3], 0, v0
	s_waitcnt lgkmcnt(0)
	v_mov_b32_dpp v11, v10 quad_perm:[1,0,3,2] row_mask:0xf bank_mask:0xf
	v_cmp_gt_f32_e32 vcc, v10, v11
	v_cndmask_b32_e32 v10, v11, v10, vcc
	v_mul_f32_e32 v13, 0x3b124925, v10
	v_pk_mov_b32 v[10:11], s[6:7], s[6:7] op_sel:[0,1]
.LBB72_46:
	s_and_saveexec_b64 s[0:1], s[2:3]
	s_cbranch_execz .LBB72_48
; %bb.47:
	v_lshlrev_b64 v[10:11], 2, v[10:11]
	v_mov_b32_e32 v0, s13
	v_add_co_u32_e32 v10, vcc, s12, v10
	v_addc_co_u32_e32 v11, vcc, v0, v11, vcc
	global_store_dword v[10:11], v13, off
.LBB72_48:
	s_or_b64 exec, exec, s[0:1]
	s_add_i32 s2, s9, 3
	s_load_dwordx2 s[0:1], s[4:5], 0x0
	s_ashr_i32 s3, s2, 31
	s_lshr_b32 s3, s3, 30
	;;#ASMSTART
	v_rcp_f32 v10, v13
	;;#ASMEND
	v_mov_b32_e32 v11, v10
	;;#ASMSTART
	v_pk_mul_f32 v[8:9], v[8:9], v[10:11]
	;;#ASMEND
	s_add_i32 s2, s2, s3
	s_ashr_i32 s3, s10, 31
	v_mov_b32_e32 v0, 0xc3e00000
	v_mov_b32_e32 v12, 0x43e00000
	;;#ASMSTART
	v_med3_f32 v8, v8, v0, v12
v_med3_f32 v9, v9, v0, v12
v_cvt_pk_fp8_f32 v13, v8, v9
	;;#ASMEND
	;;#ASMSTART
	v_pk_mul_f32 v[6:7], v[6:7], v[10:11]
	;;#ASMEND
	s_mul_hi_u32 s4, s10, s6
	s_mul_i32 s3, s3, s6
	;;#ASMSTART
	v_med3_f32 v6, v6, v0, v12
v_med3_f32 v7, v7, v0, v12
v_cvt_pk_fp8_f32 v8, v6, v7
	;;#ASMEND
	s_mov_b32 s5, 0x5040100
	s_and_b32 s2, s2, -4
	s_add_i32 s4, s4, s3
	s_mul_i32 s3, s10, s6
	v_perm_b32 v7, v8, v13, s5
	s_movk_i32 s5, 0xff
	s_waitcnt lgkmcnt(0)
	s_add_u32 s0, s0, s3
	v_and_b32_e32 v6, 0xffffff00, v8
	v_and_b32_sdwa v8, v7, s5 dst_sel:DWORD dst_unused:UNUSED_PAD src0_sel:WORD_1 src1_sel:DWORD
	s_addc_u32 s1, s1, s4
	s_mov_b32 s4, 0xffff
	v_or_b32_sdwa v6, v8, v6 dst_sel:WORD_1 dst_unused:UNUSED_PAD src0_sel:DWORD src1_sel:DWORD
	;;#ASMSTART
	v_pk_mul_f32 v[4:5], v[4:5], v[10:11]
	;;#ASMEND
	v_and_or_b32 v6, v7, s4, v6
	;;#ASMSTART
	v_med3_f32 v4, v4, v0, v12
v_med3_f32 v5, v5, v0, v12
v_cvt_pk_fp8_f32 v7, v4, v5
	;;#ASMEND
	;;#ASMSTART
	v_pk_mul_f32 v[2:3], v[2:3], v[10:11]
	;;#ASMEND
	;;#ASMSTART
	v_med3_f32 v2, v2, v0, v12
v_med3_f32 v3, v3, v0, v12
v_cvt_pk_fp8_f32 v0, v2, v3
	;;#ASMEND
	v_lshlrev_b32_e32 v0, 16, v0
	s_and_b32 s1, s1, 0xffff
	s_mov_b32 s3, 0x20000
	v_and_or_b32 v7, v7, s4, v0
	buffer_store_dwordx2 v[6:7], v1, s[0:3], 0 offen
	;;#ASMSTART
	s_nop 0
	;;#ASMEND
.LBB72_49:
	s_endpgm
.LBB72_50:
                                        ; implicit-def: $vgpr10_vgpr11
	s_branch .LBB72_37
	.section	.rodata,"a",@progbits
	.p2align	6, 0x0
	.amdhsa_kernel _ZN5aiter24add_rmsnorm_quant_kernelItDB8_Li128ELi8ELb0ELb1ELb0ELi1EEEvPT0_PT_PfS5_S5_S5_diiiiiiib
		.amdhsa_group_segment_fixed_size 16
		.amdhsa_private_segment_fixed_size 0
		.amdhsa_kernarg_size 88
		.amdhsa_user_sgpr_count 6
		.amdhsa_user_sgpr_private_segment_buffer 1
		.amdhsa_user_sgpr_dispatch_ptr 0
		.amdhsa_user_sgpr_queue_ptr 0
		.amdhsa_user_sgpr_kernarg_segment_ptr 1
		.amdhsa_user_sgpr_dispatch_id 0
		.amdhsa_user_sgpr_flat_scratch_init 0
		.amdhsa_user_sgpr_kernarg_preload_length 0
		.amdhsa_user_sgpr_kernarg_preload_offset 0
		.amdhsa_user_sgpr_private_segment_size 0
		.amdhsa_uses_dynamic_stack 0
		.amdhsa_system_sgpr_private_segment_wavefront_offset 0
		.amdhsa_system_sgpr_workgroup_id_x 1
		.amdhsa_system_sgpr_workgroup_id_y 0
		.amdhsa_system_sgpr_workgroup_id_z 0
		.amdhsa_system_sgpr_workgroup_info 0
		.amdhsa_system_vgpr_workitem_id 0
		.amdhsa_next_free_vgpr 24
		.amdhsa_next_free_sgpr 34
		.amdhsa_accum_offset 24
		.amdhsa_reserve_vcc 1
		.amdhsa_reserve_flat_scratch 0
		.amdhsa_float_round_mode_32 0
		.amdhsa_float_round_mode_16_64 0
		.amdhsa_float_denorm_mode_32 3
		.amdhsa_float_denorm_mode_16_64 3
		.amdhsa_dx10_clamp 1
		.amdhsa_ieee_mode 1
		.amdhsa_fp16_overflow 0
		.amdhsa_tg_split 0
		.amdhsa_exception_fp_ieee_invalid_op 0
		.amdhsa_exception_fp_denorm_src 0
		.amdhsa_exception_fp_ieee_div_zero 0
		.amdhsa_exception_fp_ieee_overflow 0
		.amdhsa_exception_fp_ieee_underflow 0
		.amdhsa_exception_fp_ieee_inexact 0
		.amdhsa_exception_int_div_zero 0
	.end_amdhsa_kernel
	.section	.text._ZN5aiter24add_rmsnorm_quant_kernelItDB8_Li128ELi8ELb0ELb1ELb0ELi1EEEvPT0_PT_PfS5_S5_S5_diiiiiiib,"axG",@progbits,_ZN5aiter24add_rmsnorm_quant_kernelItDB8_Li128ELi8ELb0ELb1ELb0ELi1EEEvPT0_PT_PfS5_S5_S5_diiiiiiib,comdat
.Lfunc_end72:
	.size	_ZN5aiter24add_rmsnorm_quant_kernelItDB8_Li128ELi8ELb0ELb1ELb0ELi1EEEvPT0_PT_PfS5_S5_S5_diiiiiiib, .Lfunc_end72-_ZN5aiter24add_rmsnorm_quant_kernelItDB8_Li128ELi8ELb0ELb1ELb0ELi1EEEvPT0_PT_PfS5_S5_S5_diiiiiiib
                                        ; -- End function
	.section	.AMDGPU.csdata,"",@progbits
; Kernel info:
; codeLenInByte = 3148
; NumSgprs: 38
; NumVgprs: 24
; NumAgprs: 0
; TotalNumVgprs: 24
; ScratchSize: 0
; MemoryBound: 0
; FloatMode: 240
; IeeeMode: 1
; LDSByteSize: 16 bytes/workgroup (compile time only)
; SGPRBlocks: 4
; VGPRBlocks: 2
; NumSGPRsForWavesPerEU: 38
; NumVGPRsForWavesPerEU: 24
; AccumOffset: 24
; Occupancy: 8
; WaveLimiterHint : 0
; COMPUTE_PGM_RSRC2:SCRATCH_EN: 0
; COMPUTE_PGM_RSRC2:USER_SGPR: 6
; COMPUTE_PGM_RSRC2:TRAP_HANDLER: 0
; COMPUTE_PGM_RSRC2:TGID_X_EN: 1
; COMPUTE_PGM_RSRC2:TGID_Y_EN: 0
; COMPUTE_PGM_RSRC2:TGID_Z_EN: 0
; COMPUTE_PGM_RSRC2:TIDIG_COMP_CNT: 0
; COMPUTE_PGM_RSRC3_GFX90A:ACCUM_OFFSET: 5
; COMPUTE_PGM_RSRC3_GFX90A:TG_SPLIT: 0
	.section	.text._ZN5aiter24add_rmsnorm_quant_kernelIDF16_DB8_Li256ELi8ELb0ELb1ELb1ELi1EEEvPT0_PT_PfS5_S5_S5_diiiiiiib,"axG",@progbits,_ZN5aiter24add_rmsnorm_quant_kernelIDF16_DB8_Li256ELi8ELb0ELb1ELb1ELi1EEEvPT0_PT_PfS5_S5_S5_diiiiiiib,comdat
	.protected	_ZN5aiter24add_rmsnorm_quant_kernelIDF16_DB8_Li256ELi8ELb0ELb1ELb1ELi1EEEvPT0_PT_PfS5_S5_S5_diiiiiiib ; -- Begin function _ZN5aiter24add_rmsnorm_quant_kernelIDF16_DB8_Li256ELi8ELb0ELb1ELb1ELi1EEEvPT0_PT_PfS5_S5_S5_diiiiiiib
	.globl	_ZN5aiter24add_rmsnorm_quant_kernelIDF16_DB8_Li256ELi8ELb0ELb1ELb1ELi1EEEvPT0_PT_PfS5_S5_S5_diiiiiiib
	.p2align	8
	.type	_ZN5aiter24add_rmsnorm_quant_kernelIDF16_DB8_Li256ELi8ELb0ELb1ELb1ELi1EEEvPT0_PT_PfS5_S5_S5_diiiiiiib,@function
_ZN5aiter24add_rmsnorm_quant_kernelIDF16_DB8_Li256ELi8ELb0ELb1ELb1ELi1EEEvPT0_PT_PfS5_S5_S5_diiiiiiib: ; @_ZN5aiter24add_rmsnorm_quant_kernelIDF16_DB8_Li256ELi8ELb0ELb1ELb1ELi1EEEvPT0_PT_PfS5_S5_S5_diiiiiiib
; %bb.0:
	s_load_dwordx4 s[8:11], s[4:5], 0x38
	s_mov_b32 s7, 0
	s_waitcnt lgkmcnt(0)
	s_ashr_i32 s0, s8, 31
	v_mov_b32_e32 v2, s8
	v_mov_b32_e32 v3, s0
	v_cmp_ge_i64_e32 vcc, s[6:7], v[2:3]
	s_cbranch_vccnz .LBB73_49
; %bb.1:
	s_load_dwordx4 s[12:15], s[4:5], 0x10
	s_load_dwordx4 s[0:3], s[4:5], 0x28
	s_ashr_i32 s11, s10, 31
	s_mul_hi_u32 s16, s10, s6
	s_mul_i32 s11, s11, s6
	s_add_i32 s11, s16, s11
	s_mul_i32 s10, s10, s6
	s_lshl_b64 s[10:11], s[10:11], 1
	s_waitcnt lgkmcnt(0)
	s_add_u32 s16, s14, s10
	s_addc_u32 s10, s15, s11
	s_add_i32 s11, s9, 1
	s_lshr_b32 s14, s11, 31
	s_add_i32 s11, s11, s14
	s_lshl_b32 s11, s11, 1
	s_and_b32 s18, s11, -4
	s_and_b32 s17, s10, 0xffff
	s_mov_b32 s19, 0x20000
	v_lshlrev_b32_e32 v1, 4, v0
	buffer_load_dwordx4 v[14:17], v1, s[16:19], 0 offen glc slc
	s_mov_b32 s16, s0
	s_and_b32 s17, s1, 0xffff
	buffer_load_dwordx4 v[2:5], v1, s[16:19], 0 offen
	v_and_b32_e32 v22, 63, v0
	v_cmp_eq_u32_e64 s[0:1], 63, v22
	s_waitcnt vmcnt(1)
	v_cvt_f32_f16_e32 v12, v14
	v_cvt_f32_f16_sdwa v13, v14 dst_sel:DWORD dst_unused:UNUSED_PAD src0_sel:WORD_1
	v_cvt_f32_f16_e32 v10, v15
	v_cvt_f32_f16_sdwa v11, v15 dst_sel:DWORD dst_unused:UNUSED_PAD src0_sel:WORD_1
	;; [unrolled: 2-line block ×3, first 2 shown]
	v_pk_mul_f32 v[14:15], v[12:13], v[12:13]
	v_cvt_f32_f16_e32 v6, v17
	v_cvt_f32_f16_sdwa v7, v17 dst_sel:DWORD dst_unused:UNUSED_PAD src0_sel:WORD_1
	v_pk_mul_f32 v[16:17], v[10:11], v[10:11]
	v_add_f32_e32 v1, v14, v15
	v_add_f32_e32 v1, v16, v1
	v_pk_mul_f32 v[18:19], v[8:9], v[8:9]
	v_add_f32_e32 v1, v17, v1
	v_add_f32_e32 v1, v18, v1
	;; [unrolled: 3-line block ×3, first 2 shown]
	v_add_f32_e32 v1, v21, v1
	s_nop 1
	v_mov_b32_dpp v14, v1 quad_perm:[1,0,3,2] row_mask:0xf bank_mask:0xf
	v_add_f32_e32 v1, v1, v14
	s_nop 1
	v_mov_b32_dpp v14, v1 quad_perm:[2,3,0,1] row_mask:0xf bank_mask:0xf
	v_add_f32_e32 v1, v1, v14
	s_nop 1
	v_mov_b32_dpp v14, v1 row_half_mirror row_mask:0xf bank_mask:0xf
	v_add_f32_e32 v1, v1, v14
	s_nop 1
	v_mov_b32_dpp v14, v1 row_mirror row_mask:0xf bank_mask:0xf
	v_add_f32_e32 v1, v1, v14
	s_nop 1
	v_mov_b32_dpp v14, v1 row_bcast:15 row_mask:0xf bank_mask:0xf
	v_add_f32_e32 v1, v1, v14
	s_nop 1
	v_mov_b32_dpp v14, v1 row_bcast:31 row_mask:0xf bank_mask:0xf
	s_and_saveexec_b64 s[10:11], s[0:1]
	s_cbranch_execz .LBB73_3
; %bb.2:
	v_lshrrev_b32_e32 v15, 4, v0
	v_and_b32_e32 v15, 60, v15
	v_add_f32_e32 v1, v1, v14
	ds_write_b32 v15, v1 offset:16
.LBB73_3:
	s_or_b64 exec, exec, s[10:11]
	v_and_b32_e32 v1, 3, v0
	v_lshlrev_b32_e32 v14, 2, v1
	s_waitcnt lgkmcnt(0)
	s_barrier
	ds_read_b32 v1, v14 offset:16
	v_cvt_f32_i32_e32 v15, s9
	s_waitcnt vmcnt(0)
	v_cvt_f32_f16_sdwa v21, v3 dst_sel:DWORD dst_unused:UNUSED_PAD src0_sel:WORD_1
	v_cvt_f32_f16_sdwa v23, v5 dst_sel:DWORD dst_unused:UNUSED_PAD src0_sel:WORD_1
	v_cvt_f32_f16_e32 v22, v5
	s_waitcnt lgkmcnt(0)
	v_mov_b32_dpp v16, v1 quad_perm:[1,0,3,2] row_mask:0xf bank_mask:0xf
	v_add_f32_e32 v1, v1, v16
	s_nop 1
	v_mov_b32_dpp v16, v1 quad_perm:[2,3,0,1] row_mask:0xf bank_mask:0xf
	v_add_f32_e32 v1, v1, v16
	v_div_scale_f32 v16, s[10:11], v15, v15, v1
	v_rcp_f32_e32 v17, v16
	v_div_scale_f32 v18, vcc, v1, v15, v1
	s_load_dwordx2 s[10:11], s[4:5], 0x4c
	s_load_dword s14, s[4:5], 0x54
	v_fma_f32 v19, -v16, v17, 1.0
	v_fmac_f32_e32 v17, v19, v17
	v_mul_f32_e32 v19, v18, v17
	v_fma_f32 v20, -v16, v19, v18
	v_fmac_f32_e32 v19, v20, v17
	v_fma_f32 v16, -v16, v19, v18
	v_div_fmas_f32 v16, v16, v17, v19
	v_div_fixup_f32 v1, v16, v15, v1
	v_cvt_f64_f32_e32 v[16:17], v1
	v_add_f64 v[16:17], v[16:17], s[2:3]
	v_cvt_f32_f64_e32 v1, v[16:17]
	s_mov_b32 s2, 0x800000
	v_mul_f32_e32 v15, 0x4b800000, v1
	v_cmp_gt_f32_e32 vcc, s2, v1
	v_cndmask_b32_e32 v1, v1, v15, vcc
	v_rsq_f32_e32 v15, v1
	v_cvt_f32_f16_e32 v20, v3
	v_cvt_f32_f16_sdwa v3, v4 dst_sel:DWORD dst_unused:UNUSED_PAD src0_sel:WORD_1
	v_lshlrev_b32_e32 v1, 3, v0
	v_mul_f32_e32 v16, 0x45800000, v15
	v_cndmask_b32_e32 v16, v15, v16, vcc
	v_mov_b32_e32 v17, v16
	;;#ASMSTART
	v_pk_mul_f32 v[12:13], v[12:13], v[16:17]
	;;#ASMEND
	;;#ASMSTART
	v_pk_mul_f32 v[10:11], v[10:11], v[16:17]
	;;#ASMEND
	;; [unrolled: 3-line block ×4, first 2 shown]
	v_cvt_f32_f16_sdwa v7, v2 dst_sel:DWORD dst_unused:UNUSED_PAD src0_sel:WORD_1
	v_cvt_f32_f16_e32 v6, v2
	v_cvt_f32_f16_e32 v2, v4
	;;#ASMSTART
	v_pk_mul_f32 v[8:9], v[12:13], v[6:7]
	;;#ASMEND
	;;#ASMSTART
	v_pk_mul_f32 v[6:7], v[10:11], v[20:21]
	;;#ASMEND
	v_and_b32_e32 v10, 0x7fffffff, v8
	v_mov_b32_e32 v12, 0x2edbe6ff
	;;#ASMSTART
	v_pk_mul_f32 v[4:5], v[18:19], v[2:3]
	;;#ASMEND
	;;#ASMSTART
	v_pk_mul_f32 v[2:3], v[16:17], v[22:23]
	;;#ASMEND
	v_and_b32_e32 v11, 0x7fffffff, v9
	;;#ASMSTART
	v_max3_f32 v10, v12, v10, v11

	;;#ASMEND
	v_and_b32_e32 v12, 0x7fffffff, v7
	v_and_b32_e32 v11, 0x7fffffff, v6
	;;#ASMSTART
	v_max3_f32 v10, v10, v11, v12

	;;#ASMEND
	v_and_b32_e32 v12, 0x7fffffff, v5
	v_and_b32_e32 v11, 0x7fffffff, v4
	;;#ASMSTART
	v_max3_f32 v10, v10, v11, v12

	;;#ASMEND
	v_and_b32_e32 v12, 0x7fffffff, v3
	s_waitcnt lgkmcnt(0)
	s_cmp_lg_u32 s11, 0
	v_and_b32_e32 v11, 0x7fffffff, v2
	;;#ASMSTART
	v_max3_f32 v12, v10, v11, v12

	;;#ASMEND
	s_cbranch_scc0 .LBB73_10
; %bb.4:
	s_ashr_i32 s15, s11, 31
	s_lshr_b32 s2, s15, 29
	s_add_i32 s2, s11, s2
	s_ashr_i32 s18, s2, 3
	s_cmp_lt_i32 s18, 16
	s_cbranch_scc1 .LBB73_11
; %bb.5:
	s_cmp_lt_i32 s18, 32
	s_cbranch_scc1 .LBB73_12
; %bb.6:
	;; [unrolled: 3-line block ×3, first 2 shown]
	s_cmp_eq_u32 s18, 64
	v_mov_b32_e32 v10, v12
	s_cbranch_scc0 .LBB73_9
; %bb.8:
	s_nop 0
	v_mov_b32_dpp v10, v12 quad_perm:[1,0,3,2] row_mask:0xf bank_mask:0xf
	v_cmp_gt_f32_e32 vcc, v12, v10
	v_cndmask_b32_e32 v10, v10, v12, vcc
	v_bfrev_b32_e32 v13, 0.5
	s_nop 0
	v_mov_b32_dpp v11, v10 quad_perm:[2,3,0,1] row_mask:0xf bank_mask:0xf
	v_cmp_gt_f32_e32 vcc, v10, v11
	v_cndmask_b32_e32 v10, v11, v10, vcc
	s_nop 1
	v_mov_b32_dpp v11, v10 row_ror:4 row_mask:0xf bank_mask:0xf
	v_cmp_gt_f32_e32 vcc, v10, v11
	v_cndmask_b32_e32 v10, v11, v10, vcc
	s_nop 1
	v_mov_b32_dpp v11, v10 row_ror:8 row_mask:0xf bank_mask:0xf
	v_cmp_gt_f32_e32 vcc, v10, v11
	v_cndmask_b32_e32 v10, v11, v10, vcc
	s_nop 1
	v_mov_b32_dpp v11, v10 row_bcast:15 row_mask:0xf bank_mask:0xf
	v_cmp_gt_f32_e32 vcc, v10, v11
	v_cndmask_b32_e32 v10, v11, v10, vcc
	s_nop 1
	v_mov_b32_dpp v11, v10 row_bcast:31 row_mask:0xf bank_mask:0xf
	v_cmp_gt_f32_e32 vcc, v10, v11
	v_cndmask_b32_e32 v10, v11, v10, vcc
	v_mbcnt_lo_u32_b32 v11, -1, 0
	v_mbcnt_hi_u32_b32 v11, -1, v11
	v_lshl_or_b32 v11, v11, 2, v13
	ds_bpermute_b32 v10, v11, v10
.LBB73_9:
	s_mov_b64 s[2:3], 0
	s_branch .LBB73_14
.LBB73_10:
	s_mov_b64 s[2:3], 0
                                        ; implicit-def: $vgpr13
                                        ; implicit-def: $vgpr10_vgpr11
	s_cbranch_execnz .LBB73_43
	s_branch .LBB73_46
.LBB73_11:
                                        ; implicit-def: $vgpr10
	s_branch .LBB73_21
.LBB73_12:
                                        ; implicit-def: $vgpr10
	s_branch .LBB73_18
.LBB73_13:
	s_mov_b64 s[2:3], -1
                                        ; implicit-def: $vgpr10
.LBB73_14:
	s_andn2_b64 vcc, exec, s[2:3]
	s_cbranch_vccnz .LBB73_17
; %bb.15:
	s_cmp_eq_u32 s18, 32
	s_waitcnt lgkmcnt(0)
	v_mov_b32_e32 v10, v12
	s_cbranch_scc0 .LBB73_17
; %bb.16:
	s_nop 0
	v_mov_b32_dpp v10, v12 quad_perm:[1,0,3,2] row_mask:0xf bank_mask:0xf
	v_cmp_gt_f32_e32 vcc, v12, v10
	v_cndmask_b32_e32 v10, v10, v12, vcc
	v_mov_b32_e32 v13, 0x7c
	s_nop 0
	v_mov_b32_dpp v11, v10 quad_perm:[2,3,0,1] row_mask:0xf bank_mask:0xf
	v_cmp_gt_f32_e32 vcc, v10, v11
	v_cndmask_b32_e32 v10, v11, v10, vcc
	s_nop 1
	v_mov_b32_dpp v11, v10 row_half_mirror row_mask:0xf bank_mask:0xf
	v_cmp_gt_f32_e32 vcc, v10, v11
	v_cndmask_b32_e32 v10, v11, v10, vcc
	s_nop 1
	v_mov_b32_dpp v11, v10 row_mirror row_mask:0xf bank_mask:0xf
	v_cmp_gt_f32_e32 vcc, v10, v11
	v_cndmask_b32_e32 v10, v11, v10, vcc
	s_nop 1
	v_mov_b32_dpp v11, v10 row_bcast:15 row_mask:0xa bank_mask:0xf
	v_cmp_gt_f32_e32 vcc, v10, v11
	v_cndmask_b32_e32 v10, v11, v10, vcc
	v_mbcnt_lo_u32_b32 v11, -1, 0
	v_mbcnt_hi_u32_b32 v11, -1, v11
	v_lshl_or_b32 v11, v11, 2, v13
	ds_bpermute_b32 v10, v11, v10
.LBB73_17:
	s_cbranch_execnz .LBB73_20
.LBB73_18:
	s_cmp_eq_u32 s18, 16
	s_waitcnt lgkmcnt(0)
	v_mov_b32_e32 v10, v12
	s_cbranch_scc0 .LBB73_20
; %bb.19:
	s_nop 0
	v_mov_b32_dpp v10, v12 quad_perm:[1,0,3,2] row_mask:0xf bank_mask:0xf
	v_cmp_gt_f32_e32 vcc, v12, v10
	v_cndmask_b32_e32 v10, v10, v12, vcc
	s_nop 1
	v_mov_b32_dpp v11, v10 quad_perm:[2,3,0,1] row_mask:0xf bank_mask:0xf
	v_cmp_gt_f32_e32 vcc, v10, v11
	v_cndmask_b32_e32 v10, v11, v10, vcc
	s_nop 1
	v_mov_b32_dpp v11, v10 row_half_mirror row_mask:0xf bank_mask:0xf
	v_cmp_gt_f32_e32 vcc, v10, v11
	v_cndmask_b32_e32 v10, v11, v10, vcc
	s_nop 1
	v_mov_b32_dpp v11, v10 row_mirror row_mask:0xf bank_mask:0xf
	v_cmp_gt_f32_e32 vcc, v10, v11
	v_cndmask_b32_e32 v10, v11, v10, vcc
.LBB73_20:
	s_cbranch_execnz .LBB73_33
.LBB73_21:
	s_cmp_lt_i32 s18, 4
	s_cbranch_scc1 .LBB73_25
; %bb.22:
	s_cmp_lt_i32 s18, 8
	s_cbranch_scc1 .LBB73_26
; %bb.23:
	s_cmp_eq_u32 s18, 8
	s_waitcnt lgkmcnt(0)
	v_mov_b32_e32 v10, v12
	s_cbranch_scc0 .LBB73_27
; %bb.24:
	s_nop 0
	v_mov_b32_dpp v10, v12 quad_perm:[1,0,3,2] row_mask:0xf bank_mask:0xf
	v_cmp_gt_f32_e32 vcc, v12, v10
	v_cndmask_b32_e32 v10, v10, v12, vcc
	s_nop 1
	v_mov_b32_dpp v11, v10 quad_perm:[2,3,0,1] row_mask:0xf bank_mask:0xf
	v_cmp_gt_f32_e32 vcc, v10, v11
	v_cndmask_b32_e32 v10, v11, v10, vcc
	s_nop 1
	v_mov_b32_dpp v11, v10 row_half_mirror row_mask:0xf bank_mask:0xf
	v_cmp_gt_f32_e32 vcc, v10, v11
	v_cndmask_b32_e32 v10, v11, v10, vcc
	s_cbranch_execz .LBB73_28
	s_branch .LBB73_30
.LBB73_25:
                                        ; implicit-def: $vgpr10
	s_branch .LBB73_31
.LBB73_26:
                                        ; implicit-def: $vgpr10
	s_branch .LBB73_28
.LBB73_27:
	s_cbranch_execnz .LBB73_30
.LBB73_28:
	s_cmp_eq_u32 s18, 4
	s_waitcnt lgkmcnt(0)
	v_mov_b32_e32 v10, v12
	s_cbranch_scc0 .LBB73_30
; %bb.29:
	s_nop 0
	v_mov_b32_dpp v10, v12 quad_perm:[1,0,3,2] row_mask:0xf bank_mask:0xf
	v_cmp_gt_f32_e32 vcc, v12, v10
	v_cndmask_b32_e32 v10, v10, v12, vcc
	s_nop 1
	v_mov_b32_dpp v11, v10 quad_perm:[2,3,0,1] row_mask:0xf bank_mask:0xf
	v_cmp_gt_f32_e32 vcc, v10, v11
	v_cndmask_b32_e32 v10, v11, v10, vcc
.LBB73_30:
	s_cbranch_execnz .LBB73_33
.LBB73_31:
	s_cmp_lg_u32 s18, 2
	s_waitcnt lgkmcnt(0)
	v_mov_b32_e32 v10, v12
	s_cbranch_scc1 .LBB73_33
; %bb.32:
	s_nop 0
	v_mov_b32_dpp v10, v12 quad_perm:[1,0,3,2] row_mask:0xf bank_mask:0xf
	v_cmp_gt_f32_e32 vcc, v12, v10
	v_cndmask_b32_e32 v10, v10, v12, vcc
.LBB73_33:
	v_cvt_f32_u32_e32 v11, s18
	s_waitcnt lgkmcnt(0)
	v_mul_f32_e32 v13, 0x3b124925, v10
	s_sub_i32 s2, 0, s18
	v_cmp_gt_u32_e32 vcc, s9, v1
	v_rcp_iflag_f32_e32 v11, v11
	s_mov_b64 s[16:17], 0
	v_mul_f32_e32 v10, 0x4f7ffffe, v11
	v_cvt_u32_f32_e32 v10, v10
	v_mul_lo_u32 v11, s2, v10
	v_mul_hi_u32 v11, v10, v11
	v_add_u32_e32 v10, v10, v11
	v_mul_hi_u32 v10, v0, v10
	v_mul_lo_u32 v11, v10, s18
	v_sub_u32_e32 v11, v0, v11
	v_add_u32_e32 v15, 1, v10
	v_cmp_le_u32_e64 s[2:3], s18, v11
	v_cndmask_b32_e64 v10, v10, v15, s[2:3]
	v_subrev_u32_e32 v15, s18, v11
	v_cndmask_b32_e64 v11, v11, v15, s[2:3]
	v_add_u32_e32 v15, 1, v10
	v_cmp_le_u32_e64 s[2:3], s18, v11
	v_cndmask_b32_e64 v15, v10, v15, s[2:3]
	v_mul_lo_u32 v10, v15, s18
	v_sub_u32_e32 v10, v0, v10
	v_cmp_eq_u32_e64 s[2:3], 0, v10
	s_and_b64 s[18:19], s[2:3], vcc
	s_mov_b64 s[2:3], 0
                                        ; implicit-def: $vgpr10_vgpr11
	s_and_saveexec_b64 s[20:21], s[18:19]
	s_xor_b64 s[18:19], exec, s[20:21]
	s_cbranch_execz .LBB73_42
; %bb.34:
	s_bitcmp0_b32 s14, 0
	s_cbranch_scc0 .LBB73_39
; %bb.35:
	s_ashr_i32 s2, s9, 31
	s_mul_hi_u32 s3, s9, s6
	s_mul_i32 s2, s2, s6
	s_add_i32 s21, s3, s2
	s_mul_i32 s20, s9, s6
	s_mov_b32 s14, s11
	s_or_b64 s[2:3], s[20:21], s[14:15]
	s_mov_b32 s2, 0
	s_cmp_lg_u64 s[2:3], 0
	s_cbranch_scc0 .LBB73_50
; %bb.36:
	s_add_u32 s2, s14, s15
	s_mov_b32 s24, s15
	s_mov_b32 s25, s15
	s_addc_u32 s3, s15, s15
	s_xor_b64 s[26:27], s[2:3], s[24:25]
	v_cvt_f32_u32_e32 v10, s26
	v_cvt_f32_u32_e32 v11, s27
	s_sub_u32 s2, 0, s26
	s_subb_u32 s3, 0, s27
	v_madmk_f32 v10, v11, 0x4f800000, v10
	v_rcp_f32_e32 v10, v10
	v_mul_f32_e32 v10, 0x5f7ffffc, v10
	v_mul_f32_e32 v11, 0x2f800000, v10
	v_trunc_f32_e32 v11, v11
	v_madmk_f32 v10, v11, 0xcf800000, v10
	v_cvt_u32_f32_e32 v11, v11
	v_cvt_u32_f32_e32 v10, v10
	v_readfirstlane_b32 s11, v11
	v_readfirstlane_b32 s15, v10
	s_mul_i32 s28, s2, s11
	s_mul_hi_u32 s30, s2, s15
	s_mul_i32 s29, s3, s15
	s_add_i32 s28, s30, s28
	s_add_i32 s28, s28, s29
	s_mul_i32 s31, s2, s15
	s_mul_hi_u32 s29, s15, s28
	s_mul_i32 s30, s15, s28
	s_mul_hi_u32 s15, s15, s31
	s_add_u32 s15, s15, s30
	s_addc_u32 s29, 0, s29
	s_mul_hi_u32 s33, s11, s31
	s_mul_i32 s31, s11, s31
	s_add_u32 s15, s15, s31
	s_mul_hi_u32 s30, s11, s28
	s_addc_u32 s15, s29, s33
	s_addc_u32 s29, s30, 0
	s_mul_i32 s28, s11, s28
	s_add_u32 s15, s15, s28
	s_addc_u32 s28, 0, s29
	v_add_co_u32_e32 v10, vcc, s15, v10
	s_cmp_lg_u64 vcc, 0
	s_addc_u32 s11, s11, s28
	v_readfirstlane_b32 s28, v10
	s_mul_i32 s15, s2, s11
	s_mul_hi_u32 s29, s2, s28
	s_add_i32 s15, s29, s15
	s_mul_i32 s3, s3, s28
	s_add_i32 s15, s15, s3
	s_mul_i32 s2, s2, s28
	s_mul_hi_u32 s29, s11, s2
	s_mul_i32 s30, s11, s2
	s_mul_i32 s33, s28, s15
	s_mul_hi_u32 s2, s28, s2
	s_mul_hi_u32 s31, s28, s15
	s_add_u32 s2, s2, s33
	s_addc_u32 s28, 0, s31
	s_add_u32 s2, s2, s30
	s_mul_hi_u32 s3, s11, s15
	s_addc_u32 s2, s28, s29
	s_addc_u32 s3, s3, 0
	s_mul_i32 s15, s11, s15
	s_add_u32 s2, s2, s15
	s_addc_u32 s3, 0, s3
	v_add_co_u32_e32 v10, vcc, s2, v10
	s_cmp_lg_u64 vcc, 0
	s_addc_u32 s11, s11, s3
	s_ashr_i32 s28, s21, 31
	s_add_u32 s2, s20, s28
	s_mov_b32 s29, s28
	s_addc_u32 s3, s21, s28
	s_xor_b64 s[30:31], s[2:3], s[28:29]
	v_readfirstlane_b32 s15, v10
	s_mul_i32 s3, s30, s11
	s_mul_hi_u32 s21, s30, s15
	s_mul_hi_u32 s2, s30, s11
	s_add_u32 s3, s21, s3
	s_addc_u32 s2, 0, s2
	s_mul_hi_u32 s33, s31, s15
	s_mul_i32 s15, s31, s15
	s_add_u32 s3, s3, s15
	s_mul_hi_u32 s21, s31, s11
	s_addc_u32 s2, s2, s33
	s_addc_u32 s3, s21, 0
	s_mul_i32 s11, s31, s11
	s_add_u32 s11, s2, s11
	s_addc_u32 s15, 0, s3
	s_mul_i32 s2, s26, s15
	s_mul_hi_u32 s3, s26, s11
	s_add_i32 s2, s3, s2
	s_mul_i32 s3, s27, s11
	s_add_i32 s21, s2, s3
	s_mul_i32 s3, s26, s11
	v_mov_b32_e32 v10, s3
	s_sub_i32 s2, s31, s21
	v_sub_co_u32_e32 v10, vcc, s30, v10
	s_cmp_lg_u64 vcc, 0
	s_subb_u32 s30, s2, s27
	v_subrev_co_u32_e64 v11, s[2:3], s26, v10
	s_cmp_lg_u64 s[2:3], 0
	s_subb_u32 s30, s30, 0
	s_cmp_ge_u32 s30, s27
	s_cselect_b32 s33, -1, 0
	v_cmp_le_u32_e64 s[2:3], s26, v11
	s_cmp_eq_u32 s30, s27
	v_cndmask_b32_e64 v11, 0, -1, s[2:3]
	v_mov_b32_e32 v16, s33
	s_cselect_b64 s[2:3], -1, 0
	v_cndmask_b32_e64 v11, v16, v11, s[2:3]
	s_add_u32 s2, s11, 1
	s_addc_u32 s30, s15, 0
	s_add_u32 s3, s11, 2
	s_addc_u32 s33, s15, 0
	v_mov_b32_e32 v16, s2
	v_mov_b32_e32 v17, s3
	v_cmp_ne_u32_e64 s[2:3], 0, v11
	v_cndmask_b32_e64 v11, v16, v17, s[2:3]
	v_mov_b32_e32 v16, s30
	v_mov_b32_e32 v17, s33
	s_cmp_lg_u64 vcc, 0
	v_cndmask_b32_e64 v16, v16, v17, s[2:3]
	s_subb_u32 s2, s31, s21
	s_cmp_ge_u32 s2, s27
	s_cselect_b32 s3, -1, 0
	v_cmp_le_u32_e32 vcc, s26, v10
	s_cmp_eq_u32 s2, s27
	v_cndmask_b32_e64 v10, 0, -1, vcc
	v_mov_b32_e32 v17, s3
	s_cselect_b64 vcc, -1, 0
	v_cndmask_b32_e32 v10, v17, v10, vcc
	v_mov_b32_e32 v17, s15
	v_cmp_ne_u32_e32 vcc, 0, v10
	v_cndmask_b32_e32 v10, v17, v16, vcc
	v_mov_b32_e32 v16, s11
	v_cndmask_b32_e32 v11, v16, v11, vcc
	s_xor_b64 s[2:3], s[28:29], s[24:25]
	v_xor_b32_e32 v11, s2, v11
	v_xor_b32_e32 v16, s3, v10
	v_mov_b32_e32 v17, s3
	v_subrev_co_u32_e32 v10, vcc, s2, v11
	v_subb_co_u32_e32 v11, vcc, v16, v17, vcc
	s_cbranch_execnz .LBB73_38
.LBB73_37:
	v_cvt_f32_u32_e32 v10, s14
	s_sub_i32 s2, 0, s14
	s_mov_b32 s3, 0
	v_rcp_iflag_f32_e32 v10, v10
	v_mul_f32_e32 v10, 0x4f7ffffe, v10
	v_cvt_u32_f32_e32 v10, v10
	v_readfirstlane_b32 s11, v10
	s_mul_i32 s2, s2, s11
	s_mul_hi_u32 s2, s11, s2
	s_add_i32 s11, s11, s2
	s_mul_hi_u32 s2, s20, s11
	s_mul_i32 s15, s2, s14
	s_sub_i32 s15, s20, s15
	s_add_i32 s11, s2, 1
	s_sub_i32 s20, s15, s14
	s_cmp_ge_u32 s15, s14
	s_cselect_b32 s2, s11, s2
	s_cselect_b32 s15, s20, s15
	s_add_i32 s11, s2, 1
	s_cmp_ge_u32 s15, s14
	s_cselect_b32 s2, s11, s2
	v_pk_mov_b32 v[10:11], s[2:3], s[2:3] op_sel:[0,1]
.LBB73_38:
	v_add_co_u32_e32 v10, vcc, v10, v15
	v_addc_co_u32_e32 v11, vcc, 0, v11, vcc
	s_branch .LBB73_41
.LBB73_39:
                                        ; implicit-def: $vgpr10_vgpr11
	s_cbranch_execz .LBB73_41
; %bb.40:
	v_mul_lo_u32 v10, v15, s8
	v_ashrrev_i32_e32 v11, 31, v10
	v_mov_b32_e32 v15, s7
	v_add_co_u32_e32 v10, vcc, s6, v10
	v_addc_co_u32_e32 v11, vcc, v11, v15, vcc
.LBB73_41:
	s_mov_b64 s[2:3], exec
.LBB73_42:
	s_or_b64 exec, exec, s[18:19]
	s_and_b64 vcc, exec, s[16:17]
	s_cbranch_vccz .LBB73_46
.LBB73_43:
	v_mov_b32_dpp v10, v12 quad_perm:[1,0,3,2] row_mask:0xf bank_mask:0xf
	v_cmp_gt_f32_e32 vcc, v12, v10
	v_cndmask_b32_e32 v10, v10, v12, vcc
	s_nop 1
	v_mov_b32_dpp v11, v10 quad_perm:[2,3,0,1] row_mask:0xf bank_mask:0xf
	v_cmp_gt_f32_e32 vcc, v10, v11
	v_cndmask_b32_e32 v10, v11, v10, vcc
	s_nop 1
	v_mov_b32_dpp v11, v10 row_half_mirror row_mask:0xf bank_mask:0xf
	v_cmp_gt_f32_e32 vcc, v10, v11
	v_cndmask_b32_e32 v10, v11, v10, vcc
	s_nop 1
	v_mov_b32_dpp v11, v10 row_mirror row_mask:0xf bank_mask:0xf
	v_cmp_gt_f32_e32 vcc, v10, v11
	v_cndmask_b32_e32 v10, v11, v10, vcc
	s_nop 1
	v_mov_b32_dpp v11, v10 row_bcast:15 row_mask:0xf bank_mask:0xf
	v_cmp_gt_f32_e32 vcc, v10, v11
	v_cndmask_b32_e32 v10, v11, v10, vcc
	s_nop 1
	v_mov_b32_dpp v11, v10 row_bcast:31 row_mask:0xf bank_mask:0xf
	s_and_saveexec_b64 s[2:3], s[0:1]
	s_cbranch_execz .LBB73_45
; %bb.44:
	v_lshrrev_b32_e32 v12, 4, v0
	v_cmp_gt_f32_e32 vcc, v10, v11
	v_and_b32_e32 v12, 60, v12
	v_cndmask_b32_e32 v10, v11, v10, vcc
	ds_write_b32 v12, v10
.LBB73_45:
	s_or_b64 exec, exec, s[2:3]
	s_waitcnt lgkmcnt(0)
	s_barrier
	ds_read_b32 v10, v14
	v_cmp_eq_u32_e64 s[2:3], 0, v0
	s_waitcnt lgkmcnt(0)
	v_mov_b32_dpp v11, v10 quad_perm:[1,0,3,2] row_mask:0xf bank_mask:0xf
	v_cmp_gt_f32_e32 vcc, v10, v11
	v_cndmask_b32_e32 v10, v11, v10, vcc
	s_nop 1
	v_mov_b32_dpp v11, v10 quad_perm:[2,3,0,1] row_mask:0xf bank_mask:0xf
	v_cmp_gt_f32_e32 vcc, v10, v11
	v_cndmask_b32_e32 v10, v11, v10, vcc
	v_mul_f32_e32 v13, 0x3b124925, v10
	v_pk_mov_b32 v[10:11], s[6:7], s[6:7] op_sel:[0,1]
.LBB73_46:
	s_and_saveexec_b64 s[0:1], s[2:3]
	s_cbranch_execz .LBB73_48
; %bb.47:
	v_lshlrev_b64 v[10:11], 2, v[10:11]
	v_mov_b32_e32 v0, s13
	v_add_co_u32_e32 v10, vcc, s12, v10
	v_addc_co_u32_e32 v11, vcc, v0, v11, vcc
	global_store_dword v[10:11], v13, off
.LBB73_48:
	s_or_b64 exec, exec, s[0:1]
	s_add_i32 s2, s9, 3
	s_load_dwordx2 s[0:1], s[4:5], 0x0
	s_ashr_i32 s3, s2, 31
	s_lshr_b32 s3, s3, 30
	;;#ASMSTART
	v_rcp_f32 v10, v13
	;;#ASMEND
	v_mov_b32_e32 v11, v10
	;;#ASMSTART
	v_pk_mul_f32 v[8:9], v[8:9], v[10:11]
	;;#ASMEND
	s_add_i32 s2, s2, s3
	s_ashr_i32 s3, s10, 31
	v_mov_b32_e32 v0, 0xc3e00000
	v_mov_b32_e32 v12, 0x43e00000
	;;#ASMSTART
	v_med3_f32 v8, v8, v0, v12
v_med3_f32 v9, v9, v0, v12
v_cvt_pk_fp8_f32 v13, v8, v9
	;;#ASMEND
	;;#ASMSTART
	v_pk_mul_f32 v[6:7], v[6:7], v[10:11]
	;;#ASMEND
	s_mul_hi_u32 s4, s10, s6
	s_mul_i32 s3, s3, s6
	;;#ASMSTART
	v_med3_f32 v6, v6, v0, v12
v_med3_f32 v7, v7, v0, v12
v_cvt_pk_fp8_f32 v8, v6, v7
	;;#ASMEND
	s_mov_b32 s5, 0x5040100
	s_and_b32 s2, s2, -4
	s_add_i32 s4, s4, s3
	s_mul_i32 s3, s10, s6
	v_perm_b32 v7, v8, v13, s5
	s_movk_i32 s5, 0xff
	s_waitcnt lgkmcnt(0)
	s_add_u32 s0, s0, s3
	v_and_b32_e32 v6, 0xffffff00, v8
	v_and_b32_sdwa v8, v7, s5 dst_sel:DWORD dst_unused:UNUSED_PAD src0_sel:WORD_1 src1_sel:DWORD
	s_addc_u32 s1, s1, s4
	s_mov_b32 s4, 0xffff
	v_or_b32_sdwa v6, v8, v6 dst_sel:WORD_1 dst_unused:UNUSED_PAD src0_sel:DWORD src1_sel:DWORD
	;;#ASMSTART
	v_pk_mul_f32 v[4:5], v[4:5], v[10:11]
	;;#ASMEND
	v_and_or_b32 v6, v7, s4, v6
	;;#ASMSTART
	v_med3_f32 v4, v4, v0, v12
v_med3_f32 v5, v5, v0, v12
v_cvt_pk_fp8_f32 v7, v4, v5
	;;#ASMEND
	;;#ASMSTART
	v_pk_mul_f32 v[2:3], v[2:3], v[10:11]
	;;#ASMEND
	;;#ASMSTART
	v_med3_f32 v2, v2, v0, v12
v_med3_f32 v3, v3, v0, v12
v_cvt_pk_fp8_f32 v0, v2, v3
	;;#ASMEND
	v_lshlrev_b32_e32 v0, 16, v0
	s_and_b32 s1, s1, 0xffff
	s_mov_b32 s3, 0x20000
	v_and_or_b32 v7, v7, s4, v0
	buffer_store_dwordx2 v[6:7], v1, s[0:3], 0 offen
	;;#ASMSTART
	s_nop 0
	;;#ASMEND
.LBB73_49:
	s_endpgm
.LBB73_50:
                                        ; implicit-def: $vgpr10_vgpr11
	s_branch .LBB73_37
	.section	.rodata,"a",@progbits
	.p2align	6, 0x0
	.amdhsa_kernel _ZN5aiter24add_rmsnorm_quant_kernelIDF16_DB8_Li256ELi8ELb0ELb1ELb1ELi1EEEvPT0_PT_PfS5_S5_S5_diiiiiiib
		.amdhsa_group_segment_fixed_size 32
		.amdhsa_private_segment_fixed_size 0
		.amdhsa_kernarg_size 88
		.amdhsa_user_sgpr_count 6
		.amdhsa_user_sgpr_private_segment_buffer 1
		.amdhsa_user_sgpr_dispatch_ptr 0
		.amdhsa_user_sgpr_queue_ptr 0
		.amdhsa_user_sgpr_kernarg_segment_ptr 1
		.amdhsa_user_sgpr_dispatch_id 0
		.amdhsa_user_sgpr_flat_scratch_init 0
		.amdhsa_user_sgpr_kernarg_preload_length 0
		.amdhsa_user_sgpr_kernarg_preload_offset 0
		.amdhsa_user_sgpr_private_segment_size 0
		.amdhsa_uses_dynamic_stack 0
		.amdhsa_system_sgpr_private_segment_wavefront_offset 0
		.amdhsa_system_sgpr_workgroup_id_x 1
		.amdhsa_system_sgpr_workgroup_id_y 0
		.amdhsa_system_sgpr_workgroup_id_z 0
		.amdhsa_system_sgpr_workgroup_info 0
		.amdhsa_system_vgpr_workitem_id 0
		.amdhsa_next_free_vgpr 24
		.amdhsa_next_free_sgpr 34
		.amdhsa_accum_offset 24
		.amdhsa_reserve_vcc 1
		.amdhsa_reserve_flat_scratch 0
		.amdhsa_float_round_mode_32 0
		.amdhsa_float_round_mode_16_64 0
		.amdhsa_float_denorm_mode_32 3
		.amdhsa_float_denorm_mode_16_64 3
		.amdhsa_dx10_clamp 1
		.amdhsa_ieee_mode 1
		.amdhsa_fp16_overflow 0
		.amdhsa_tg_split 0
		.amdhsa_exception_fp_ieee_invalid_op 0
		.amdhsa_exception_fp_denorm_src 0
		.amdhsa_exception_fp_ieee_div_zero 0
		.amdhsa_exception_fp_ieee_overflow 0
		.amdhsa_exception_fp_ieee_underflow 0
		.amdhsa_exception_fp_ieee_inexact 0
		.amdhsa_exception_int_div_zero 0
	.end_amdhsa_kernel
	.section	.text._ZN5aiter24add_rmsnorm_quant_kernelIDF16_DB8_Li256ELi8ELb0ELb1ELb1ELi1EEEvPT0_PT_PfS5_S5_S5_diiiiiiib,"axG",@progbits,_ZN5aiter24add_rmsnorm_quant_kernelIDF16_DB8_Li256ELi8ELb0ELb1ELb1ELi1EEEvPT0_PT_PfS5_S5_S5_diiiiiiib,comdat
.Lfunc_end73:
	.size	_ZN5aiter24add_rmsnorm_quant_kernelIDF16_DB8_Li256ELi8ELb0ELb1ELb1ELi1EEEvPT0_PT_PfS5_S5_S5_diiiiiiib, .Lfunc_end73-_ZN5aiter24add_rmsnorm_quant_kernelIDF16_DB8_Li256ELi8ELb0ELb1ELb1ELi1EEEvPT0_PT_PfS5_S5_S5_diiiiiiib
                                        ; -- End function
	.section	.AMDGPU.csdata,"",@progbits
; Kernel info:
; codeLenInByte = 3152
; NumSgprs: 38
; NumVgprs: 24
; NumAgprs: 0
; TotalNumVgprs: 24
; ScratchSize: 0
; MemoryBound: 0
; FloatMode: 240
; IeeeMode: 1
; LDSByteSize: 32 bytes/workgroup (compile time only)
; SGPRBlocks: 4
; VGPRBlocks: 2
; NumSGPRsForWavesPerEU: 38
; NumVGPRsForWavesPerEU: 24
; AccumOffset: 24
; Occupancy: 8
; WaveLimiterHint : 0
; COMPUTE_PGM_RSRC2:SCRATCH_EN: 0
; COMPUTE_PGM_RSRC2:USER_SGPR: 6
; COMPUTE_PGM_RSRC2:TRAP_HANDLER: 0
; COMPUTE_PGM_RSRC2:TGID_X_EN: 1
; COMPUTE_PGM_RSRC2:TGID_Y_EN: 0
; COMPUTE_PGM_RSRC2:TGID_Z_EN: 0
; COMPUTE_PGM_RSRC2:TIDIG_COMP_CNT: 0
; COMPUTE_PGM_RSRC3_GFX90A:ACCUM_OFFSET: 5
; COMPUTE_PGM_RSRC3_GFX90A:TG_SPLIT: 0
	.section	.text._ZN5aiter24add_rmsnorm_quant_kernelItDB8_Li256ELi8ELb0ELb1ELb1ELi1EEEvPT0_PT_PfS5_S5_S5_diiiiiiib,"axG",@progbits,_ZN5aiter24add_rmsnorm_quant_kernelItDB8_Li256ELi8ELb0ELb1ELb1ELi1EEEvPT0_PT_PfS5_S5_S5_diiiiiiib,comdat
	.protected	_ZN5aiter24add_rmsnorm_quant_kernelItDB8_Li256ELi8ELb0ELb1ELb1ELi1EEEvPT0_PT_PfS5_S5_S5_diiiiiiib ; -- Begin function _ZN5aiter24add_rmsnorm_quant_kernelItDB8_Li256ELi8ELb0ELb1ELb1ELi1EEEvPT0_PT_PfS5_S5_S5_diiiiiiib
	.globl	_ZN5aiter24add_rmsnorm_quant_kernelItDB8_Li256ELi8ELb0ELb1ELb1ELi1EEEvPT0_PT_PfS5_S5_S5_diiiiiiib
	.p2align	8
	.type	_ZN5aiter24add_rmsnorm_quant_kernelItDB8_Li256ELi8ELb0ELb1ELb1ELi1EEEvPT0_PT_PfS5_S5_S5_diiiiiiib,@function
_ZN5aiter24add_rmsnorm_quant_kernelItDB8_Li256ELi8ELb0ELb1ELb1ELi1EEEvPT0_PT_PfS5_S5_S5_diiiiiiib: ; @_ZN5aiter24add_rmsnorm_quant_kernelItDB8_Li256ELi8ELb0ELb1ELb1ELi1EEEvPT0_PT_PfS5_S5_S5_diiiiiiib
; %bb.0:
	s_load_dwordx4 s[8:11], s[4:5], 0x38
	s_mov_b32 s7, 0
	s_waitcnt lgkmcnt(0)
	s_ashr_i32 s0, s8, 31
	v_mov_b32_e32 v2, s8
	v_mov_b32_e32 v3, s0
	v_cmp_ge_i64_e32 vcc, s[6:7], v[2:3]
	s_cbranch_vccnz .LBB74_49
; %bb.1:
	s_load_dwordx4 s[12:15], s[4:5], 0x10
	s_load_dwordx4 s[0:3], s[4:5], 0x28
	s_ashr_i32 s11, s10, 31
	s_mul_hi_u32 s16, s10, s6
	s_mul_i32 s11, s11, s6
	s_add_i32 s11, s16, s11
	s_mul_i32 s10, s10, s6
	s_lshl_b64 s[10:11], s[10:11], 1
	s_waitcnt lgkmcnt(0)
	s_add_u32 s16, s14, s10
	s_addc_u32 s10, s15, s11
	s_add_i32 s11, s9, 1
	s_lshr_b32 s14, s11, 31
	s_add_i32 s11, s11, s14
	s_lshl_b32 s11, s11, 1
	s_and_b32 s18, s11, -4
	s_and_b32 s17, s10, 0xffff
	s_mov_b32 s19, 0x20000
	v_lshlrev_b32_e32 v1, 4, v0
	buffer_load_dwordx4 v[14:17], v1, s[16:19], 0 offen glc slc
	s_mov_b32 s16, s0
	s_and_b32 s17, s1, 0xffff
	buffer_load_dwordx4 v[2:5], v1, s[16:19], 0 offen
	v_and_b32_e32 v22, 63, v0
	v_cmp_eq_u32_e64 s[0:1], 63, v22
	s_waitcnt vmcnt(1)
	v_cvt_f32_u32_sdwa v13, v14 dst_sel:DWORD dst_unused:UNUSED_PAD src0_sel:WORD_1
	v_cvt_f32_u32_sdwa v12, v14 dst_sel:DWORD dst_unused:UNUSED_PAD src0_sel:WORD_0
	v_cvt_f32_u32_sdwa v11, v15 dst_sel:DWORD dst_unused:UNUSED_PAD src0_sel:WORD_1
	v_cvt_f32_u32_sdwa v10, v15 dst_sel:DWORD dst_unused:UNUSED_PAD src0_sel:WORD_0
	v_cvt_f32_u32_sdwa v9, v16 dst_sel:DWORD dst_unused:UNUSED_PAD src0_sel:WORD_1
	v_cvt_f32_u32_sdwa v8, v16 dst_sel:DWORD dst_unused:UNUSED_PAD src0_sel:WORD_0
	v_pk_mul_f32 v[14:15], v[12:13], v[12:13]
	v_cvt_f32_u32_sdwa v7, v17 dst_sel:DWORD dst_unused:UNUSED_PAD src0_sel:WORD_1
	v_cvt_f32_u32_sdwa v6, v17 dst_sel:DWORD dst_unused:UNUSED_PAD src0_sel:WORD_0
	v_pk_mul_f32 v[16:17], v[10:11], v[10:11]
	v_add_f32_e32 v1, v14, v15
	v_add_f32_e32 v1, v16, v1
	v_pk_mul_f32 v[18:19], v[8:9], v[8:9]
	v_add_f32_e32 v1, v17, v1
	v_add_f32_e32 v1, v18, v1
	;; [unrolled: 3-line block ×3, first 2 shown]
	v_add_f32_e32 v1, v21, v1
	s_nop 1
	v_mov_b32_dpp v14, v1 quad_perm:[1,0,3,2] row_mask:0xf bank_mask:0xf
	v_add_f32_e32 v1, v1, v14
	s_nop 1
	v_mov_b32_dpp v14, v1 quad_perm:[2,3,0,1] row_mask:0xf bank_mask:0xf
	v_add_f32_e32 v1, v1, v14
	s_nop 1
	v_mov_b32_dpp v14, v1 row_half_mirror row_mask:0xf bank_mask:0xf
	v_add_f32_e32 v1, v1, v14
	s_nop 1
	v_mov_b32_dpp v14, v1 row_mirror row_mask:0xf bank_mask:0xf
	v_add_f32_e32 v1, v1, v14
	s_nop 1
	v_mov_b32_dpp v14, v1 row_bcast:15 row_mask:0xf bank_mask:0xf
	v_add_f32_e32 v1, v1, v14
	s_nop 1
	v_mov_b32_dpp v14, v1 row_bcast:31 row_mask:0xf bank_mask:0xf
	s_and_saveexec_b64 s[10:11], s[0:1]
	s_cbranch_execz .LBB74_3
; %bb.2:
	v_lshrrev_b32_e32 v15, 4, v0
	v_and_b32_e32 v15, 60, v15
	v_add_f32_e32 v1, v1, v14
	ds_write_b32 v15, v1 offset:16
.LBB74_3:
	s_or_b64 exec, exec, s[10:11]
	v_and_b32_e32 v1, 3, v0
	v_lshlrev_b32_e32 v14, 2, v1
	s_waitcnt lgkmcnt(0)
	s_barrier
	ds_read_b32 v1, v14 offset:16
	v_cvt_f32_i32_e32 v15, s9
	s_waitcnt vmcnt(0)
	v_cvt_f32_u32_sdwa v21, v3 dst_sel:DWORD dst_unused:UNUSED_PAD src0_sel:WORD_1
	v_cvt_f32_u32_sdwa v23, v5 dst_sel:DWORD dst_unused:UNUSED_PAD src0_sel:WORD_1
	v_cvt_f32_u32_sdwa v22, v5 dst_sel:DWORD dst_unused:UNUSED_PAD src0_sel:WORD_0
	s_waitcnt lgkmcnt(0)
	v_mov_b32_dpp v16, v1 quad_perm:[1,0,3,2] row_mask:0xf bank_mask:0xf
	v_add_f32_e32 v1, v1, v16
	s_nop 1
	v_mov_b32_dpp v16, v1 quad_perm:[2,3,0,1] row_mask:0xf bank_mask:0xf
	v_add_f32_e32 v1, v1, v16
	v_div_scale_f32 v16, s[10:11], v15, v15, v1
	v_rcp_f32_e32 v17, v16
	v_div_scale_f32 v18, vcc, v1, v15, v1
	s_load_dwordx2 s[10:11], s[4:5], 0x4c
	s_load_dword s14, s[4:5], 0x54
	v_fma_f32 v19, -v16, v17, 1.0
	v_fmac_f32_e32 v17, v19, v17
	v_mul_f32_e32 v19, v18, v17
	v_fma_f32 v20, -v16, v19, v18
	v_fmac_f32_e32 v19, v20, v17
	v_fma_f32 v16, -v16, v19, v18
	v_div_fmas_f32 v16, v16, v17, v19
	v_div_fixup_f32 v1, v16, v15, v1
	v_cvt_f64_f32_e32 v[16:17], v1
	v_add_f64 v[16:17], v[16:17], s[2:3]
	v_cvt_f32_f64_e32 v1, v[16:17]
	s_mov_b32 s2, 0x800000
	v_mul_f32_e32 v15, 0x4b800000, v1
	v_cmp_gt_f32_e32 vcc, s2, v1
	v_cndmask_b32_e32 v1, v1, v15, vcc
	v_rsq_f32_e32 v15, v1
	v_cvt_f32_u32_sdwa v20, v3 dst_sel:DWORD dst_unused:UNUSED_PAD src0_sel:WORD_0
	v_cvt_f32_u32_sdwa v3, v4 dst_sel:DWORD dst_unused:UNUSED_PAD src0_sel:WORD_1
	v_lshlrev_b32_e32 v1, 3, v0
	v_mul_f32_e32 v16, 0x45800000, v15
	v_cndmask_b32_e32 v16, v15, v16, vcc
	v_mov_b32_e32 v17, v16
	;;#ASMSTART
	v_pk_mul_f32 v[12:13], v[12:13], v[16:17]
	;;#ASMEND
	;;#ASMSTART
	v_pk_mul_f32 v[10:11], v[10:11], v[16:17]
	;;#ASMEND
	;; [unrolled: 3-line block ×4, first 2 shown]
	v_cvt_f32_u32_sdwa v7, v2 dst_sel:DWORD dst_unused:UNUSED_PAD src0_sel:WORD_1
	v_cvt_f32_u32_sdwa v6, v2 dst_sel:DWORD dst_unused:UNUSED_PAD src0_sel:WORD_0
	v_cvt_f32_u32_sdwa v2, v4 dst_sel:DWORD dst_unused:UNUSED_PAD src0_sel:WORD_0
	;;#ASMSTART
	v_pk_mul_f32 v[8:9], v[12:13], v[6:7]
	;;#ASMEND
	;;#ASMSTART
	v_pk_mul_f32 v[6:7], v[10:11], v[20:21]
	;;#ASMEND
	v_and_b32_e32 v10, 0x7fffffff, v8
	v_mov_b32_e32 v12, 0x2edbe6ff
	;;#ASMSTART
	v_pk_mul_f32 v[4:5], v[18:19], v[2:3]
	;;#ASMEND
	;;#ASMSTART
	v_pk_mul_f32 v[2:3], v[16:17], v[22:23]
	;;#ASMEND
	v_and_b32_e32 v11, 0x7fffffff, v9
	;;#ASMSTART
	v_max3_f32 v10, v12, v10, v11

	;;#ASMEND
	v_and_b32_e32 v12, 0x7fffffff, v7
	v_and_b32_e32 v11, 0x7fffffff, v6
	;;#ASMSTART
	v_max3_f32 v10, v10, v11, v12

	;;#ASMEND
	v_and_b32_e32 v12, 0x7fffffff, v5
	;; [unrolled: 6-line block ×3, first 2 shown]
	s_waitcnt lgkmcnt(0)
	s_cmp_lg_u32 s11, 0
	v_and_b32_e32 v11, 0x7fffffff, v2
	;;#ASMSTART
	v_max3_f32 v12, v10, v11, v12

	;;#ASMEND
	s_cbranch_scc0 .LBB74_10
; %bb.4:
	s_ashr_i32 s15, s11, 31
	s_lshr_b32 s2, s15, 29
	s_add_i32 s2, s11, s2
	s_ashr_i32 s18, s2, 3
	s_cmp_lt_i32 s18, 16
	s_cbranch_scc1 .LBB74_11
; %bb.5:
	s_cmp_lt_i32 s18, 32
	s_cbranch_scc1 .LBB74_12
; %bb.6:
	;; [unrolled: 3-line block ×3, first 2 shown]
	s_cmp_eq_u32 s18, 64
	v_mov_b32_e32 v10, v12
	s_cbranch_scc0 .LBB74_9
; %bb.8:
	s_nop 0
	v_mov_b32_dpp v10, v12 quad_perm:[1,0,3,2] row_mask:0xf bank_mask:0xf
	v_cmp_gt_f32_e32 vcc, v12, v10
	v_cndmask_b32_e32 v10, v10, v12, vcc
	v_bfrev_b32_e32 v13, 0.5
	s_nop 0
	v_mov_b32_dpp v11, v10 quad_perm:[2,3,0,1] row_mask:0xf bank_mask:0xf
	v_cmp_gt_f32_e32 vcc, v10, v11
	v_cndmask_b32_e32 v10, v11, v10, vcc
	s_nop 1
	v_mov_b32_dpp v11, v10 row_ror:4 row_mask:0xf bank_mask:0xf
	v_cmp_gt_f32_e32 vcc, v10, v11
	v_cndmask_b32_e32 v10, v11, v10, vcc
	s_nop 1
	v_mov_b32_dpp v11, v10 row_ror:8 row_mask:0xf bank_mask:0xf
	v_cmp_gt_f32_e32 vcc, v10, v11
	v_cndmask_b32_e32 v10, v11, v10, vcc
	s_nop 1
	v_mov_b32_dpp v11, v10 row_bcast:15 row_mask:0xf bank_mask:0xf
	v_cmp_gt_f32_e32 vcc, v10, v11
	v_cndmask_b32_e32 v10, v11, v10, vcc
	s_nop 1
	v_mov_b32_dpp v11, v10 row_bcast:31 row_mask:0xf bank_mask:0xf
	v_cmp_gt_f32_e32 vcc, v10, v11
	v_cndmask_b32_e32 v10, v11, v10, vcc
	v_mbcnt_lo_u32_b32 v11, -1, 0
	v_mbcnt_hi_u32_b32 v11, -1, v11
	v_lshl_or_b32 v11, v11, 2, v13
	ds_bpermute_b32 v10, v11, v10
.LBB74_9:
	s_mov_b64 s[2:3], 0
	s_branch .LBB74_14
.LBB74_10:
	s_mov_b64 s[2:3], 0
                                        ; implicit-def: $vgpr13
                                        ; implicit-def: $vgpr10_vgpr11
	s_cbranch_execnz .LBB74_43
	s_branch .LBB74_46
.LBB74_11:
                                        ; implicit-def: $vgpr10
	s_branch .LBB74_21
.LBB74_12:
                                        ; implicit-def: $vgpr10
	s_branch .LBB74_18
.LBB74_13:
	s_mov_b64 s[2:3], -1
                                        ; implicit-def: $vgpr10
.LBB74_14:
	s_andn2_b64 vcc, exec, s[2:3]
	s_cbranch_vccnz .LBB74_17
; %bb.15:
	s_cmp_eq_u32 s18, 32
	s_waitcnt lgkmcnt(0)
	v_mov_b32_e32 v10, v12
	s_cbranch_scc0 .LBB74_17
; %bb.16:
	s_nop 0
	v_mov_b32_dpp v10, v12 quad_perm:[1,0,3,2] row_mask:0xf bank_mask:0xf
	v_cmp_gt_f32_e32 vcc, v12, v10
	v_cndmask_b32_e32 v10, v10, v12, vcc
	v_mov_b32_e32 v13, 0x7c
	s_nop 0
	v_mov_b32_dpp v11, v10 quad_perm:[2,3,0,1] row_mask:0xf bank_mask:0xf
	v_cmp_gt_f32_e32 vcc, v10, v11
	v_cndmask_b32_e32 v10, v11, v10, vcc
	s_nop 1
	v_mov_b32_dpp v11, v10 row_half_mirror row_mask:0xf bank_mask:0xf
	v_cmp_gt_f32_e32 vcc, v10, v11
	v_cndmask_b32_e32 v10, v11, v10, vcc
	s_nop 1
	v_mov_b32_dpp v11, v10 row_mirror row_mask:0xf bank_mask:0xf
	v_cmp_gt_f32_e32 vcc, v10, v11
	v_cndmask_b32_e32 v10, v11, v10, vcc
	s_nop 1
	v_mov_b32_dpp v11, v10 row_bcast:15 row_mask:0xa bank_mask:0xf
	v_cmp_gt_f32_e32 vcc, v10, v11
	v_cndmask_b32_e32 v10, v11, v10, vcc
	v_mbcnt_lo_u32_b32 v11, -1, 0
	v_mbcnt_hi_u32_b32 v11, -1, v11
	v_lshl_or_b32 v11, v11, 2, v13
	ds_bpermute_b32 v10, v11, v10
.LBB74_17:
	s_cbranch_execnz .LBB74_20
.LBB74_18:
	s_cmp_eq_u32 s18, 16
	s_waitcnt lgkmcnt(0)
	v_mov_b32_e32 v10, v12
	s_cbranch_scc0 .LBB74_20
; %bb.19:
	s_nop 0
	v_mov_b32_dpp v10, v12 quad_perm:[1,0,3,2] row_mask:0xf bank_mask:0xf
	v_cmp_gt_f32_e32 vcc, v12, v10
	v_cndmask_b32_e32 v10, v10, v12, vcc
	s_nop 1
	v_mov_b32_dpp v11, v10 quad_perm:[2,3,0,1] row_mask:0xf bank_mask:0xf
	v_cmp_gt_f32_e32 vcc, v10, v11
	v_cndmask_b32_e32 v10, v11, v10, vcc
	s_nop 1
	v_mov_b32_dpp v11, v10 row_half_mirror row_mask:0xf bank_mask:0xf
	v_cmp_gt_f32_e32 vcc, v10, v11
	v_cndmask_b32_e32 v10, v11, v10, vcc
	s_nop 1
	v_mov_b32_dpp v11, v10 row_mirror row_mask:0xf bank_mask:0xf
	v_cmp_gt_f32_e32 vcc, v10, v11
	v_cndmask_b32_e32 v10, v11, v10, vcc
.LBB74_20:
	s_cbranch_execnz .LBB74_33
.LBB74_21:
	s_cmp_lt_i32 s18, 4
	s_cbranch_scc1 .LBB74_25
; %bb.22:
	s_cmp_lt_i32 s18, 8
	s_cbranch_scc1 .LBB74_26
; %bb.23:
	s_cmp_eq_u32 s18, 8
	s_waitcnt lgkmcnt(0)
	v_mov_b32_e32 v10, v12
	s_cbranch_scc0 .LBB74_27
; %bb.24:
	s_nop 0
	v_mov_b32_dpp v10, v12 quad_perm:[1,0,3,2] row_mask:0xf bank_mask:0xf
	v_cmp_gt_f32_e32 vcc, v12, v10
	v_cndmask_b32_e32 v10, v10, v12, vcc
	s_nop 1
	v_mov_b32_dpp v11, v10 quad_perm:[2,3,0,1] row_mask:0xf bank_mask:0xf
	v_cmp_gt_f32_e32 vcc, v10, v11
	v_cndmask_b32_e32 v10, v11, v10, vcc
	s_nop 1
	v_mov_b32_dpp v11, v10 row_half_mirror row_mask:0xf bank_mask:0xf
	v_cmp_gt_f32_e32 vcc, v10, v11
	v_cndmask_b32_e32 v10, v11, v10, vcc
	s_cbranch_execz .LBB74_28
	s_branch .LBB74_30
.LBB74_25:
                                        ; implicit-def: $vgpr10
	s_branch .LBB74_31
.LBB74_26:
                                        ; implicit-def: $vgpr10
	s_branch .LBB74_28
.LBB74_27:
	s_cbranch_execnz .LBB74_30
.LBB74_28:
	s_cmp_eq_u32 s18, 4
	s_waitcnt lgkmcnt(0)
	v_mov_b32_e32 v10, v12
	s_cbranch_scc0 .LBB74_30
; %bb.29:
	s_nop 0
	v_mov_b32_dpp v10, v12 quad_perm:[1,0,3,2] row_mask:0xf bank_mask:0xf
	v_cmp_gt_f32_e32 vcc, v12, v10
	v_cndmask_b32_e32 v10, v10, v12, vcc
	s_nop 1
	v_mov_b32_dpp v11, v10 quad_perm:[2,3,0,1] row_mask:0xf bank_mask:0xf
	v_cmp_gt_f32_e32 vcc, v10, v11
	v_cndmask_b32_e32 v10, v11, v10, vcc
.LBB74_30:
	s_cbranch_execnz .LBB74_33
.LBB74_31:
	s_cmp_lg_u32 s18, 2
	s_waitcnt lgkmcnt(0)
	v_mov_b32_e32 v10, v12
	s_cbranch_scc1 .LBB74_33
; %bb.32:
	s_nop 0
	v_mov_b32_dpp v10, v12 quad_perm:[1,0,3,2] row_mask:0xf bank_mask:0xf
	v_cmp_gt_f32_e32 vcc, v12, v10
	v_cndmask_b32_e32 v10, v10, v12, vcc
.LBB74_33:
	v_cvt_f32_u32_e32 v11, s18
	s_waitcnt lgkmcnt(0)
	v_mul_f32_e32 v13, 0x3b124925, v10
	s_sub_i32 s2, 0, s18
	v_cmp_gt_u32_e32 vcc, s9, v1
	v_rcp_iflag_f32_e32 v11, v11
	s_mov_b64 s[16:17], 0
	v_mul_f32_e32 v10, 0x4f7ffffe, v11
	v_cvt_u32_f32_e32 v10, v10
	v_mul_lo_u32 v11, s2, v10
	v_mul_hi_u32 v11, v10, v11
	v_add_u32_e32 v10, v10, v11
	v_mul_hi_u32 v10, v0, v10
	v_mul_lo_u32 v11, v10, s18
	v_sub_u32_e32 v11, v0, v11
	v_add_u32_e32 v15, 1, v10
	v_cmp_le_u32_e64 s[2:3], s18, v11
	v_cndmask_b32_e64 v10, v10, v15, s[2:3]
	v_subrev_u32_e32 v15, s18, v11
	v_cndmask_b32_e64 v11, v11, v15, s[2:3]
	v_add_u32_e32 v15, 1, v10
	v_cmp_le_u32_e64 s[2:3], s18, v11
	v_cndmask_b32_e64 v15, v10, v15, s[2:3]
	v_mul_lo_u32 v10, v15, s18
	v_sub_u32_e32 v10, v0, v10
	v_cmp_eq_u32_e64 s[2:3], 0, v10
	s_and_b64 s[18:19], s[2:3], vcc
	s_mov_b64 s[2:3], 0
                                        ; implicit-def: $vgpr10_vgpr11
	s_and_saveexec_b64 s[20:21], s[18:19]
	s_xor_b64 s[18:19], exec, s[20:21]
	s_cbranch_execz .LBB74_42
; %bb.34:
	s_bitcmp0_b32 s14, 0
	s_cbranch_scc0 .LBB74_39
; %bb.35:
	s_ashr_i32 s2, s9, 31
	s_mul_hi_u32 s3, s9, s6
	s_mul_i32 s2, s2, s6
	s_add_i32 s21, s3, s2
	s_mul_i32 s20, s9, s6
	s_mov_b32 s14, s11
	s_or_b64 s[2:3], s[20:21], s[14:15]
	s_mov_b32 s2, 0
	s_cmp_lg_u64 s[2:3], 0
	s_cbranch_scc0 .LBB74_50
; %bb.36:
	s_add_u32 s2, s14, s15
	s_mov_b32 s24, s15
	s_mov_b32 s25, s15
	s_addc_u32 s3, s15, s15
	s_xor_b64 s[26:27], s[2:3], s[24:25]
	v_cvt_f32_u32_e32 v10, s26
	v_cvt_f32_u32_e32 v11, s27
	s_sub_u32 s2, 0, s26
	s_subb_u32 s3, 0, s27
	v_madmk_f32 v10, v11, 0x4f800000, v10
	v_rcp_f32_e32 v10, v10
	v_mul_f32_e32 v10, 0x5f7ffffc, v10
	v_mul_f32_e32 v11, 0x2f800000, v10
	v_trunc_f32_e32 v11, v11
	v_madmk_f32 v10, v11, 0xcf800000, v10
	v_cvt_u32_f32_e32 v11, v11
	v_cvt_u32_f32_e32 v10, v10
	v_readfirstlane_b32 s11, v11
	v_readfirstlane_b32 s15, v10
	s_mul_i32 s28, s2, s11
	s_mul_hi_u32 s30, s2, s15
	s_mul_i32 s29, s3, s15
	s_add_i32 s28, s30, s28
	s_add_i32 s28, s28, s29
	s_mul_i32 s31, s2, s15
	s_mul_hi_u32 s29, s15, s28
	s_mul_i32 s30, s15, s28
	s_mul_hi_u32 s15, s15, s31
	s_add_u32 s15, s15, s30
	s_addc_u32 s29, 0, s29
	s_mul_hi_u32 s33, s11, s31
	s_mul_i32 s31, s11, s31
	s_add_u32 s15, s15, s31
	s_mul_hi_u32 s30, s11, s28
	s_addc_u32 s15, s29, s33
	s_addc_u32 s29, s30, 0
	s_mul_i32 s28, s11, s28
	s_add_u32 s15, s15, s28
	s_addc_u32 s28, 0, s29
	v_add_co_u32_e32 v10, vcc, s15, v10
	s_cmp_lg_u64 vcc, 0
	s_addc_u32 s11, s11, s28
	v_readfirstlane_b32 s28, v10
	s_mul_i32 s15, s2, s11
	s_mul_hi_u32 s29, s2, s28
	s_add_i32 s15, s29, s15
	s_mul_i32 s3, s3, s28
	s_add_i32 s15, s15, s3
	s_mul_i32 s2, s2, s28
	s_mul_hi_u32 s29, s11, s2
	s_mul_i32 s30, s11, s2
	s_mul_i32 s33, s28, s15
	s_mul_hi_u32 s2, s28, s2
	s_mul_hi_u32 s31, s28, s15
	s_add_u32 s2, s2, s33
	s_addc_u32 s28, 0, s31
	s_add_u32 s2, s2, s30
	s_mul_hi_u32 s3, s11, s15
	s_addc_u32 s2, s28, s29
	s_addc_u32 s3, s3, 0
	s_mul_i32 s15, s11, s15
	s_add_u32 s2, s2, s15
	s_addc_u32 s3, 0, s3
	v_add_co_u32_e32 v10, vcc, s2, v10
	s_cmp_lg_u64 vcc, 0
	s_addc_u32 s11, s11, s3
	s_ashr_i32 s28, s21, 31
	s_add_u32 s2, s20, s28
	s_mov_b32 s29, s28
	s_addc_u32 s3, s21, s28
	s_xor_b64 s[30:31], s[2:3], s[28:29]
	v_readfirstlane_b32 s15, v10
	s_mul_i32 s3, s30, s11
	s_mul_hi_u32 s21, s30, s15
	s_mul_hi_u32 s2, s30, s11
	s_add_u32 s3, s21, s3
	s_addc_u32 s2, 0, s2
	s_mul_hi_u32 s33, s31, s15
	s_mul_i32 s15, s31, s15
	s_add_u32 s3, s3, s15
	s_mul_hi_u32 s21, s31, s11
	s_addc_u32 s2, s2, s33
	s_addc_u32 s3, s21, 0
	s_mul_i32 s11, s31, s11
	s_add_u32 s11, s2, s11
	s_addc_u32 s15, 0, s3
	s_mul_i32 s2, s26, s15
	s_mul_hi_u32 s3, s26, s11
	s_add_i32 s2, s3, s2
	s_mul_i32 s3, s27, s11
	s_add_i32 s21, s2, s3
	s_mul_i32 s3, s26, s11
	v_mov_b32_e32 v10, s3
	s_sub_i32 s2, s31, s21
	v_sub_co_u32_e32 v10, vcc, s30, v10
	s_cmp_lg_u64 vcc, 0
	s_subb_u32 s30, s2, s27
	v_subrev_co_u32_e64 v11, s[2:3], s26, v10
	s_cmp_lg_u64 s[2:3], 0
	s_subb_u32 s30, s30, 0
	s_cmp_ge_u32 s30, s27
	s_cselect_b32 s33, -1, 0
	v_cmp_le_u32_e64 s[2:3], s26, v11
	s_cmp_eq_u32 s30, s27
	v_cndmask_b32_e64 v11, 0, -1, s[2:3]
	v_mov_b32_e32 v16, s33
	s_cselect_b64 s[2:3], -1, 0
	v_cndmask_b32_e64 v11, v16, v11, s[2:3]
	s_add_u32 s2, s11, 1
	s_addc_u32 s30, s15, 0
	s_add_u32 s3, s11, 2
	s_addc_u32 s33, s15, 0
	v_mov_b32_e32 v16, s2
	v_mov_b32_e32 v17, s3
	v_cmp_ne_u32_e64 s[2:3], 0, v11
	v_cndmask_b32_e64 v11, v16, v17, s[2:3]
	v_mov_b32_e32 v16, s30
	v_mov_b32_e32 v17, s33
	s_cmp_lg_u64 vcc, 0
	v_cndmask_b32_e64 v16, v16, v17, s[2:3]
	s_subb_u32 s2, s31, s21
	s_cmp_ge_u32 s2, s27
	s_cselect_b32 s3, -1, 0
	v_cmp_le_u32_e32 vcc, s26, v10
	s_cmp_eq_u32 s2, s27
	v_cndmask_b32_e64 v10, 0, -1, vcc
	v_mov_b32_e32 v17, s3
	s_cselect_b64 vcc, -1, 0
	v_cndmask_b32_e32 v10, v17, v10, vcc
	v_mov_b32_e32 v17, s15
	v_cmp_ne_u32_e32 vcc, 0, v10
	v_cndmask_b32_e32 v10, v17, v16, vcc
	v_mov_b32_e32 v16, s11
	v_cndmask_b32_e32 v11, v16, v11, vcc
	s_xor_b64 s[2:3], s[28:29], s[24:25]
	v_xor_b32_e32 v11, s2, v11
	v_xor_b32_e32 v16, s3, v10
	v_mov_b32_e32 v17, s3
	v_subrev_co_u32_e32 v10, vcc, s2, v11
	v_subb_co_u32_e32 v11, vcc, v16, v17, vcc
	s_cbranch_execnz .LBB74_38
.LBB74_37:
	v_cvt_f32_u32_e32 v10, s14
	s_sub_i32 s2, 0, s14
	s_mov_b32 s3, 0
	v_rcp_iflag_f32_e32 v10, v10
	v_mul_f32_e32 v10, 0x4f7ffffe, v10
	v_cvt_u32_f32_e32 v10, v10
	v_readfirstlane_b32 s11, v10
	s_mul_i32 s2, s2, s11
	s_mul_hi_u32 s2, s11, s2
	s_add_i32 s11, s11, s2
	s_mul_hi_u32 s2, s20, s11
	s_mul_i32 s15, s2, s14
	s_sub_i32 s15, s20, s15
	s_add_i32 s11, s2, 1
	s_sub_i32 s20, s15, s14
	s_cmp_ge_u32 s15, s14
	s_cselect_b32 s2, s11, s2
	s_cselect_b32 s15, s20, s15
	s_add_i32 s11, s2, 1
	s_cmp_ge_u32 s15, s14
	s_cselect_b32 s2, s11, s2
	v_pk_mov_b32 v[10:11], s[2:3], s[2:3] op_sel:[0,1]
.LBB74_38:
	v_add_co_u32_e32 v10, vcc, v10, v15
	v_addc_co_u32_e32 v11, vcc, 0, v11, vcc
	s_branch .LBB74_41
.LBB74_39:
                                        ; implicit-def: $vgpr10_vgpr11
	s_cbranch_execz .LBB74_41
; %bb.40:
	v_mul_lo_u32 v10, v15, s8
	v_ashrrev_i32_e32 v11, 31, v10
	v_mov_b32_e32 v15, s7
	v_add_co_u32_e32 v10, vcc, s6, v10
	v_addc_co_u32_e32 v11, vcc, v11, v15, vcc
.LBB74_41:
	s_mov_b64 s[2:3], exec
.LBB74_42:
	s_or_b64 exec, exec, s[18:19]
	s_and_b64 vcc, exec, s[16:17]
	s_cbranch_vccz .LBB74_46
.LBB74_43:
	v_mov_b32_dpp v10, v12 quad_perm:[1,0,3,2] row_mask:0xf bank_mask:0xf
	v_cmp_gt_f32_e32 vcc, v12, v10
	v_cndmask_b32_e32 v10, v10, v12, vcc
	s_nop 1
	v_mov_b32_dpp v11, v10 quad_perm:[2,3,0,1] row_mask:0xf bank_mask:0xf
	v_cmp_gt_f32_e32 vcc, v10, v11
	v_cndmask_b32_e32 v10, v11, v10, vcc
	s_nop 1
	v_mov_b32_dpp v11, v10 row_half_mirror row_mask:0xf bank_mask:0xf
	v_cmp_gt_f32_e32 vcc, v10, v11
	v_cndmask_b32_e32 v10, v11, v10, vcc
	s_nop 1
	v_mov_b32_dpp v11, v10 row_mirror row_mask:0xf bank_mask:0xf
	v_cmp_gt_f32_e32 vcc, v10, v11
	v_cndmask_b32_e32 v10, v11, v10, vcc
	s_nop 1
	v_mov_b32_dpp v11, v10 row_bcast:15 row_mask:0xf bank_mask:0xf
	v_cmp_gt_f32_e32 vcc, v10, v11
	v_cndmask_b32_e32 v10, v11, v10, vcc
	s_nop 1
	v_mov_b32_dpp v11, v10 row_bcast:31 row_mask:0xf bank_mask:0xf
	s_and_saveexec_b64 s[2:3], s[0:1]
	s_cbranch_execz .LBB74_45
; %bb.44:
	v_lshrrev_b32_e32 v12, 4, v0
	v_cmp_gt_f32_e32 vcc, v10, v11
	v_and_b32_e32 v12, 60, v12
	v_cndmask_b32_e32 v10, v11, v10, vcc
	ds_write_b32 v12, v10
.LBB74_45:
	s_or_b64 exec, exec, s[2:3]
	s_waitcnt lgkmcnt(0)
	s_barrier
	ds_read_b32 v10, v14
	v_cmp_eq_u32_e64 s[2:3], 0, v0
	s_waitcnt lgkmcnt(0)
	v_mov_b32_dpp v11, v10 quad_perm:[1,0,3,2] row_mask:0xf bank_mask:0xf
	v_cmp_gt_f32_e32 vcc, v10, v11
	v_cndmask_b32_e32 v10, v11, v10, vcc
	s_nop 1
	v_mov_b32_dpp v11, v10 quad_perm:[2,3,0,1] row_mask:0xf bank_mask:0xf
	v_cmp_gt_f32_e32 vcc, v10, v11
	v_cndmask_b32_e32 v10, v11, v10, vcc
	v_mul_f32_e32 v13, 0x3b124925, v10
	v_pk_mov_b32 v[10:11], s[6:7], s[6:7] op_sel:[0,1]
.LBB74_46:
	s_and_saveexec_b64 s[0:1], s[2:3]
	s_cbranch_execz .LBB74_48
; %bb.47:
	v_lshlrev_b64 v[10:11], 2, v[10:11]
	v_mov_b32_e32 v0, s13
	v_add_co_u32_e32 v10, vcc, s12, v10
	v_addc_co_u32_e32 v11, vcc, v0, v11, vcc
	global_store_dword v[10:11], v13, off
.LBB74_48:
	s_or_b64 exec, exec, s[0:1]
	s_add_i32 s2, s9, 3
	s_load_dwordx2 s[0:1], s[4:5], 0x0
	s_ashr_i32 s3, s2, 31
	s_lshr_b32 s3, s3, 30
	;;#ASMSTART
	v_rcp_f32 v10, v13
	;;#ASMEND
	v_mov_b32_e32 v11, v10
	;;#ASMSTART
	v_pk_mul_f32 v[8:9], v[8:9], v[10:11]
	;;#ASMEND
	s_add_i32 s2, s2, s3
	s_ashr_i32 s3, s10, 31
	v_mov_b32_e32 v0, 0xc3e00000
	v_mov_b32_e32 v12, 0x43e00000
	;;#ASMSTART
	v_med3_f32 v8, v8, v0, v12
v_med3_f32 v9, v9, v0, v12
v_cvt_pk_fp8_f32 v13, v8, v9
	;;#ASMEND
	;;#ASMSTART
	v_pk_mul_f32 v[6:7], v[6:7], v[10:11]
	;;#ASMEND
	s_mul_hi_u32 s4, s10, s6
	s_mul_i32 s3, s3, s6
	;;#ASMSTART
	v_med3_f32 v6, v6, v0, v12
v_med3_f32 v7, v7, v0, v12
v_cvt_pk_fp8_f32 v8, v6, v7
	;;#ASMEND
	s_mov_b32 s5, 0x5040100
	s_and_b32 s2, s2, -4
	s_add_i32 s4, s4, s3
	s_mul_i32 s3, s10, s6
	v_perm_b32 v7, v8, v13, s5
	s_movk_i32 s5, 0xff
	s_waitcnt lgkmcnt(0)
	s_add_u32 s0, s0, s3
	v_and_b32_e32 v6, 0xffffff00, v8
	v_and_b32_sdwa v8, v7, s5 dst_sel:DWORD dst_unused:UNUSED_PAD src0_sel:WORD_1 src1_sel:DWORD
	s_addc_u32 s1, s1, s4
	s_mov_b32 s4, 0xffff
	v_or_b32_sdwa v6, v8, v6 dst_sel:WORD_1 dst_unused:UNUSED_PAD src0_sel:DWORD src1_sel:DWORD
	;;#ASMSTART
	v_pk_mul_f32 v[4:5], v[4:5], v[10:11]
	;;#ASMEND
	v_and_or_b32 v6, v7, s4, v6
	;;#ASMSTART
	v_med3_f32 v4, v4, v0, v12
v_med3_f32 v5, v5, v0, v12
v_cvt_pk_fp8_f32 v7, v4, v5
	;;#ASMEND
	;;#ASMSTART
	v_pk_mul_f32 v[2:3], v[2:3], v[10:11]
	;;#ASMEND
	;;#ASMSTART
	v_med3_f32 v2, v2, v0, v12
v_med3_f32 v3, v3, v0, v12
v_cvt_pk_fp8_f32 v0, v2, v3
	;;#ASMEND
	v_lshlrev_b32_e32 v0, 16, v0
	s_and_b32 s1, s1, 0xffff
	s_mov_b32 s3, 0x20000
	v_and_or_b32 v7, v7, s4, v0
	buffer_store_dwordx2 v[6:7], v1, s[0:3], 0 offen
	;;#ASMSTART
	s_nop 0
	;;#ASMEND
.LBB74_49:
	s_endpgm
.LBB74_50:
                                        ; implicit-def: $vgpr10_vgpr11
	s_branch .LBB74_37
	.section	.rodata,"a",@progbits
	.p2align	6, 0x0
	.amdhsa_kernel _ZN5aiter24add_rmsnorm_quant_kernelItDB8_Li256ELi8ELb0ELb1ELb1ELi1EEEvPT0_PT_PfS5_S5_S5_diiiiiiib
		.amdhsa_group_segment_fixed_size 32
		.amdhsa_private_segment_fixed_size 0
		.amdhsa_kernarg_size 88
		.amdhsa_user_sgpr_count 6
		.amdhsa_user_sgpr_private_segment_buffer 1
		.amdhsa_user_sgpr_dispatch_ptr 0
		.amdhsa_user_sgpr_queue_ptr 0
		.amdhsa_user_sgpr_kernarg_segment_ptr 1
		.amdhsa_user_sgpr_dispatch_id 0
		.amdhsa_user_sgpr_flat_scratch_init 0
		.amdhsa_user_sgpr_kernarg_preload_length 0
		.amdhsa_user_sgpr_kernarg_preload_offset 0
		.amdhsa_user_sgpr_private_segment_size 0
		.amdhsa_uses_dynamic_stack 0
		.amdhsa_system_sgpr_private_segment_wavefront_offset 0
		.amdhsa_system_sgpr_workgroup_id_x 1
		.amdhsa_system_sgpr_workgroup_id_y 0
		.amdhsa_system_sgpr_workgroup_id_z 0
		.amdhsa_system_sgpr_workgroup_info 0
		.amdhsa_system_vgpr_workitem_id 0
		.amdhsa_next_free_vgpr 24
		.amdhsa_next_free_sgpr 34
		.amdhsa_accum_offset 24
		.amdhsa_reserve_vcc 1
		.amdhsa_reserve_flat_scratch 0
		.amdhsa_float_round_mode_32 0
		.amdhsa_float_round_mode_16_64 0
		.amdhsa_float_denorm_mode_32 3
		.amdhsa_float_denorm_mode_16_64 3
		.amdhsa_dx10_clamp 1
		.amdhsa_ieee_mode 1
		.amdhsa_fp16_overflow 0
		.amdhsa_tg_split 0
		.amdhsa_exception_fp_ieee_invalid_op 0
		.amdhsa_exception_fp_denorm_src 0
		.amdhsa_exception_fp_ieee_div_zero 0
		.amdhsa_exception_fp_ieee_overflow 0
		.amdhsa_exception_fp_ieee_underflow 0
		.amdhsa_exception_fp_ieee_inexact 0
		.amdhsa_exception_int_div_zero 0
	.end_amdhsa_kernel
	.section	.text._ZN5aiter24add_rmsnorm_quant_kernelItDB8_Li256ELi8ELb0ELb1ELb1ELi1EEEvPT0_PT_PfS5_S5_S5_diiiiiiib,"axG",@progbits,_ZN5aiter24add_rmsnorm_quant_kernelItDB8_Li256ELi8ELb0ELb1ELb1ELi1EEEvPT0_PT_PfS5_S5_S5_diiiiiiib,comdat
.Lfunc_end74:
	.size	_ZN5aiter24add_rmsnorm_quant_kernelItDB8_Li256ELi8ELb0ELb1ELb1ELi1EEEvPT0_PT_PfS5_S5_S5_diiiiiiib, .Lfunc_end74-_ZN5aiter24add_rmsnorm_quant_kernelItDB8_Li256ELi8ELb0ELb1ELb1ELi1EEEvPT0_PT_PfS5_S5_S5_diiiiiiib
                                        ; -- End function
	.section	.AMDGPU.csdata,"",@progbits
; Kernel info:
; codeLenInByte = 3184
; NumSgprs: 38
; NumVgprs: 24
; NumAgprs: 0
; TotalNumVgprs: 24
; ScratchSize: 0
; MemoryBound: 0
; FloatMode: 240
; IeeeMode: 1
; LDSByteSize: 32 bytes/workgroup (compile time only)
; SGPRBlocks: 4
; VGPRBlocks: 2
; NumSGPRsForWavesPerEU: 38
; NumVGPRsForWavesPerEU: 24
; AccumOffset: 24
; Occupancy: 8
; WaveLimiterHint : 0
; COMPUTE_PGM_RSRC2:SCRATCH_EN: 0
; COMPUTE_PGM_RSRC2:USER_SGPR: 6
; COMPUTE_PGM_RSRC2:TRAP_HANDLER: 0
; COMPUTE_PGM_RSRC2:TGID_X_EN: 1
; COMPUTE_PGM_RSRC2:TGID_Y_EN: 0
; COMPUTE_PGM_RSRC2:TGID_Z_EN: 0
; COMPUTE_PGM_RSRC2:TIDIG_COMP_CNT: 0
; COMPUTE_PGM_RSRC3_GFX90A:ACCUM_OFFSET: 5
; COMPUTE_PGM_RSRC3_GFX90A:TG_SPLIT: 0
	.section	.text._ZN5aiter24add_rmsnorm_quant_kernelIDF16_DB8_Li256ELi8ELb0ELb1ELb0ELi1EEEvPT0_PT_PfS5_S5_S5_diiiiiiib,"axG",@progbits,_ZN5aiter24add_rmsnorm_quant_kernelIDF16_DB8_Li256ELi8ELb0ELb1ELb0ELi1EEEvPT0_PT_PfS5_S5_S5_diiiiiiib,comdat
	.protected	_ZN5aiter24add_rmsnorm_quant_kernelIDF16_DB8_Li256ELi8ELb0ELb1ELb0ELi1EEEvPT0_PT_PfS5_S5_S5_diiiiiiib ; -- Begin function _ZN5aiter24add_rmsnorm_quant_kernelIDF16_DB8_Li256ELi8ELb0ELb1ELb0ELi1EEEvPT0_PT_PfS5_S5_S5_diiiiiiib
	.globl	_ZN5aiter24add_rmsnorm_quant_kernelIDF16_DB8_Li256ELi8ELb0ELb1ELb0ELi1EEEvPT0_PT_PfS5_S5_S5_diiiiiiib
	.p2align	8
	.type	_ZN5aiter24add_rmsnorm_quant_kernelIDF16_DB8_Li256ELi8ELb0ELb1ELb0ELi1EEEvPT0_PT_PfS5_S5_S5_diiiiiiib,@function
_ZN5aiter24add_rmsnorm_quant_kernelIDF16_DB8_Li256ELi8ELb0ELb1ELb0ELi1EEEvPT0_PT_PfS5_S5_S5_diiiiiiib: ; @_ZN5aiter24add_rmsnorm_quant_kernelIDF16_DB8_Li256ELi8ELb0ELb1ELb0ELi1EEEvPT0_PT_PfS5_S5_S5_diiiiiiib
; %bb.0:
	s_load_dwordx4 s[8:11], s[4:5], 0x38
	s_mov_b32 s7, 0
	s_waitcnt lgkmcnt(0)
	s_ashr_i32 s0, s8, 31
	v_mov_b32_e32 v2, s8
	v_mov_b32_e32 v3, s0
	v_cmp_ge_i64_e32 vcc, s[6:7], v[2:3]
	s_cbranch_vccnz .LBB75_49
; %bb.1:
	s_load_dwordx4 s[12:15], s[4:5], 0x10
	s_load_dwordx4 s[0:3], s[4:5], 0x28
	s_ashr_i32 s11, s10, 31
	s_mul_hi_u32 s16, s10, s6
	s_mul_i32 s11, s11, s6
	s_add_i32 s11, s16, s11
	s_mul_i32 s10, s10, s6
	s_lshl_b64 s[10:11], s[10:11], 1
	s_waitcnt lgkmcnt(0)
	s_add_u32 s16, s14, s10
	s_addc_u32 s10, s15, s11
	s_add_i32 s11, s9, 1
	s_lshr_b32 s14, s11, 31
	s_add_i32 s11, s11, s14
	s_lshl_b32 s11, s11, 1
	s_and_b32 s18, s11, -4
	s_and_b32 s17, s10, 0xffff
	s_mov_b32 s19, 0x20000
	v_lshlrev_b32_e32 v1, 4, v0
	buffer_load_dwordx4 v[14:17], v1, s[16:19], 0 offen glc slc
	s_mov_b32 s16, s0
	s_and_b32 s17, s1, 0xffff
	buffer_load_dwordx4 v[2:5], v1, s[16:19], 0 offen
	v_and_b32_e32 v22, 63, v0
	v_cmp_eq_u32_e64 s[0:1], 63, v22
	s_waitcnt vmcnt(1)
	v_cvt_f32_f16_e32 v12, v14
	v_cvt_f32_f16_sdwa v13, v14 dst_sel:DWORD dst_unused:UNUSED_PAD src0_sel:WORD_1
	v_cvt_f32_f16_e32 v10, v15
	v_cvt_f32_f16_sdwa v11, v15 dst_sel:DWORD dst_unused:UNUSED_PAD src0_sel:WORD_1
	;; [unrolled: 2-line block ×3, first 2 shown]
	v_pk_mul_f32 v[14:15], v[12:13], v[12:13]
	v_cvt_f32_f16_e32 v6, v17
	v_cvt_f32_f16_sdwa v7, v17 dst_sel:DWORD dst_unused:UNUSED_PAD src0_sel:WORD_1
	v_pk_mul_f32 v[16:17], v[10:11], v[10:11]
	v_add_f32_e32 v1, v14, v15
	v_add_f32_e32 v1, v16, v1
	v_pk_mul_f32 v[18:19], v[8:9], v[8:9]
	v_add_f32_e32 v1, v17, v1
	v_add_f32_e32 v1, v18, v1
	;; [unrolled: 3-line block ×3, first 2 shown]
	v_add_f32_e32 v1, v21, v1
	s_nop 1
	v_mov_b32_dpp v14, v1 quad_perm:[1,0,3,2] row_mask:0xf bank_mask:0xf
	v_add_f32_e32 v1, v1, v14
	s_nop 1
	v_mov_b32_dpp v14, v1 quad_perm:[2,3,0,1] row_mask:0xf bank_mask:0xf
	v_add_f32_e32 v1, v1, v14
	s_nop 1
	v_mov_b32_dpp v14, v1 row_half_mirror row_mask:0xf bank_mask:0xf
	v_add_f32_e32 v1, v1, v14
	s_nop 1
	v_mov_b32_dpp v14, v1 row_mirror row_mask:0xf bank_mask:0xf
	v_add_f32_e32 v1, v1, v14
	s_nop 1
	v_mov_b32_dpp v14, v1 row_bcast:15 row_mask:0xf bank_mask:0xf
	v_add_f32_e32 v1, v1, v14
	s_nop 1
	v_mov_b32_dpp v14, v1 row_bcast:31 row_mask:0xf bank_mask:0xf
	s_and_saveexec_b64 s[10:11], s[0:1]
	s_cbranch_execz .LBB75_3
; %bb.2:
	v_lshrrev_b32_e32 v15, 4, v0
	v_and_b32_e32 v15, 60, v15
	v_add_f32_e32 v1, v1, v14
	ds_write_b32 v15, v1 offset:16
.LBB75_3:
	s_or_b64 exec, exec, s[10:11]
	v_and_b32_e32 v1, 3, v0
	v_lshlrev_b32_e32 v14, 2, v1
	s_waitcnt lgkmcnt(0)
	s_barrier
	ds_read_b32 v1, v14 offset:16
	v_cvt_f32_i32_e32 v15, s9
	s_waitcnt vmcnt(0)
	v_cvt_f32_f16_sdwa v21, v3 dst_sel:DWORD dst_unused:UNUSED_PAD src0_sel:WORD_1
	v_cvt_f32_f16_sdwa v23, v5 dst_sel:DWORD dst_unused:UNUSED_PAD src0_sel:WORD_1
	v_cvt_f32_f16_e32 v22, v5
	s_waitcnt lgkmcnt(0)
	v_mov_b32_dpp v16, v1 quad_perm:[1,0,3,2] row_mask:0xf bank_mask:0xf
	v_add_f32_e32 v1, v1, v16
	s_nop 1
	v_mov_b32_dpp v16, v1 quad_perm:[2,3,0,1] row_mask:0xf bank_mask:0xf
	v_add_f32_e32 v1, v1, v16
	v_div_scale_f32 v16, s[10:11], v15, v15, v1
	v_rcp_f32_e32 v17, v16
	v_div_scale_f32 v18, vcc, v1, v15, v1
	s_load_dwordx2 s[10:11], s[4:5], 0x4c
	s_load_dword s14, s[4:5], 0x54
	v_fma_f32 v19, -v16, v17, 1.0
	v_fmac_f32_e32 v17, v19, v17
	v_mul_f32_e32 v19, v18, v17
	v_fma_f32 v20, -v16, v19, v18
	v_fmac_f32_e32 v19, v20, v17
	v_fma_f32 v16, -v16, v19, v18
	v_div_fmas_f32 v16, v16, v17, v19
	v_div_fixup_f32 v1, v16, v15, v1
	v_cvt_f64_f32_e32 v[16:17], v1
	v_add_f64 v[16:17], v[16:17], s[2:3]
	v_cvt_f32_f64_e32 v1, v[16:17]
	s_mov_b32 s2, 0x800000
	v_mul_f32_e32 v15, 0x4b800000, v1
	v_cmp_gt_f32_e32 vcc, s2, v1
	v_cndmask_b32_e32 v1, v1, v15, vcc
	v_rsq_f32_e32 v15, v1
	v_cvt_f32_f16_e32 v20, v3
	v_cvt_f32_f16_sdwa v3, v4 dst_sel:DWORD dst_unused:UNUSED_PAD src0_sel:WORD_1
	v_lshlrev_b32_e32 v1, 3, v0
	v_mul_f32_e32 v16, 0x45800000, v15
	v_cndmask_b32_e32 v16, v15, v16, vcc
	v_mov_b32_e32 v17, v16
	;;#ASMSTART
	v_pk_mul_f32 v[12:13], v[12:13], v[16:17]
	;;#ASMEND
	;;#ASMSTART
	v_pk_mul_f32 v[10:11], v[10:11], v[16:17]
	;;#ASMEND
	;; [unrolled: 3-line block ×4, first 2 shown]
	v_cvt_f32_f16_sdwa v7, v2 dst_sel:DWORD dst_unused:UNUSED_PAD src0_sel:WORD_1
	v_cvt_f32_f16_e32 v6, v2
	v_cvt_f32_f16_e32 v2, v4
	;;#ASMSTART
	v_pk_mul_f32 v[8:9], v[12:13], v[6:7]
	;;#ASMEND
	;;#ASMSTART
	v_pk_mul_f32 v[6:7], v[10:11], v[20:21]
	;;#ASMEND
	v_and_b32_e32 v10, 0x7fffffff, v8
	v_mov_b32_e32 v12, 0x2edbe6ff
	;;#ASMSTART
	v_pk_mul_f32 v[4:5], v[18:19], v[2:3]
	;;#ASMEND
	;;#ASMSTART
	v_pk_mul_f32 v[2:3], v[16:17], v[22:23]
	;;#ASMEND
	v_and_b32_e32 v11, 0x7fffffff, v9
	;;#ASMSTART
	v_max3_f32 v10, v12, v10, v11

	;;#ASMEND
	v_and_b32_e32 v12, 0x7fffffff, v7
	v_and_b32_e32 v11, 0x7fffffff, v6
	;;#ASMSTART
	v_max3_f32 v10, v10, v11, v12

	;;#ASMEND
	v_and_b32_e32 v12, 0x7fffffff, v5
	;; [unrolled: 6-line block ×3, first 2 shown]
	s_waitcnt lgkmcnt(0)
	s_cmp_lg_u32 s11, 0
	v_and_b32_e32 v11, 0x7fffffff, v2
	;;#ASMSTART
	v_max3_f32 v12, v10, v11, v12

	;;#ASMEND
	s_cbranch_scc0 .LBB75_10
; %bb.4:
	s_ashr_i32 s15, s11, 31
	s_lshr_b32 s2, s15, 29
	s_add_i32 s2, s11, s2
	s_ashr_i32 s18, s2, 3
	s_cmp_lt_i32 s18, 16
	s_cbranch_scc1 .LBB75_11
; %bb.5:
	s_cmp_lt_i32 s18, 32
	s_cbranch_scc1 .LBB75_12
; %bb.6:
	;; [unrolled: 3-line block ×3, first 2 shown]
	s_cmp_eq_u32 s18, 64
	v_mov_b32_e32 v10, v12
	s_cbranch_scc0 .LBB75_9
; %bb.8:
	s_nop 0
	v_mov_b32_dpp v10, v12 quad_perm:[1,0,3,2] row_mask:0xf bank_mask:0xf
	v_cmp_gt_f32_e32 vcc, v12, v10
	v_cndmask_b32_e32 v10, v10, v12, vcc
	v_bfrev_b32_e32 v13, 0.5
	s_nop 0
	v_mov_b32_dpp v11, v10 quad_perm:[2,3,0,1] row_mask:0xf bank_mask:0xf
	v_cmp_gt_f32_e32 vcc, v10, v11
	v_cndmask_b32_e32 v10, v11, v10, vcc
	s_nop 1
	v_mov_b32_dpp v11, v10 row_ror:4 row_mask:0xf bank_mask:0xf
	v_cmp_gt_f32_e32 vcc, v10, v11
	v_cndmask_b32_e32 v10, v11, v10, vcc
	s_nop 1
	v_mov_b32_dpp v11, v10 row_ror:8 row_mask:0xf bank_mask:0xf
	v_cmp_gt_f32_e32 vcc, v10, v11
	v_cndmask_b32_e32 v10, v11, v10, vcc
	s_nop 1
	v_mov_b32_dpp v11, v10 row_bcast:15 row_mask:0xf bank_mask:0xf
	v_cmp_gt_f32_e32 vcc, v10, v11
	v_cndmask_b32_e32 v10, v11, v10, vcc
	s_nop 1
	v_mov_b32_dpp v11, v10 row_bcast:31 row_mask:0xf bank_mask:0xf
	v_cmp_gt_f32_e32 vcc, v10, v11
	v_cndmask_b32_e32 v10, v11, v10, vcc
	v_mbcnt_lo_u32_b32 v11, -1, 0
	v_mbcnt_hi_u32_b32 v11, -1, v11
	v_lshl_or_b32 v11, v11, 2, v13
	ds_bpermute_b32 v10, v11, v10
.LBB75_9:
	s_mov_b64 s[2:3], 0
	s_branch .LBB75_14
.LBB75_10:
	s_mov_b64 s[2:3], 0
                                        ; implicit-def: $vgpr13
                                        ; implicit-def: $vgpr10_vgpr11
	s_cbranch_execnz .LBB75_43
	s_branch .LBB75_46
.LBB75_11:
                                        ; implicit-def: $vgpr10
	s_branch .LBB75_21
.LBB75_12:
                                        ; implicit-def: $vgpr10
	s_branch .LBB75_18
.LBB75_13:
	s_mov_b64 s[2:3], -1
                                        ; implicit-def: $vgpr10
.LBB75_14:
	s_andn2_b64 vcc, exec, s[2:3]
	s_cbranch_vccnz .LBB75_17
; %bb.15:
	s_cmp_eq_u32 s18, 32
	s_waitcnt lgkmcnt(0)
	v_mov_b32_e32 v10, v12
	s_cbranch_scc0 .LBB75_17
; %bb.16:
	s_nop 0
	v_mov_b32_dpp v10, v12 quad_perm:[1,0,3,2] row_mask:0xf bank_mask:0xf
	v_cmp_gt_f32_e32 vcc, v12, v10
	v_cndmask_b32_e32 v10, v10, v12, vcc
	v_mov_b32_e32 v13, 0x7c
	s_nop 0
	v_mov_b32_dpp v11, v10 quad_perm:[2,3,0,1] row_mask:0xf bank_mask:0xf
	v_cmp_gt_f32_e32 vcc, v10, v11
	v_cndmask_b32_e32 v10, v11, v10, vcc
	s_nop 1
	v_mov_b32_dpp v11, v10 row_half_mirror row_mask:0xf bank_mask:0xf
	v_cmp_gt_f32_e32 vcc, v10, v11
	v_cndmask_b32_e32 v10, v11, v10, vcc
	s_nop 1
	v_mov_b32_dpp v11, v10 row_mirror row_mask:0xf bank_mask:0xf
	v_cmp_gt_f32_e32 vcc, v10, v11
	v_cndmask_b32_e32 v10, v11, v10, vcc
	s_nop 1
	v_mov_b32_dpp v11, v10 row_bcast:15 row_mask:0xa bank_mask:0xf
	v_cmp_gt_f32_e32 vcc, v10, v11
	v_cndmask_b32_e32 v10, v11, v10, vcc
	v_mbcnt_lo_u32_b32 v11, -1, 0
	v_mbcnt_hi_u32_b32 v11, -1, v11
	v_lshl_or_b32 v11, v11, 2, v13
	ds_bpermute_b32 v10, v11, v10
.LBB75_17:
	s_cbranch_execnz .LBB75_20
.LBB75_18:
	s_cmp_eq_u32 s18, 16
	s_waitcnt lgkmcnt(0)
	v_mov_b32_e32 v10, v12
	s_cbranch_scc0 .LBB75_20
; %bb.19:
	s_nop 0
	v_mov_b32_dpp v10, v12 quad_perm:[1,0,3,2] row_mask:0xf bank_mask:0xf
	v_cmp_gt_f32_e32 vcc, v12, v10
	v_cndmask_b32_e32 v10, v10, v12, vcc
	s_nop 1
	v_mov_b32_dpp v11, v10 quad_perm:[2,3,0,1] row_mask:0xf bank_mask:0xf
	v_cmp_gt_f32_e32 vcc, v10, v11
	v_cndmask_b32_e32 v10, v11, v10, vcc
	s_nop 1
	v_mov_b32_dpp v11, v10 row_half_mirror row_mask:0xf bank_mask:0xf
	v_cmp_gt_f32_e32 vcc, v10, v11
	v_cndmask_b32_e32 v10, v11, v10, vcc
	s_nop 1
	v_mov_b32_dpp v11, v10 row_mirror row_mask:0xf bank_mask:0xf
	v_cmp_gt_f32_e32 vcc, v10, v11
	v_cndmask_b32_e32 v10, v11, v10, vcc
.LBB75_20:
	s_cbranch_execnz .LBB75_33
.LBB75_21:
	s_cmp_lt_i32 s18, 4
	s_cbranch_scc1 .LBB75_25
; %bb.22:
	s_cmp_lt_i32 s18, 8
	s_cbranch_scc1 .LBB75_26
; %bb.23:
	s_cmp_eq_u32 s18, 8
	s_waitcnt lgkmcnt(0)
	v_mov_b32_e32 v10, v12
	s_cbranch_scc0 .LBB75_27
; %bb.24:
	s_nop 0
	v_mov_b32_dpp v10, v12 quad_perm:[1,0,3,2] row_mask:0xf bank_mask:0xf
	v_cmp_gt_f32_e32 vcc, v12, v10
	v_cndmask_b32_e32 v10, v10, v12, vcc
	s_nop 1
	v_mov_b32_dpp v11, v10 quad_perm:[2,3,0,1] row_mask:0xf bank_mask:0xf
	v_cmp_gt_f32_e32 vcc, v10, v11
	v_cndmask_b32_e32 v10, v11, v10, vcc
	s_nop 1
	v_mov_b32_dpp v11, v10 row_half_mirror row_mask:0xf bank_mask:0xf
	v_cmp_gt_f32_e32 vcc, v10, v11
	v_cndmask_b32_e32 v10, v11, v10, vcc
	s_cbranch_execz .LBB75_28
	s_branch .LBB75_30
.LBB75_25:
                                        ; implicit-def: $vgpr10
	s_branch .LBB75_31
.LBB75_26:
                                        ; implicit-def: $vgpr10
	s_branch .LBB75_28
.LBB75_27:
	s_cbranch_execnz .LBB75_30
.LBB75_28:
	s_cmp_eq_u32 s18, 4
	s_waitcnt lgkmcnt(0)
	v_mov_b32_e32 v10, v12
	s_cbranch_scc0 .LBB75_30
; %bb.29:
	s_nop 0
	v_mov_b32_dpp v10, v12 quad_perm:[1,0,3,2] row_mask:0xf bank_mask:0xf
	v_cmp_gt_f32_e32 vcc, v12, v10
	v_cndmask_b32_e32 v10, v10, v12, vcc
	s_nop 1
	v_mov_b32_dpp v11, v10 quad_perm:[2,3,0,1] row_mask:0xf bank_mask:0xf
	v_cmp_gt_f32_e32 vcc, v10, v11
	v_cndmask_b32_e32 v10, v11, v10, vcc
.LBB75_30:
	s_cbranch_execnz .LBB75_33
.LBB75_31:
	s_cmp_lg_u32 s18, 2
	s_waitcnt lgkmcnt(0)
	v_mov_b32_e32 v10, v12
	s_cbranch_scc1 .LBB75_33
; %bb.32:
	s_nop 0
	v_mov_b32_dpp v10, v12 quad_perm:[1,0,3,2] row_mask:0xf bank_mask:0xf
	v_cmp_gt_f32_e32 vcc, v12, v10
	v_cndmask_b32_e32 v10, v10, v12, vcc
.LBB75_33:
	v_cvt_f32_u32_e32 v11, s18
	s_waitcnt lgkmcnt(0)
	v_mul_f32_e32 v13, 0x3b124925, v10
	s_sub_i32 s2, 0, s18
	v_cmp_gt_u32_e32 vcc, s9, v1
	v_rcp_iflag_f32_e32 v11, v11
	s_mov_b64 s[16:17], 0
	v_mul_f32_e32 v10, 0x4f7ffffe, v11
	v_cvt_u32_f32_e32 v10, v10
	v_mul_lo_u32 v11, s2, v10
	v_mul_hi_u32 v11, v10, v11
	v_add_u32_e32 v10, v10, v11
	v_mul_hi_u32 v10, v0, v10
	v_mul_lo_u32 v11, v10, s18
	v_sub_u32_e32 v11, v0, v11
	v_add_u32_e32 v15, 1, v10
	v_cmp_le_u32_e64 s[2:3], s18, v11
	v_cndmask_b32_e64 v10, v10, v15, s[2:3]
	v_subrev_u32_e32 v15, s18, v11
	v_cndmask_b32_e64 v11, v11, v15, s[2:3]
	v_add_u32_e32 v15, 1, v10
	v_cmp_le_u32_e64 s[2:3], s18, v11
	v_cndmask_b32_e64 v15, v10, v15, s[2:3]
	v_mul_lo_u32 v10, v15, s18
	v_sub_u32_e32 v10, v0, v10
	v_cmp_eq_u32_e64 s[2:3], 0, v10
	s_and_b64 s[18:19], s[2:3], vcc
	s_mov_b64 s[2:3], 0
                                        ; implicit-def: $vgpr10_vgpr11
	s_and_saveexec_b64 s[20:21], s[18:19]
	s_xor_b64 s[18:19], exec, s[20:21]
	s_cbranch_execz .LBB75_42
; %bb.34:
	s_bitcmp0_b32 s14, 0
	s_cbranch_scc0 .LBB75_39
; %bb.35:
	s_ashr_i32 s2, s9, 31
	s_mul_hi_u32 s3, s9, s6
	s_mul_i32 s2, s2, s6
	s_add_i32 s21, s3, s2
	s_mul_i32 s20, s9, s6
	s_mov_b32 s14, s11
	s_or_b64 s[2:3], s[20:21], s[14:15]
	s_mov_b32 s2, 0
	s_cmp_lg_u64 s[2:3], 0
	s_cbranch_scc0 .LBB75_50
; %bb.36:
	s_add_u32 s2, s14, s15
	s_mov_b32 s24, s15
	s_mov_b32 s25, s15
	s_addc_u32 s3, s15, s15
	s_xor_b64 s[26:27], s[2:3], s[24:25]
	v_cvt_f32_u32_e32 v10, s26
	v_cvt_f32_u32_e32 v11, s27
	s_sub_u32 s2, 0, s26
	s_subb_u32 s3, 0, s27
	v_madmk_f32 v10, v11, 0x4f800000, v10
	v_rcp_f32_e32 v10, v10
	v_mul_f32_e32 v10, 0x5f7ffffc, v10
	v_mul_f32_e32 v11, 0x2f800000, v10
	v_trunc_f32_e32 v11, v11
	v_madmk_f32 v10, v11, 0xcf800000, v10
	v_cvt_u32_f32_e32 v11, v11
	v_cvt_u32_f32_e32 v10, v10
	v_readfirstlane_b32 s11, v11
	v_readfirstlane_b32 s15, v10
	s_mul_i32 s28, s2, s11
	s_mul_hi_u32 s30, s2, s15
	s_mul_i32 s29, s3, s15
	s_add_i32 s28, s30, s28
	s_add_i32 s28, s28, s29
	s_mul_i32 s31, s2, s15
	s_mul_hi_u32 s29, s15, s28
	s_mul_i32 s30, s15, s28
	s_mul_hi_u32 s15, s15, s31
	s_add_u32 s15, s15, s30
	s_addc_u32 s29, 0, s29
	s_mul_hi_u32 s33, s11, s31
	s_mul_i32 s31, s11, s31
	s_add_u32 s15, s15, s31
	s_mul_hi_u32 s30, s11, s28
	s_addc_u32 s15, s29, s33
	s_addc_u32 s29, s30, 0
	s_mul_i32 s28, s11, s28
	s_add_u32 s15, s15, s28
	s_addc_u32 s28, 0, s29
	v_add_co_u32_e32 v10, vcc, s15, v10
	s_cmp_lg_u64 vcc, 0
	s_addc_u32 s11, s11, s28
	v_readfirstlane_b32 s28, v10
	s_mul_i32 s15, s2, s11
	s_mul_hi_u32 s29, s2, s28
	s_add_i32 s15, s29, s15
	s_mul_i32 s3, s3, s28
	s_add_i32 s15, s15, s3
	s_mul_i32 s2, s2, s28
	s_mul_hi_u32 s29, s11, s2
	s_mul_i32 s30, s11, s2
	s_mul_i32 s33, s28, s15
	s_mul_hi_u32 s2, s28, s2
	s_mul_hi_u32 s31, s28, s15
	s_add_u32 s2, s2, s33
	s_addc_u32 s28, 0, s31
	s_add_u32 s2, s2, s30
	s_mul_hi_u32 s3, s11, s15
	s_addc_u32 s2, s28, s29
	s_addc_u32 s3, s3, 0
	s_mul_i32 s15, s11, s15
	s_add_u32 s2, s2, s15
	s_addc_u32 s3, 0, s3
	v_add_co_u32_e32 v10, vcc, s2, v10
	s_cmp_lg_u64 vcc, 0
	s_addc_u32 s11, s11, s3
	s_ashr_i32 s28, s21, 31
	s_add_u32 s2, s20, s28
	s_mov_b32 s29, s28
	s_addc_u32 s3, s21, s28
	s_xor_b64 s[30:31], s[2:3], s[28:29]
	v_readfirstlane_b32 s15, v10
	s_mul_i32 s3, s30, s11
	s_mul_hi_u32 s21, s30, s15
	s_mul_hi_u32 s2, s30, s11
	s_add_u32 s3, s21, s3
	s_addc_u32 s2, 0, s2
	s_mul_hi_u32 s33, s31, s15
	s_mul_i32 s15, s31, s15
	s_add_u32 s3, s3, s15
	s_mul_hi_u32 s21, s31, s11
	s_addc_u32 s2, s2, s33
	s_addc_u32 s3, s21, 0
	s_mul_i32 s11, s31, s11
	s_add_u32 s11, s2, s11
	s_addc_u32 s15, 0, s3
	s_mul_i32 s2, s26, s15
	s_mul_hi_u32 s3, s26, s11
	s_add_i32 s2, s3, s2
	s_mul_i32 s3, s27, s11
	s_add_i32 s21, s2, s3
	s_mul_i32 s3, s26, s11
	v_mov_b32_e32 v10, s3
	s_sub_i32 s2, s31, s21
	v_sub_co_u32_e32 v10, vcc, s30, v10
	s_cmp_lg_u64 vcc, 0
	s_subb_u32 s30, s2, s27
	v_subrev_co_u32_e64 v11, s[2:3], s26, v10
	s_cmp_lg_u64 s[2:3], 0
	s_subb_u32 s30, s30, 0
	s_cmp_ge_u32 s30, s27
	s_cselect_b32 s33, -1, 0
	v_cmp_le_u32_e64 s[2:3], s26, v11
	s_cmp_eq_u32 s30, s27
	v_cndmask_b32_e64 v11, 0, -1, s[2:3]
	v_mov_b32_e32 v16, s33
	s_cselect_b64 s[2:3], -1, 0
	v_cndmask_b32_e64 v11, v16, v11, s[2:3]
	s_add_u32 s2, s11, 1
	s_addc_u32 s30, s15, 0
	s_add_u32 s3, s11, 2
	s_addc_u32 s33, s15, 0
	v_mov_b32_e32 v16, s2
	v_mov_b32_e32 v17, s3
	v_cmp_ne_u32_e64 s[2:3], 0, v11
	v_cndmask_b32_e64 v11, v16, v17, s[2:3]
	v_mov_b32_e32 v16, s30
	v_mov_b32_e32 v17, s33
	s_cmp_lg_u64 vcc, 0
	v_cndmask_b32_e64 v16, v16, v17, s[2:3]
	s_subb_u32 s2, s31, s21
	s_cmp_ge_u32 s2, s27
	s_cselect_b32 s3, -1, 0
	v_cmp_le_u32_e32 vcc, s26, v10
	s_cmp_eq_u32 s2, s27
	v_cndmask_b32_e64 v10, 0, -1, vcc
	v_mov_b32_e32 v17, s3
	s_cselect_b64 vcc, -1, 0
	v_cndmask_b32_e32 v10, v17, v10, vcc
	v_mov_b32_e32 v17, s15
	v_cmp_ne_u32_e32 vcc, 0, v10
	v_cndmask_b32_e32 v10, v17, v16, vcc
	v_mov_b32_e32 v16, s11
	v_cndmask_b32_e32 v11, v16, v11, vcc
	s_xor_b64 s[2:3], s[28:29], s[24:25]
	v_xor_b32_e32 v11, s2, v11
	v_xor_b32_e32 v16, s3, v10
	v_mov_b32_e32 v17, s3
	v_subrev_co_u32_e32 v10, vcc, s2, v11
	v_subb_co_u32_e32 v11, vcc, v16, v17, vcc
	s_cbranch_execnz .LBB75_38
.LBB75_37:
	v_cvt_f32_u32_e32 v10, s14
	s_sub_i32 s2, 0, s14
	s_mov_b32 s3, 0
	v_rcp_iflag_f32_e32 v10, v10
	v_mul_f32_e32 v10, 0x4f7ffffe, v10
	v_cvt_u32_f32_e32 v10, v10
	v_readfirstlane_b32 s11, v10
	s_mul_i32 s2, s2, s11
	s_mul_hi_u32 s2, s11, s2
	s_add_i32 s11, s11, s2
	s_mul_hi_u32 s2, s20, s11
	s_mul_i32 s15, s2, s14
	s_sub_i32 s15, s20, s15
	s_add_i32 s11, s2, 1
	s_sub_i32 s20, s15, s14
	s_cmp_ge_u32 s15, s14
	s_cselect_b32 s2, s11, s2
	s_cselect_b32 s15, s20, s15
	s_add_i32 s11, s2, 1
	s_cmp_ge_u32 s15, s14
	s_cselect_b32 s2, s11, s2
	v_pk_mov_b32 v[10:11], s[2:3], s[2:3] op_sel:[0,1]
.LBB75_38:
	v_add_co_u32_e32 v10, vcc, v10, v15
	v_addc_co_u32_e32 v11, vcc, 0, v11, vcc
	s_branch .LBB75_41
.LBB75_39:
                                        ; implicit-def: $vgpr10_vgpr11
	s_cbranch_execz .LBB75_41
; %bb.40:
	v_mul_lo_u32 v10, v15, s8
	v_ashrrev_i32_e32 v11, 31, v10
	v_mov_b32_e32 v15, s7
	v_add_co_u32_e32 v10, vcc, s6, v10
	v_addc_co_u32_e32 v11, vcc, v11, v15, vcc
.LBB75_41:
	s_mov_b64 s[2:3], exec
.LBB75_42:
	s_or_b64 exec, exec, s[18:19]
	s_and_b64 vcc, exec, s[16:17]
	s_cbranch_vccz .LBB75_46
.LBB75_43:
	v_mov_b32_dpp v10, v12 quad_perm:[1,0,3,2] row_mask:0xf bank_mask:0xf
	v_cmp_gt_f32_e32 vcc, v12, v10
	v_cndmask_b32_e32 v10, v10, v12, vcc
	s_nop 1
	v_mov_b32_dpp v11, v10 quad_perm:[2,3,0,1] row_mask:0xf bank_mask:0xf
	v_cmp_gt_f32_e32 vcc, v10, v11
	v_cndmask_b32_e32 v10, v11, v10, vcc
	s_nop 1
	v_mov_b32_dpp v11, v10 row_half_mirror row_mask:0xf bank_mask:0xf
	v_cmp_gt_f32_e32 vcc, v10, v11
	v_cndmask_b32_e32 v10, v11, v10, vcc
	s_nop 1
	v_mov_b32_dpp v11, v10 row_mirror row_mask:0xf bank_mask:0xf
	v_cmp_gt_f32_e32 vcc, v10, v11
	v_cndmask_b32_e32 v10, v11, v10, vcc
	s_nop 1
	v_mov_b32_dpp v11, v10 row_bcast:15 row_mask:0xf bank_mask:0xf
	v_cmp_gt_f32_e32 vcc, v10, v11
	v_cndmask_b32_e32 v10, v11, v10, vcc
	s_nop 1
	v_mov_b32_dpp v11, v10 row_bcast:31 row_mask:0xf bank_mask:0xf
	s_and_saveexec_b64 s[2:3], s[0:1]
	s_cbranch_execz .LBB75_45
; %bb.44:
	v_lshrrev_b32_e32 v12, 4, v0
	v_cmp_gt_f32_e32 vcc, v10, v11
	v_and_b32_e32 v12, 60, v12
	v_cndmask_b32_e32 v10, v11, v10, vcc
	ds_write_b32 v12, v10
.LBB75_45:
	s_or_b64 exec, exec, s[2:3]
	s_waitcnt lgkmcnt(0)
	s_barrier
	ds_read_b32 v10, v14
	v_cmp_eq_u32_e64 s[2:3], 0, v0
	s_waitcnt lgkmcnt(0)
	v_mov_b32_dpp v11, v10 quad_perm:[1,0,3,2] row_mask:0xf bank_mask:0xf
	v_cmp_gt_f32_e32 vcc, v10, v11
	v_cndmask_b32_e32 v10, v11, v10, vcc
	s_nop 1
	v_mov_b32_dpp v11, v10 quad_perm:[2,3,0,1] row_mask:0xf bank_mask:0xf
	v_cmp_gt_f32_e32 vcc, v10, v11
	v_cndmask_b32_e32 v10, v11, v10, vcc
	v_mul_f32_e32 v13, 0x3b124925, v10
	v_pk_mov_b32 v[10:11], s[6:7], s[6:7] op_sel:[0,1]
.LBB75_46:
	s_and_saveexec_b64 s[0:1], s[2:3]
	s_cbranch_execz .LBB75_48
; %bb.47:
	v_lshlrev_b64 v[10:11], 2, v[10:11]
	v_mov_b32_e32 v0, s13
	v_add_co_u32_e32 v10, vcc, s12, v10
	v_addc_co_u32_e32 v11, vcc, v0, v11, vcc
	global_store_dword v[10:11], v13, off
.LBB75_48:
	s_or_b64 exec, exec, s[0:1]
	s_add_i32 s2, s9, 3
	s_load_dwordx2 s[0:1], s[4:5], 0x0
	s_ashr_i32 s3, s2, 31
	s_lshr_b32 s3, s3, 30
	;;#ASMSTART
	v_rcp_f32 v10, v13
	;;#ASMEND
	v_mov_b32_e32 v11, v10
	;;#ASMSTART
	v_pk_mul_f32 v[8:9], v[8:9], v[10:11]
	;;#ASMEND
	s_add_i32 s2, s2, s3
	s_ashr_i32 s3, s10, 31
	v_mov_b32_e32 v0, 0xc3e00000
	v_mov_b32_e32 v12, 0x43e00000
	;;#ASMSTART
	v_med3_f32 v8, v8, v0, v12
v_med3_f32 v9, v9, v0, v12
v_cvt_pk_fp8_f32 v13, v8, v9
	;;#ASMEND
	;;#ASMSTART
	v_pk_mul_f32 v[6:7], v[6:7], v[10:11]
	;;#ASMEND
	s_mul_hi_u32 s4, s10, s6
	s_mul_i32 s3, s3, s6
	;;#ASMSTART
	v_med3_f32 v6, v6, v0, v12
v_med3_f32 v7, v7, v0, v12
v_cvt_pk_fp8_f32 v8, v6, v7
	;;#ASMEND
	s_mov_b32 s5, 0x5040100
	s_and_b32 s2, s2, -4
	s_add_i32 s4, s4, s3
	s_mul_i32 s3, s10, s6
	v_perm_b32 v7, v8, v13, s5
	s_movk_i32 s5, 0xff
	s_waitcnt lgkmcnt(0)
	s_add_u32 s0, s0, s3
	v_and_b32_e32 v6, 0xffffff00, v8
	v_and_b32_sdwa v8, v7, s5 dst_sel:DWORD dst_unused:UNUSED_PAD src0_sel:WORD_1 src1_sel:DWORD
	s_addc_u32 s1, s1, s4
	s_mov_b32 s4, 0xffff
	v_or_b32_sdwa v6, v8, v6 dst_sel:WORD_1 dst_unused:UNUSED_PAD src0_sel:DWORD src1_sel:DWORD
	;;#ASMSTART
	v_pk_mul_f32 v[4:5], v[4:5], v[10:11]
	;;#ASMEND
	v_and_or_b32 v6, v7, s4, v6
	;;#ASMSTART
	v_med3_f32 v4, v4, v0, v12
v_med3_f32 v5, v5, v0, v12
v_cvt_pk_fp8_f32 v7, v4, v5
	;;#ASMEND
	;;#ASMSTART
	v_pk_mul_f32 v[2:3], v[2:3], v[10:11]
	;;#ASMEND
	;;#ASMSTART
	v_med3_f32 v2, v2, v0, v12
v_med3_f32 v3, v3, v0, v12
v_cvt_pk_fp8_f32 v0, v2, v3
	;;#ASMEND
	v_lshlrev_b32_e32 v0, 16, v0
	s_and_b32 s1, s1, 0xffff
	s_mov_b32 s3, 0x20000
	v_and_or_b32 v7, v7, s4, v0
	buffer_store_dwordx2 v[6:7], v1, s[0:3], 0 offen
	;;#ASMSTART
	s_nop 0
	;;#ASMEND
.LBB75_49:
	s_endpgm
.LBB75_50:
                                        ; implicit-def: $vgpr10_vgpr11
	s_branch .LBB75_37
	.section	.rodata,"a",@progbits
	.p2align	6, 0x0
	.amdhsa_kernel _ZN5aiter24add_rmsnorm_quant_kernelIDF16_DB8_Li256ELi8ELb0ELb1ELb0ELi1EEEvPT0_PT_PfS5_S5_S5_diiiiiiib
		.amdhsa_group_segment_fixed_size 32
		.amdhsa_private_segment_fixed_size 0
		.amdhsa_kernarg_size 88
		.amdhsa_user_sgpr_count 6
		.amdhsa_user_sgpr_private_segment_buffer 1
		.amdhsa_user_sgpr_dispatch_ptr 0
		.amdhsa_user_sgpr_queue_ptr 0
		.amdhsa_user_sgpr_kernarg_segment_ptr 1
		.amdhsa_user_sgpr_dispatch_id 0
		.amdhsa_user_sgpr_flat_scratch_init 0
		.amdhsa_user_sgpr_kernarg_preload_length 0
		.amdhsa_user_sgpr_kernarg_preload_offset 0
		.amdhsa_user_sgpr_private_segment_size 0
		.amdhsa_uses_dynamic_stack 0
		.amdhsa_system_sgpr_private_segment_wavefront_offset 0
		.amdhsa_system_sgpr_workgroup_id_x 1
		.amdhsa_system_sgpr_workgroup_id_y 0
		.amdhsa_system_sgpr_workgroup_id_z 0
		.amdhsa_system_sgpr_workgroup_info 0
		.amdhsa_system_vgpr_workitem_id 0
		.amdhsa_next_free_vgpr 24
		.amdhsa_next_free_sgpr 34
		.amdhsa_accum_offset 24
		.amdhsa_reserve_vcc 1
		.amdhsa_reserve_flat_scratch 0
		.amdhsa_float_round_mode_32 0
		.amdhsa_float_round_mode_16_64 0
		.amdhsa_float_denorm_mode_32 3
		.amdhsa_float_denorm_mode_16_64 3
		.amdhsa_dx10_clamp 1
		.amdhsa_ieee_mode 1
		.amdhsa_fp16_overflow 0
		.amdhsa_tg_split 0
		.amdhsa_exception_fp_ieee_invalid_op 0
		.amdhsa_exception_fp_denorm_src 0
		.amdhsa_exception_fp_ieee_div_zero 0
		.amdhsa_exception_fp_ieee_overflow 0
		.amdhsa_exception_fp_ieee_underflow 0
		.amdhsa_exception_fp_ieee_inexact 0
		.amdhsa_exception_int_div_zero 0
	.end_amdhsa_kernel
	.section	.text._ZN5aiter24add_rmsnorm_quant_kernelIDF16_DB8_Li256ELi8ELb0ELb1ELb0ELi1EEEvPT0_PT_PfS5_S5_S5_diiiiiiib,"axG",@progbits,_ZN5aiter24add_rmsnorm_quant_kernelIDF16_DB8_Li256ELi8ELb0ELb1ELb0ELi1EEEvPT0_PT_PfS5_S5_S5_diiiiiiib,comdat
.Lfunc_end75:
	.size	_ZN5aiter24add_rmsnorm_quant_kernelIDF16_DB8_Li256ELi8ELb0ELb1ELb0ELi1EEEvPT0_PT_PfS5_S5_S5_diiiiiiib, .Lfunc_end75-_ZN5aiter24add_rmsnorm_quant_kernelIDF16_DB8_Li256ELi8ELb0ELb1ELb0ELi1EEEvPT0_PT_PfS5_S5_S5_diiiiiiib
                                        ; -- End function
	.section	.AMDGPU.csdata,"",@progbits
; Kernel info:
; codeLenInByte = 3152
; NumSgprs: 38
; NumVgprs: 24
; NumAgprs: 0
; TotalNumVgprs: 24
; ScratchSize: 0
; MemoryBound: 0
; FloatMode: 240
; IeeeMode: 1
; LDSByteSize: 32 bytes/workgroup (compile time only)
; SGPRBlocks: 4
; VGPRBlocks: 2
; NumSGPRsForWavesPerEU: 38
; NumVGPRsForWavesPerEU: 24
; AccumOffset: 24
; Occupancy: 8
; WaveLimiterHint : 0
; COMPUTE_PGM_RSRC2:SCRATCH_EN: 0
; COMPUTE_PGM_RSRC2:USER_SGPR: 6
; COMPUTE_PGM_RSRC2:TRAP_HANDLER: 0
; COMPUTE_PGM_RSRC2:TGID_X_EN: 1
; COMPUTE_PGM_RSRC2:TGID_Y_EN: 0
; COMPUTE_PGM_RSRC2:TGID_Z_EN: 0
; COMPUTE_PGM_RSRC2:TIDIG_COMP_CNT: 0
; COMPUTE_PGM_RSRC3_GFX90A:ACCUM_OFFSET: 5
; COMPUTE_PGM_RSRC3_GFX90A:TG_SPLIT: 0
	.section	.text._ZN5aiter24add_rmsnorm_quant_kernelItDB8_Li256ELi8ELb0ELb1ELb0ELi1EEEvPT0_PT_PfS5_S5_S5_diiiiiiib,"axG",@progbits,_ZN5aiter24add_rmsnorm_quant_kernelItDB8_Li256ELi8ELb0ELb1ELb0ELi1EEEvPT0_PT_PfS5_S5_S5_diiiiiiib,comdat
	.protected	_ZN5aiter24add_rmsnorm_quant_kernelItDB8_Li256ELi8ELb0ELb1ELb0ELi1EEEvPT0_PT_PfS5_S5_S5_diiiiiiib ; -- Begin function _ZN5aiter24add_rmsnorm_quant_kernelItDB8_Li256ELi8ELb0ELb1ELb0ELi1EEEvPT0_PT_PfS5_S5_S5_diiiiiiib
	.globl	_ZN5aiter24add_rmsnorm_quant_kernelItDB8_Li256ELi8ELb0ELb1ELb0ELi1EEEvPT0_PT_PfS5_S5_S5_diiiiiiib
	.p2align	8
	.type	_ZN5aiter24add_rmsnorm_quant_kernelItDB8_Li256ELi8ELb0ELb1ELb0ELi1EEEvPT0_PT_PfS5_S5_S5_diiiiiiib,@function
_ZN5aiter24add_rmsnorm_quant_kernelItDB8_Li256ELi8ELb0ELb1ELb0ELi1EEEvPT0_PT_PfS5_S5_S5_diiiiiiib: ; @_ZN5aiter24add_rmsnorm_quant_kernelItDB8_Li256ELi8ELb0ELb1ELb0ELi1EEEvPT0_PT_PfS5_S5_S5_diiiiiiib
; %bb.0:
	s_load_dwordx4 s[8:11], s[4:5], 0x38
	s_mov_b32 s7, 0
	s_waitcnt lgkmcnt(0)
	s_ashr_i32 s0, s8, 31
	v_mov_b32_e32 v2, s8
	v_mov_b32_e32 v3, s0
	v_cmp_ge_i64_e32 vcc, s[6:7], v[2:3]
	s_cbranch_vccnz .LBB76_49
; %bb.1:
	s_load_dwordx4 s[12:15], s[4:5], 0x10
	s_load_dwordx4 s[0:3], s[4:5], 0x28
	s_ashr_i32 s11, s10, 31
	s_mul_hi_u32 s16, s10, s6
	s_mul_i32 s11, s11, s6
	s_add_i32 s11, s16, s11
	s_mul_i32 s10, s10, s6
	s_lshl_b64 s[10:11], s[10:11], 1
	s_waitcnt lgkmcnt(0)
	s_add_u32 s16, s14, s10
	s_addc_u32 s10, s15, s11
	s_add_i32 s11, s9, 1
	s_lshr_b32 s14, s11, 31
	s_add_i32 s11, s11, s14
	s_lshl_b32 s11, s11, 1
	s_and_b32 s18, s11, -4
	s_and_b32 s17, s10, 0xffff
	s_mov_b32 s19, 0x20000
	v_lshlrev_b32_e32 v1, 4, v0
	buffer_load_dwordx4 v[14:17], v1, s[16:19], 0 offen glc slc
	s_mov_b32 s16, s0
	s_and_b32 s17, s1, 0xffff
	buffer_load_dwordx4 v[2:5], v1, s[16:19], 0 offen
	v_and_b32_e32 v22, 63, v0
	v_cmp_eq_u32_e64 s[0:1], 63, v22
	s_waitcnt vmcnt(1)
	v_cvt_f32_u32_sdwa v13, v14 dst_sel:DWORD dst_unused:UNUSED_PAD src0_sel:WORD_1
	v_cvt_f32_u32_sdwa v12, v14 dst_sel:DWORD dst_unused:UNUSED_PAD src0_sel:WORD_0
	v_cvt_f32_u32_sdwa v11, v15 dst_sel:DWORD dst_unused:UNUSED_PAD src0_sel:WORD_1
	v_cvt_f32_u32_sdwa v10, v15 dst_sel:DWORD dst_unused:UNUSED_PAD src0_sel:WORD_0
	;; [unrolled: 2-line block ×3, first 2 shown]
	v_pk_mul_f32 v[14:15], v[12:13], v[12:13]
	v_cvt_f32_u32_sdwa v7, v17 dst_sel:DWORD dst_unused:UNUSED_PAD src0_sel:WORD_1
	v_cvt_f32_u32_sdwa v6, v17 dst_sel:DWORD dst_unused:UNUSED_PAD src0_sel:WORD_0
	v_pk_mul_f32 v[16:17], v[10:11], v[10:11]
	v_add_f32_e32 v1, v14, v15
	v_add_f32_e32 v1, v16, v1
	v_pk_mul_f32 v[18:19], v[8:9], v[8:9]
	v_add_f32_e32 v1, v17, v1
	v_add_f32_e32 v1, v18, v1
	;; [unrolled: 3-line block ×3, first 2 shown]
	v_add_f32_e32 v1, v21, v1
	s_nop 1
	v_mov_b32_dpp v14, v1 quad_perm:[1,0,3,2] row_mask:0xf bank_mask:0xf
	v_add_f32_e32 v1, v1, v14
	s_nop 1
	v_mov_b32_dpp v14, v1 quad_perm:[2,3,0,1] row_mask:0xf bank_mask:0xf
	v_add_f32_e32 v1, v1, v14
	s_nop 1
	v_mov_b32_dpp v14, v1 row_half_mirror row_mask:0xf bank_mask:0xf
	v_add_f32_e32 v1, v1, v14
	s_nop 1
	v_mov_b32_dpp v14, v1 row_mirror row_mask:0xf bank_mask:0xf
	v_add_f32_e32 v1, v1, v14
	s_nop 1
	v_mov_b32_dpp v14, v1 row_bcast:15 row_mask:0xf bank_mask:0xf
	v_add_f32_e32 v1, v1, v14
	s_nop 1
	v_mov_b32_dpp v14, v1 row_bcast:31 row_mask:0xf bank_mask:0xf
	s_and_saveexec_b64 s[10:11], s[0:1]
	s_cbranch_execz .LBB76_3
; %bb.2:
	v_lshrrev_b32_e32 v15, 4, v0
	v_and_b32_e32 v15, 60, v15
	v_add_f32_e32 v1, v1, v14
	ds_write_b32 v15, v1 offset:16
.LBB76_3:
	s_or_b64 exec, exec, s[10:11]
	v_and_b32_e32 v1, 3, v0
	v_lshlrev_b32_e32 v14, 2, v1
	s_waitcnt lgkmcnt(0)
	s_barrier
	ds_read_b32 v1, v14 offset:16
	v_cvt_f32_i32_e32 v15, s9
	s_waitcnt vmcnt(0)
	v_cvt_f32_u32_sdwa v21, v3 dst_sel:DWORD dst_unused:UNUSED_PAD src0_sel:WORD_1
	v_cvt_f32_u32_sdwa v23, v5 dst_sel:DWORD dst_unused:UNUSED_PAD src0_sel:WORD_1
	v_cvt_f32_u32_sdwa v22, v5 dst_sel:DWORD dst_unused:UNUSED_PAD src0_sel:WORD_0
	s_waitcnt lgkmcnt(0)
	v_mov_b32_dpp v16, v1 quad_perm:[1,0,3,2] row_mask:0xf bank_mask:0xf
	v_add_f32_e32 v1, v1, v16
	s_nop 1
	v_mov_b32_dpp v16, v1 quad_perm:[2,3,0,1] row_mask:0xf bank_mask:0xf
	v_add_f32_e32 v1, v1, v16
	v_div_scale_f32 v16, s[10:11], v15, v15, v1
	v_rcp_f32_e32 v17, v16
	v_div_scale_f32 v18, vcc, v1, v15, v1
	s_load_dwordx2 s[10:11], s[4:5], 0x4c
	s_load_dword s14, s[4:5], 0x54
	v_fma_f32 v19, -v16, v17, 1.0
	v_fmac_f32_e32 v17, v19, v17
	v_mul_f32_e32 v19, v18, v17
	v_fma_f32 v20, -v16, v19, v18
	v_fmac_f32_e32 v19, v20, v17
	v_fma_f32 v16, -v16, v19, v18
	v_div_fmas_f32 v16, v16, v17, v19
	v_div_fixup_f32 v1, v16, v15, v1
	v_cvt_f64_f32_e32 v[16:17], v1
	v_add_f64 v[16:17], v[16:17], s[2:3]
	v_cvt_f32_f64_e32 v1, v[16:17]
	s_mov_b32 s2, 0x800000
	v_mul_f32_e32 v15, 0x4b800000, v1
	v_cmp_gt_f32_e32 vcc, s2, v1
	v_cndmask_b32_e32 v1, v1, v15, vcc
	v_rsq_f32_e32 v15, v1
	v_cvt_f32_u32_sdwa v20, v3 dst_sel:DWORD dst_unused:UNUSED_PAD src0_sel:WORD_0
	v_cvt_f32_u32_sdwa v3, v4 dst_sel:DWORD dst_unused:UNUSED_PAD src0_sel:WORD_1
	v_lshlrev_b32_e32 v1, 3, v0
	v_mul_f32_e32 v16, 0x45800000, v15
	v_cndmask_b32_e32 v16, v15, v16, vcc
	v_mov_b32_e32 v17, v16
	;;#ASMSTART
	v_pk_mul_f32 v[12:13], v[12:13], v[16:17]
	;;#ASMEND
	;;#ASMSTART
	v_pk_mul_f32 v[10:11], v[10:11], v[16:17]
	;;#ASMEND
	;; [unrolled: 3-line block ×4, first 2 shown]
	v_cvt_f32_u32_sdwa v7, v2 dst_sel:DWORD dst_unused:UNUSED_PAD src0_sel:WORD_1
	v_cvt_f32_u32_sdwa v6, v2 dst_sel:DWORD dst_unused:UNUSED_PAD src0_sel:WORD_0
	v_cvt_f32_u32_sdwa v2, v4 dst_sel:DWORD dst_unused:UNUSED_PAD src0_sel:WORD_0
	;;#ASMSTART
	v_pk_mul_f32 v[8:9], v[12:13], v[6:7]
	;;#ASMEND
	;;#ASMSTART
	v_pk_mul_f32 v[6:7], v[10:11], v[20:21]
	;;#ASMEND
	v_and_b32_e32 v10, 0x7fffffff, v8
	v_mov_b32_e32 v12, 0x2edbe6ff
	;;#ASMSTART
	v_pk_mul_f32 v[4:5], v[18:19], v[2:3]
	;;#ASMEND
	;;#ASMSTART
	v_pk_mul_f32 v[2:3], v[16:17], v[22:23]
	;;#ASMEND
	v_and_b32_e32 v11, 0x7fffffff, v9
	;;#ASMSTART
	v_max3_f32 v10, v12, v10, v11

	;;#ASMEND
	v_and_b32_e32 v12, 0x7fffffff, v7
	v_and_b32_e32 v11, 0x7fffffff, v6
	;;#ASMSTART
	v_max3_f32 v10, v10, v11, v12

	;;#ASMEND
	v_and_b32_e32 v12, 0x7fffffff, v5
	;; [unrolled: 6-line block ×3, first 2 shown]
	s_waitcnt lgkmcnt(0)
	s_cmp_lg_u32 s11, 0
	v_and_b32_e32 v11, 0x7fffffff, v2
	;;#ASMSTART
	v_max3_f32 v12, v10, v11, v12

	;;#ASMEND
	s_cbranch_scc0 .LBB76_10
; %bb.4:
	s_ashr_i32 s15, s11, 31
	s_lshr_b32 s2, s15, 29
	s_add_i32 s2, s11, s2
	s_ashr_i32 s18, s2, 3
	s_cmp_lt_i32 s18, 16
	s_cbranch_scc1 .LBB76_11
; %bb.5:
	s_cmp_lt_i32 s18, 32
	s_cbranch_scc1 .LBB76_12
; %bb.6:
	;; [unrolled: 3-line block ×3, first 2 shown]
	s_cmp_eq_u32 s18, 64
	v_mov_b32_e32 v10, v12
	s_cbranch_scc0 .LBB76_9
; %bb.8:
	s_nop 0
	v_mov_b32_dpp v10, v12 quad_perm:[1,0,3,2] row_mask:0xf bank_mask:0xf
	v_cmp_gt_f32_e32 vcc, v12, v10
	v_cndmask_b32_e32 v10, v10, v12, vcc
	v_bfrev_b32_e32 v13, 0.5
	s_nop 0
	v_mov_b32_dpp v11, v10 quad_perm:[2,3,0,1] row_mask:0xf bank_mask:0xf
	v_cmp_gt_f32_e32 vcc, v10, v11
	v_cndmask_b32_e32 v10, v11, v10, vcc
	s_nop 1
	v_mov_b32_dpp v11, v10 row_ror:4 row_mask:0xf bank_mask:0xf
	v_cmp_gt_f32_e32 vcc, v10, v11
	v_cndmask_b32_e32 v10, v11, v10, vcc
	s_nop 1
	v_mov_b32_dpp v11, v10 row_ror:8 row_mask:0xf bank_mask:0xf
	v_cmp_gt_f32_e32 vcc, v10, v11
	v_cndmask_b32_e32 v10, v11, v10, vcc
	s_nop 1
	v_mov_b32_dpp v11, v10 row_bcast:15 row_mask:0xf bank_mask:0xf
	v_cmp_gt_f32_e32 vcc, v10, v11
	v_cndmask_b32_e32 v10, v11, v10, vcc
	s_nop 1
	v_mov_b32_dpp v11, v10 row_bcast:31 row_mask:0xf bank_mask:0xf
	v_cmp_gt_f32_e32 vcc, v10, v11
	v_cndmask_b32_e32 v10, v11, v10, vcc
	v_mbcnt_lo_u32_b32 v11, -1, 0
	v_mbcnt_hi_u32_b32 v11, -1, v11
	v_lshl_or_b32 v11, v11, 2, v13
	ds_bpermute_b32 v10, v11, v10
.LBB76_9:
	s_mov_b64 s[2:3], 0
	s_branch .LBB76_14
.LBB76_10:
	s_mov_b64 s[2:3], 0
                                        ; implicit-def: $vgpr13
                                        ; implicit-def: $vgpr10_vgpr11
	s_cbranch_execnz .LBB76_43
	s_branch .LBB76_46
.LBB76_11:
                                        ; implicit-def: $vgpr10
	s_branch .LBB76_21
.LBB76_12:
                                        ; implicit-def: $vgpr10
	s_branch .LBB76_18
.LBB76_13:
	s_mov_b64 s[2:3], -1
                                        ; implicit-def: $vgpr10
.LBB76_14:
	s_andn2_b64 vcc, exec, s[2:3]
	s_cbranch_vccnz .LBB76_17
; %bb.15:
	s_cmp_eq_u32 s18, 32
	s_waitcnt lgkmcnt(0)
	v_mov_b32_e32 v10, v12
	s_cbranch_scc0 .LBB76_17
; %bb.16:
	s_nop 0
	v_mov_b32_dpp v10, v12 quad_perm:[1,0,3,2] row_mask:0xf bank_mask:0xf
	v_cmp_gt_f32_e32 vcc, v12, v10
	v_cndmask_b32_e32 v10, v10, v12, vcc
	v_mov_b32_e32 v13, 0x7c
	s_nop 0
	v_mov_b32_dpp v11, v10 quad_perm:[2,3,0,1] row_mask:0xf bank_mask:0xf
	v_cmp_gt_f32_e32 vcc, v10, v11
	v_cndmask_b32_e32 v10, v11, v10, vcc
	s_nop 1
	v_mov_b32_dpp v11, v10 row_half_mirror row_mask:0xf bank_mask:0xf
	v_cmp_gt_f32_e32 vcc, v10, v11
	v_cndmask_b32_e32 v10, v11, v10, vcc
	s_nop 1
	v_mov_b32_dpp v11, v10 row_mirror row_mask:0xf bank_mask:0xf
	v_cmp_gt_f32_e32 vcc, v10, v11
	v_cndmask_b32_e32 v10, v11, v10, vcc
	s_nop 1
	v_mov_b32_dpp v11, v10 row_bcast:15 row_mask:0xa bank_mask:0xf
	v_cmp_gt_f32_e32 vcc, v10, v11
	v_cndmask_b32_e32 v10, v11, v10, vcc
	v_mbcnt_lo_u32_b32 v11, -1, 0
	v_mbcnt_hi_u32_b32 v11, -1, v11
	v_lshl_or_b32 v11, v11, 2, v13
	ds_bpermute_b32 v10, v11, v10
.LBB76_17:
	s_cbranch_execnz .LBB76_20
.LBB76_18:
	s_cmp_eq_u32 s18, 16
	s_waitcnt lgkmcnt(0)
	v_mov_b32_e32 v10, v12
	s_cbranch_scc0 .LBB76_20
; %bb.19:
	s_nop 0
	v_mov_b32_dpp v10, v12 quad_perm:[1,0,3,2] row_mask:0xf bank_mask:0xf
	v_cmp_gt_f32_e32 vcc, v12, v10
	v_cndmask_b32_e32 v10, v10, v12, vcc
	s_nop 1
	v_mov_b32_dpp v11, v10 quad_perm:[2,3,0,1] row_mask:0xf bank_mask:0xf
	v_cmp_gt_f32_e32 vcc, v10, v11
	v_cndmask_b32_e32 v10, v11, v10, vcc
	s_nop 1
	v_mov_b32_dpp v11, v10 row_half_mirror row_mask:0xf bank_mask:0xf
	v_cmp_gt_f32_e32 vcc, v10, v11
	v_cndmask_b32_e32 v10, v11, v10, vcc
	s_nop 1
	v_mov_b32_dpp v11, v10 row_mirror row_mask:0xf bank_mask:0xf
	v_cmp_gt_f32_e32 vcc, v10, v11
	v_cndmask_b32_e32 v10, v11, v10, vcc
.LBB76_20:
	s_cbranch_execnz .LBB76_33
.LBB76_21:
	s_cmp_lt_i32 s18, 4
	s_cbranch_scc1 .LBB76_25
; %bb.22:
	s_cmp_lt_i32 s18, 8
	s_cbranch_scc1 .LBB76_26
; %bb.23:
	s_cmp_eq_u32 s18, 8
	s_waitcnt lgkmcnt(0)
	v_mov_b32_e32 v10, v12
	s_cbranch_scc0 .LBB76_27
; %bb.24:
	s_nop 0
	v_mov_b32_dpp v10, v12 quad_perm:[1,0,3,2] row_mask:0xf bank_mask:0xf
	v_cmp_gt_f32_e32 vcc, v12, v10
	v_cndmask_b32_e32 v10, v10, v12, vcc
	s_nop 1
	v_mov_b32_dpp v11, v10 quad_perm:[2,3,0,1] row_mask:0xf bank_mask:0xf
	v_cmp_gt_f32_e32 vcc, v10, v11
	v_cndmask_b32_e32 v10, v11, v10, vcc
	s_nop 1
	v_mov_b32_dpp v11, v10 row_half_mirror row_mask:0xf bank_mask:0xf
	v_cmp_gt_f32_e32 vcc, v10, v11
	v_cndmask_b32_e32 v10, v11, v10, vcc
	s_cbranch_execz .LBB76_28
	s_branch .LBB76_30
.LBB76_25:
                                        ; implicit-def: $vgpr10
	s_branch .LBB76_31
.LBB76_26:
                                        ; implicit-def: $vgpr10
	s_branch .LBB76_28
.LBB76_27:
	s_cbranch_execnz .LBB76_30
.LBB76_28:
	s_cmp_eq_u32 s18, 4
	s_waitcnt lgkmcnt(0)
	v_mov_b32_e32 v10, v12
	s_cbranch_scc0 .LBB76_30
; %bb.29:
	s_nop 0
	v_mov_b32_dpp v10, v12 quad_perm:[1,0,3,2] row_mask:0xf bank_mask:0xf
	v_cmp_gt_f32_e32 vcc, v12, v10
	v_cndmask_b32_e32 v10, v10, v12, vcc
	s_nop 1
	v_mov_b32_dpp v11, v10 quad_perm:[2,3,0,1] row_mask:0xf bank_mask:0xf
	v_cmp_gt_f32_e32 vcc, v10, v11
	v_cndmask_b32_e32 v10, v11, v10, vcc
.LBB76_30:
	s_cbranch_execnz .LBB76_33
.LBB76_31:
	s_cmp_lg_u32 s18, 2
	s_waitcnt lgkmcnt(0)
	v_mov_b32_e32 v10, v12
	s_cbranch_scc1 .LBB76_33
; %bb.32:
	s_nop 0
	v_mov_b32_dpp v10, v12 quad_perm:[1,0,3,2] row_mask:0xf bank_mask:0xf
	v_cmp_gt_f32_e32 vcc, v12, v10
	v_cndmask_b32_e32 v10, v10, v12, vcc
.LBB76_33:
	v_cvt_f32_u32_e32 v11, s18
	s_waitcnt lgkmcnt(0)
	v_mul_f32_e32 v13, 0x3b124925, v10
	s_sub_i32 s2, 0, s18
	v_cmp_gt_u32_e32 vcc, s9, v1
	v_rcp_iflag_f32_e32 v11, v11
	s_mov_b64 s[16:17], 0
	v_mul_f32_e32 v10, 0x4f7ffffe, v11
	v_cvt_u32_f32_e32 v10, v10
	v_mul_lo_u32 v11, s2, v10
	v_mul_hi_u32 v11, v10, v11
	v_add_u32_e32 v10, v10, v11
	v_mul_hi_u32 v10, v0, v10
	v_mul_lo_u32 v11, v10, s18
	v_sub_u32_e32 v11, v0, v11
	v_add_u32_e32 v15, 1, v10
	v_cmp_le_u32_e64 s[2:3], s18, v11
	v_cndmask_b32_e64 v10, v10, v15, s[2:3]
	v_subrev_u32_e32 v15, s18, v11
	v_cndmask_b32_e64 v11, v11, v15, s[2:3]
	v_add_u32_e32 v15, 1, v10
	v_cmp_le_u32_e64 s[2:3], s18, v11
	v_cndmask_b32_e64 v15, v10, v15, s[2:3]
	v_mul_lo_u32 v10, v15, s18
	v_sub_u32_e32 v10, v0, v10
	v_cmp_eq_u32_e64 s[2:3], 0, v10
	s_and_b64 s[18:19], s[2:3], vcc
	s_mov_b64 s[2:3], 0
                                        ; implicit-def: $vgpr10_vgpr11
	s_and_saveexec_b64 s[20:21], s[18:19]
	s_xor_b64 s[18:19], exec, s[20:21]
	s_cbranch_execz .LBB76_42
; %bb.34:
	s_bitcmp0_b32 s14, 0
	s_cbranch_scc0 .LBB76_39
; %bb.35:
	s_ashr_i32 s2, s9, 31
	s_mul_hi_u32 s3, s9, s6
	s_mul_i32 s2, s2, s6
	s_add_i32 s21, s3, s2
	s_mul_i32 s20, s9, s6
	s_mov_b32 s14, s11
	s_or_b64 s[2:3], s[20:21], s[14:15]
	s_mov_b32 s2, 0
	s_cmp_lg_u64 s[2:3], 0
	s_cbranch_scc0 .LBB76_50
; %bb.36:
	s_add_u32 s2, s14, s15
	s_mov_b32 s24, s15
	s_mov_b32 s25, s15
	s_addc_u32 s3, s15, s15
	s_xor_b64 s[26:27], s[2:3], s[24:25]
	v_cvt_f32_u32_e32 v10, s26
	v_cvt_f32_u32_e32 v11, s27
	s_sub_u32 s2, 0, s26
	s_subb_u32 s3, 0, s27
	v_madmk_f32 v10, v11, 0x4f800000, v10
	v_rcp_f32_e32 v10, v10
	v_mul_f32_e32 v10, 0x5f7ffffc, v10
	v_mul_f32_e32 v11, 0x2f800000, v10
	v_trunc_f32_e32 v11, v11
	v_madmk_f32 v10, v11, 0xcf800000, v10
	v_cvt_u32_f32_e32 v11, v11
	v_cvt_u32_f32_e32 v10, v10
	v_readfirstlane_b32 s11, v11
	v_readfirstlane_b32 s15, v10
	s_mul_i32 s28, s2, s11
	s_mul_hi_u32 s30, s2, s15
	s_mul_i32 s29, s3, s15
	s_add_i32 s28, s30, s28
	s_add_i32 s28, s28, s29
	s_mul_i32 s31, s2, s15
	s_mul_hi_u32 s29, s15, s28
	s_mul_i32 s30, s15, s28
	s_mul_hi_u32 s15, s15, s31
	s_add_u32 s15, s15, s30
	s_addc_u32 s29, 0, s29
	s_mul_hi_u32 s33, s11, s31
	s_mul_i32 s31, s11, s31
	s_add_u32 s15, s15, s31
	s_mul_hi_u32 s30, s11, s28
	s_addc_u32 s15, s29, s33
	s_addc_u32 s29, s30, 0
	s_mul_i32 s28, s11, s28
	s_add_u32 s15, s15, s28
	s_addc_u32 s28, 0, s29
	v_add_co_u32_e32 v10, vcc, s15, v10
	s_cmp_lg_u64 vcc, 0
	s_addc_u32 s11, s11, s28
	v_readfirstlane_b32 s28, v10
	s_mul_i32 s15, s2, s11
	s_mul_hi_u32 s29, s2, s28
	s_add_i32 s15, s29, s15
	s_mul_i32 s3, s3, s28
	s_add_i32 s15, s15, s3
	s_mul_i32 s2, s2, s28
	s_mul_hi_u32 s29, s11, s2
	s_mul_i32 s30, s11, s2
	s_mul_i32 s33, s28, s15
	s_mul_hi_u32 s2, s28, s2
	s_mul_hi_u32 s31, s28, s15
	s_add_u32 s2, s2, s33
	s_addc_u32 s28, 0, s31
	s_add_u32 s2, s2, s30
	s_mul_hi_u32 s3, s11, s15
	s_addc_u32 s2, s28, s29
	s_addc_u32 s3, s3, 0
	s_mul_i32 s15, s11, s15
	s_add_u32 s2, s2, s15
	s_addc_u32 s3, 0, s3
	v_add_co_u32_e32 v10, vcc, s2, v10
	s_cmp_lg_u64 vcc, 0
	s_addc_u32 s11, s11, s3
	s_ashr_i32 s28, s21, 31
	s_add_u32 s2, s20, s28
	s_mov_b32 s29, s28
	s_addc_u32 s3, s21, s28
	s_xor_b64 s[30:31], s[2:3], s[28:29]
	v_readfirstlane_b32 s15, v10
	s_mul_i32 s3, s30, s11
	s_mul_hi_u32 s21, s30, s15
	s_mul_hi_u32 s2, s30, s11
	s_add_u32 s3, s21, s3
	s_addc_u32 s2, 0, s2
	s_mul_hi_u32 s33, s31, s15
	s_mul_i32 s15, s31, s15
	s_add_u32 s3, s3, s15
	s_mul_hi_u32 s21, s31, s11
	s_addc_u32 s2, s2, s33
	s_addc_u32 s3, s21, 0
	s_mul_i32 s11, s31, s11
	s_add_u32 s11, s2, s11
	s_addc_u32 s15, 0, s3
	s_mul_i32 s2, s26, s15
	s_mul_hi_u32 s3, s26, s11
	s_add_i32 s2, s3, s2
	s_mul_i32 s3, s27, s11
	s_add_i32 s21, s2, s3
	s_mul_i32 s3, s26, s11
	v_mov_b32_e32 v10, s3
	s_sub_i32 s2, s31, s21
	v_sub_co_u32_e32 v10, vcc, s30, v10
	s_cmp_lg_u64 vcc, 0
	s_subb_u32 s30, s2, s27
	v_subrev_co_u32_e64 v11, s[2:3], s26, v10
	s_cmp_lg_u64 s[2:3], 0
	s_subb_u32 s30, s30, 0
	s_cmp_ge_u32 s30, s27
	s_cselect_b32 s33, -1, 0
	v_cmp_le_u32_e64 s[2:3], s26, v11
	s_cmp_eq_u32 s30, s27
	v_cndmask_b32_e64 v11, 0, -1, s[2:3]
	v_mov_b32_e32 v16, s33
	s_cselect_b64 s[2:3], -1, 0
	v_cndmask_b32_e64 v11, v16, v11, s[2:3]
	s_add_u32 s2, s11, 1
	s_addc_u32 s30, s15, 0
	s_add_u32 s3, s11, 2
	s_addc_u32 s33, s15, 0
	v_mov_b32_e32 v16, s2
	v_mov_b32_e32 v17, s3
	v_cmp_ne_u32_e64 s[2:3], 0, v11
	v_cndmask_b32_e64 v11, v16, v17, s[2:3]
	v_mov_b32_e32 v16, s30
	v_mov_b32_e32 v17, s33
	s_cmp_lg_u64 vcc, 0
	v_cndmask_b32_e64 v16, v16, v17, s[2:3]
	s_subb_u32 s2, s31, s21
	s_cmp_ge_u32 s2, s27
	s_cselect_b32 s3, -1, 0
	v_cmp_le_u32_e32 vcc, s26, v10
	s_cmp_eq_u32 s2, s27
	v_cndmask_b32_e64 v10, 0, -1, vcc
	v_mov_b32_e32 v17, s3
	s_cselect_b64 vcc, -1, 0
	v_cndmask_b32_e32 v10, v17, v10, vcc
	v_mov_b32_e32 v17, s15
	v_cmp_ne_u32_e32 vcc, 0, v10
	v_cndmask_b32_e32 v10, v17, v16, vcc
	v_mov_b32_e32 v16, s11
	v_cndmask_b32_e32 v11, v16, v11, vcc
	s_xor_b64 s[2:3], s[28:29], s[24:25]
	v_xor_b32_e32 v11, s2, v11
	v_xor_b32_e32 v16, s3, v10
	v_mov_b32_e32 v17, s3
	v_subrev_co_u32_e32 v10, vcc, s2, v11
	v_subb_co_u32_e32 v11, vcc, v16, v17, vcc
	s_cbranch_execnz .LBB76_38
.LBB76_37:
	v_cvt_f32_u32_e32 v10, s14
	s_sub_i32 s2, 0, s14
	s_mov_b32 s3, 0
	v_rcp_iflag_f32_e32 v10, v10
	v_mul_f32_e32 v10, 0x4f7ffffe, v10
	v_cvt_u32_f32_e32 v10, v10
	v_readfirstlane_b32 s11, v10
	s_mul_i32 s2, s2, s11
	s_mul_hi_u32 s2, s11, s2
	s_add_i32 s11, s11, s2
	s_mul_hi_u32 s2, s20, s11
	s_mul_i32 s15, s2, s14
	s_sub_i32 s15, s20, s15
	s_add_i32 s11, s2, 1
	s_sub_i32 s20, s15, s14
	s_cmp_ge_u32 s15, s14
	s_cselect_b32 s2, s11, s2
	s_cselect_b32 s15, s20, s15
	s_add_i32 s11, s2, 1
	s_cmp_ge_u32 s15, s14
	s_cselect_b32 s2, s11, s2
	v_pk_mov_b32 v[10:11], s[2:3], s[2:3] op_sel:[0,1]
.LBB76_38:
	v_add_co_u32_e32 v10, vcc, v10, v15
	v_addc_co_u32_e32 v11, vcc, 0, v11, vcc
	s_branch .LBB76_41
.LBB76_39:
                                        ; implicit-def: $vgpr10_vgpr11
	s_cbranch_execz .LBB76_41
; %bb.40:
	v_mul_lo_u32 v10, v15, s8
	v_ashrrev_i32_e32 v11, 31, v10
	v_mov_b32_e32 v15, s7
	v_add_co_u32_e32 v10, vcc, s6, v10
	v_addc_co_u32_e32 v11, vcc, v11, v15, vcc
.LBB76_41:
	s_mov_b64 s[2:3], exec
.LBB76_42:
	s_or_b64 exec, exec, s[18:19]
	s_and_b64 vcc, exec, s[16:17]
	s_cbranch_vccz .LBB76_46
.LBB76_43:
	v_mov_b32_dpp v10, v12 quad_perm:[1,0,3,2] row_mask:0xf bank_mask:0xf
	v_cmp_gt_f32_e32 vcc, v12, v10
	v_cndmask_b32_e32 v10, v10, v12, vcc
	s_nop 1
	v_mov_b32_dpp v11, v10 quad_perm:[2,3,0,1] row_mask:0xf bank_mask:0xf
	v_cmp_gt_f32_e32 vcc, v10, v11
	v_cndmask_b32_e32 v10, v11, v10, vcc
	s_nop 1
	v_mov_b32_dpp v11, v10 row_half_mirror row_mask:0xf bank_mask:0xf
	v_cmp_gt_f32_e32 vcc, v10, v11
	v_cndmask_b32_e32 v10, v11, v10, vcc
	s_nop 1
	v_mov_b32_dpp v11, v10 row_mirror row_mask:0xf bank_mask:0xf
	v_cmp_gt_f32_e32 vcc, v10, v11
	v_cndmask_b32_e32 v10, v11, v10, vcc
	s_nop 1
	v_mov_b32_dpp v11, v10 row_bcast:15 row_mask:0xf bank_mask:0xf
	v_cmp_gt_f32_e32 vcc, v10, v11
	v_cndmask_b32_e32 v10, v11, v10, vcc
	s_nop 1
	v_mov_b32_dpp v11, v10 row_bcast:31 row_mask:0xf bank_mask:0xf
	s_and_saveexec_b64 s[2:3], s[0:1]
	s_cbranch_execz .LBB76_45
; %bb.44:
	v_lshrrev_b32_e32 v12, 4, v0
	v_cmp_gt_f32_e32 vcc, v10, v11
	v_and_b32_e32 v12, 60, v12
	v_cndmask_b32_e32 v10, v11, v10, vcc
	ds_write_b32 v12, v10
.LBB76_45:
	s_or_b64 exec, exec, s[2:3]
	s_waitcnt lgkmcnt(0)
	s_barrier
	ds_read_b32 v10, v14
	v_cmp_eq_u32_e64 s[2:3], 0, v0
	s_waitcnt lgkmcnt(0)
	v_mov_b32_dpp v11, v10 quad_perm:[1,0,3,2] row_mask:0xf bank_mask:0xf
	v_cmp_gt_f32_e32 vcc, v10, v11
	v_cndmask_b32_e32 v10, v11, v10, vcc
	s_nop 1
	v_mov_b32_dpp v11, v10 quad_perm:[2,3,0,1] row_mask:0xf bank_mask:0xf
	v_cmp_gt_f32_e32 vcc, v10, v11
	v_cndmask_b32_e32 v10, v11, v10, vcc
	v_mul_f32_e32 v13, 0x3b124925, v10
	v_pk_mov_b32 v[10:11], s[6:7], s[6:7] op_sel:[0,1]
.LBB76_46:
	s_and_saveexec_b64 s[0:1], s[2:3]
	s_cbranch_execz .LBB76_48
; %bb.47:
	v_lshlrev_b64 v[10:11], 2, v[10:11]
	v_mov_b32_e32 v0, s13
	v_add_co_u32_e32 v10, vcc, s12, v10
	v_addc_co_u32_e32 v11, vcc, v0, v11, vcc
	global_store_dword v[10:11], v13, off
.LBB76_48:
	s_or_b64 exec, exec, s[0:1]
	s_add_i32 s2, s9, 3
	s_load_dwordx2 s[0:1], s[4:5], 0x0
	s_ashr_i32 s3, s2, 31
	s_lshr_b32 s3, s3, 30
	;;#ASMSTART
	v_rcp_f32 v10, v13
	;;#ASMEND
	v_mov_b32_e32 v11, v10
	;;#ASMSTART
	v_pk_mul_f32 v[8:9], v[8:9], v[10:11]
	;;#ASMEND
	s_add_i32 s2, s2, s3
	s_ashr_i32 s3, s10, 31
	v_mov_b32_e32 v0, 0xc3e00000
	v_mov_b32_e32 v12, 0x43e00000
	;;#ASMSTART
	v_med3_f32 v8, v8, v0, v12
v_med3_f32 v9, v9, v0, v12
v_cvt_pk_fp8_f32 v13, v8, v9
	;;#ASMEND
	;;#ASMSTART
	v_pk_mul_f32 v[6:7], v[6:7], v[10:11]
	;;#ASMEND
	s_mul_hi_u32 s4, s10, s6
	s_mul_i32 s3, s3, s6
	;;#ASMSTART
	v_med3_f32 v6, v6, v0, v12
v_med3_f32 v7, v7, v0, v12
v_cvt_pk_fp8_f32 v8, v6, v7
	;;#ASMEND
	s_mov_b32 s5, 0x5040100
	s_and_b32 s2, s2, -4
	s_add_i32 s4, s4, s3
	s_mul_i32 s3, s10, s6
	v_perm_b32 v7, v8, v13, s5
	s_movk_i32 s5, 0xff
	s_waitcnt lgkmcnt(0)
	s_add_u32 s0, s0, s3
	v_and_b32_e32 v6, 0xffffff00, v8
	v_and_b32_sdwa v8, v7, s5 dst_sel:DWORD dst_unused:UNUSED_PAD src0_sel:WORD_1 src1_sel:DWORD
	s_addc_u32 s1, s1, s4
	s_mov_b32 s4, 0xffff
	v_or_b32_sdwa v6, v8, v6 dst_sel:WORD_1 dst_unused:UNUSED_PAD src0_sel:DWORD src1_sel:DWORD
	;;#ASMSTART
	v_pk_mul_f32 v[4:5], v[4:5], v[10:11]
	;;#ASMEND
	v_and_or_b32 v6, v7, s4, v6
	;;#ASMSTART
	v_med3_f32 v4, v4, v0, v12
v_med3_f32 v5, v5, v0, v12
v_cvt_pk_fp8_f32 v7, v4, v5
	;;#ASMEND
	;;#ASMSTART
	v_pk_mul_f32 v[2:3], v[2:3], v[10:11]
	;;#ASMEND
	;;#ASMSTART
	v_med3_f32 v2, v2, v0, v12
v_med3_f32 v3, v3, v0, v12
v_cvt_pk_fp8_f32 v0, v2, v3
	;;#ASMEND
	v_lshlrev_b32_e32 v0, 16, v0
	s_and_b32 s1, s1, 0xffff
	s_mov_b32 s3, 0x20000
	v_and_or_b32 v7, v7, s4, v0
	buffer_store_dwordx2 v[6:7], v1, s[0:3], 0 offen
	;;#ASMSTART
	s_nop 0
	;;#ASMEND
.LBB76_49:
	s_endpgm
.LBB76_50:
                                        ; implicit-def: $vgpr10_vgpr11
	s_branch .LBB76_37
	.section	.rodata,"a",@progbits
	.p2align	6, 0x0
	.amdhsa_kernel _ZN5aiter24add_rmsnorm_quant_kernelItDB8_Li256ELi8ELb0ELb1ELb0ELi1EEEvPT0_PT_PfS5_S5_S5_diiiiiiib
		.amdhsa_group_segment_fixed_size 32
		.amdhsa_private_segment_fixed_size 0
		.amdhsa_kernarg_size 88
		.amdhsa_user_sgpr_count 6
		.amdhsa_user_sgpr_private_segment_buffer 1
		.amdhsa_user_sgpr_dispatch_ptr 0
		.amdhsa_user_sgpr_queue_ptr 0
		.amdhsa_user_sgpr_kernarg_segment_ptr 1
		.amdhsa_user_sgpr_dispatch_id 0
		.amdhsa_user_sgpr_flat_scratch_init 0
		.amdhsa_user_sgpr_kernarg_preload_length 0
		.amdhsa_user_sgpr_kernarg_preload_offset 0
		.amdhsa_user_sgpr_private_segment_size 0
		.amdhsa_uses_dynamic_stack 0
		.amdhsa_system_sgpr_private_segment_wavefront_offset 0
		.amdhsa_system_sgpr_workgroup_id_x 1
		.amdhsa_system_sgpr_workgroup_id_y 0
		.amdhsa_system_sgpr_workgroup_id_z 0
		.amdhsa_system_sgpr_workgroup_info 0
		.amdhsa_system_vgpr_workitem_id 0
		.amdhsa_next_free_vgpr 24
		.amdhsa_next_free_sgpr 34
		.amdhsa_accum_offset 24
		.amdhsa_reserve_vcc 1
		.amdhsa_reserve_flat_scratch 0
		.amdhsa_float_round_mode_32 0
		.amdhsa_float_round_mode_16_64 0
		.amdhsa_float_denorm_mode_32 3
		.amdhsa_float_denorm_mode_16_64 3
		.amdhsa_dx10_clamp 1
		.amdhsa_ieee_mode 1
		.amdhsa_fp16_overflow 0
		.amdhsa_tg_split 0
		.amdhsa_exception_fp_ieee_invalid_op 0
		.amdhsa_exception_fp_denorm_src 0
		.amdhsa_exception_fp_ieee_div_zero 0
		.amdhsa_exception_fp_ieee_overflow 0
		.amdhsa_exception_fp_ieee_underflow 0
		.amdhsa_exception_fp_ieee_inexact 0
		.amdhsa_exception_int_div_zero 0
	.end_amdhsa_kernel
	.section	.text._ZN5aiter24add_rmsnorm_quant_kernelItDB8_Li256ELi8ELb0ELb1ELb0ELi1EEEvPT0_PT_PfS5_S5_S5_diiiiiiib,"axG",@progbits,_ZN5aiter24add_rmsnorm_quant_kernelItDB8_Li256ELi8ELb0ELb1ELb0ELi1EEEvPT0_PT_PfS5_S5_S5_diiiiiiib,comdat
.Lfunc_end76:
	.size	_ZN5aiter24add_rmsnorm_quant_kernelItDB8_Li256ELi8ELb0ELb1ELb0ELi1EEEvPT0_PT_PfS5_S5_S5_diiiiiiib, .Lfunc_end76-_ZN5aiter24add_rmsnorm_quant_kernelItDB8_Li256ELi8ELb0ELb1ELb0ELi1EEEvPT0_PT_PfS5_S5_S5_diiiiiiib
                                        ; -- End function
	.section	.AMDGPU.csdata,"",@progbits
; Kernel info:
; codeLenInByte = 3184
; NumSgprs: 38
; NumVgprs: 24
; NumAgprs: 0
; TotalNumVgprs: 24
; ScratchSize: 0
; MemoryBound: 0
; FloatMode: 240
; IeeeMode: 1
; LDSByteSize: 32 bytes/workgroup (compile time only)
; SGPRBlocks: 4
; VGPRBlocks: 2
; NumSGPRsForWavesPerEU: 38
; NumVGPRsForWavesPerEU: 24
; AccumOffset: 24
; Occupancy: 8
; WaveLimiterHint : 0
; COMPUTE_PGM_RSRC2:SCRATCH_EN: 0
; COMPUTE_PGM_RSRC2:USER_SGPR: 6
; COMPUTE_PGM_RSRC2:TRAP_HANDLER: 0
; COMPUTE_PGM_RSRC2:TGID_X_EN: 1
; COMPUTE_PGM_RSRC2:TGID_Y_EN: 0
; COMPUTE_PGM_RSRC2:TGID_Z_EN: 0
; COMPUTE_PGM_RSRC2:TIDIG_COMP_CNT: 0
; COMPUTE_PGM_RSRC3_GFX90A:ACCUM_OFFSET: 5
; COMPUTE_PGM_RSRC3_GFX90A:TG_SPLIT: 0
	.section	.text._ZN5aiter24add_rmsnorm_quant_kernelIDF16_DB8_Li256ELi16ELb0ELb1ELb1ELi1EEEvPT0_PT_PfS5_S5_S5_diiiiiiib,"axG",@progbits,_ZN5aiter24add_rmsnorm_quant_kernelIDF16_DB8_Li256ELi16ELb0ELb1ELb1ELi1EEEvPT0_PT_PfS5_S5_S5_diiiiiiib,comdat
	.protected	_ZN5aiter24add_rmsnorm_quant_kernelIDF16_DB8_Li256ELi16ELb0ELb1ELb1ELi1EEEvPT0_PT_PfS5_S5_S5_diiiiiiib ; -- Begin function _ZN5aiter24add_rmsnorm_quant_kernelIDF16_DB8_Li256ELi16ELb0ELb1ELb1ELi1EEEvPT0_PT_PfS5_S5_S5_diiiiiiib
	.globl	_ZN5aiter24add_rmsnorm_quant_kernelIDF16_DB8_Li256ELi16ELb0ELb1ELb1ELi1EEEvPT0_PT_PfS5_S5_S5_diiiiiiib
	.p2align	8
	.type	_ZN5aiter24add_rmsnorm_quant_kernelIDF16_DB8_Li256ELi16ELb0ELb1ELb1ELi1EEEvPT0_PT_PfS5_S5_S5_diiiiiiib,@function
_ZN5aiter24add_rmsnorm_quant_kernelIDF16_DB8_Li256ELi16ELb0ELb1ELb1ELi1EEEvPT0_PT_PfS5_S5_S5_diiiiiiib: ; @_ZN5aiter24add_rmsnorm_quant_kernelIDF16_DB8_Li256ELi16ELb0ELb1ELb1ELi1EEEvPT0_PT_PfS5_S5_S5_diiiiiiib
; %bb.0:
	s_load_dwordx4 s[8:11], s[4:5], 0x38
	s_mov_b32 s7, 0
	s_waitcnt lgkmcnt(0)
	s_ashr_i32 s0, s8, 31
	v_mov_b32_e32 v2, s8
	v_mov_b32_e32 v3, s0
	v_cmp_ge_i64_e32 vcc, s[6:7], v[2:3]
	s_cbranch_vccnz .LBB77_49
; %bb.1:
	s_load_dwordx4 s[12:15], s[4:5], 0x10
	s_load_dwordx4 s[0:3], s[4:5], 0x28
	s_ashr_i32 s11, s10, 31
	s_mul_hi_u32 s16, s10, s6
	s_mul_i32 s11, s11, s6
	s_add_i32 s11, s16, s11
	s_mul_i32 s10, s10, s6
	s_lshl_b64 s[10:11], s[10:11], 1
	s_waitcnt lgkmcnt(0)
	s_add_u32 s16, s14, s10
	s_addc_u32 s10, s15, s11
	s_add_i32 s11, s9, 1
	s_lshr_b32 s14, s11, 31
	v_lshlrev_b32_e32 v27, 4, v0
	s_add_i32 s11, s11, s14
	s_and_b32 s17, s10, 0xffff
	v_lshlrev_b32_e32 v1, 3, v0
	v_and_b32_e32 v2, 0x3c00, v27
	s_movk_i32 s10, 0x1f8
	s_lshl_b32 s11, s11, 1
	v_and_or_b32 v1, v1, s10, v2
	s_and_b32 s18, s11, -4
	s_mov_b32 s19, 0x20000
	v_lshlrev_b32_e32 v14, 1, v1
	buffer_load_dwordx4 v[10:13], v14, s[16:19], 0 offen glc slc
	s_movk_i32 s10, 0x400
	buffer_load_dwordx4 v[28:31], v14, s[16:19], s10 offen glc slc
	s_mov_b32 s16, s0
	s_and_b32 s17, s1, 0xffff
	buffer_load_dwordx4 v[6:9], v14, s[16:19], 0 offen
	buffer_load_dwordx4 v[2:5], v14, s[16:19], s10 offen
	v_and_b32_e32 v44, 63, v0
	v_cmp_eq_u32_e64 s[0:1], 63, v44
	s_waitcnt vmcnt(3)
	v_cvt_f32_f16_e32 v24, v10
	v_cvt_f32_f16_sdwa v25, v10 dst_sel:DWORD dst_unused:UNUSED_PAD src0_sel:WORD_1
	v_cvt_f32_f16_e32 v22, v11
	v_cvt_f32_f16_sdwa v23, v11 dst_sel:DWORD dst_unused:UNUSED_PAD src0_sel:WORD_1
	;; [unrolled: 2-line block ×3, first 2 shown]
	s_waitcnt vmcnt(2)
	v_cvt_f32_f16_e32 v16, v28
	v_cvt_f32_f16_sdwa v17, v28 dst_sel:DWORD dst_unused:UNUSED_PAD src0_sel:WORD_1
	v_cvt_f32_f16_e32 v14, v29
	v_cvt_f32_f16_sdwa v15, v29 dst_sel:DWORD dst_unused:UNUSED_PAD src0_sel:WORD_1
	v_pk_mul_f32 v[28:29], v[24:25], v[24:25]
	v_cvt_f32_f16_e32 v18, v13
	v_cvt_f32_f16_sdwa v19, v13 dst_sel:DWORD dst_unused:UNUSED_PAD src0_sel:WORD_1
	v_cvt_f32_f16_e32 v12, v30
	v_cvt_f32_f16_sdwa v13, v30 dst_sel:DWORD dst_unused:UNUSED_PAD src0_sel:WORD_1
	;; [unrolled: 2-line block ×3, first 2 shown]
	v_pk_mul_f32 v[30:31], v[22:23], v[22:23]
	v_add_f32_e32 v26, v28, v29
	v_add_f32_e32 v26, v30, v26
	v_pk_mul_f32 v[32:33], v[20:21], v[20:21]
	v_add_f32_e32 v26, v31, v26
	v_add_f32_e32 v26, v32, v26
	v_pk_mul_f32 v[34:35], v[18:19], v[18:19]
	v_add_f32_e32 v26, v33, v26
	v_add_f32_e32 v26, v34, v26
	v_pk_mul_f32 v[36:37], v[16:17], v[16:17]
	v_add_f32_e32 v26, v35, v26
	v_add_f32_e32 v26, v36, v26
	v_pk_mul_f32 v[38:39], v[14:15], v[14:15]
	v_add_f32_e32 v26, v37, v26
	v_add_f32_e32 v26, v38, v26
	v_pk_mul_f32 v[40:41], v[12:13], v[12:13]
	v_add_f32_e32 v26, v39, v26
	v_add_f32_e32 v26, v40, v26
	v_pk_mul_f32 v[42:43], v[10:11], v[10:11]
	v_add_f32_e32 v26, v41, v26
	v_add_f32_e32 v26, v42, v26
	v_add_f32_e32 v26, v43, v26
	s_nop 1
	v_mov_b32_dpp v28, v26 quad_perm:[1,0,3,2] row_mask:0xf bank_mask:0xf
	v_add_f32_e32 v26, v26, v28
	s_nop 1
	v_mov_b32_dpp v28, v26 quad_perm:[2,3,0,1] row_mask:0xf bank_mask:0xf
	v_add_f32_e32 v26, v26, v28
	s_nop 1
	v_mov_b32_dpp v28, v26 row_half_mirror row_mask:0xf bank_mask:0xf
	v_add_f32_e32 v26, v26, v28
	s_nop 1
	v_mov_b32_dpp v28, v26 row_mirror row_mask:0xf bank_mask:0xf
	v_add_f32_e32 v26, v26, v28
	s_nop 1
	v_mov_b32_dpp v28, v26 row_bcast:15 row_mask:0xf bank_mask:0xf
	v_add_f32_e32 v26, v26, v28
	s_nop 1
	v_mov_b32_dpp v28, v26 row_bcast:31 row_mask:0xf bank_mask:0xf
	s_and_saveexec_b64 s[10:11], s[0:1]
	s_cbranch_execz .LBB77_3
; %bb.2:
	v_lshrrev_b32_e32 v29, 4, v0
	v_and_b32_e32 v29, 60, v29
	v_add_f32_e32 v26, v26, v28
	ds_write_b32 v29, v26 offset:16
.LBB77_3:
	s_or_b64 exec, exec, s[10:11]
	v_and_b32_e32 v26, 3, v0
	v_lshlrev_b32_e32 v26, 2, v26
	s_waitcnt lgkmcnt(0)
	s_barrier
	ds_read_b32 v28, v26 offset:16
	v_cvt_f32_i32_e32 v29, s9
	s_waitcnt vmcnt(1)
	v_cvt_f32_f16_sdwa v37, v9 dst_sel:DWORD dst_unused:UNUSED_PAD src0_sel:WORD_1
	v_cvt_f32_f16_e32 v36, v9
	s_waitcnt lgkmcnt(0)
	v_mov_b32_dpp v30, v28 quad_perm:[1,0,3,2] row_mask:0xf bank_mask:0xf
	v_add_f32_e32 v28, v28, v30
	s_nop 1
	v_mov_b32_dpp v30, v28 quad_perm:[2,3,0,1] row_mask:0xf bank_mask:0xf
	v_add_f32_e32 v28, v28, v30
	v_div_scale_f32 v30, s[10:11], v29, v29, v28
	v_rcp_f32_e32 v31, v30
	v_div_scale_f32 v32, vcc, v28, v29, v28
	s_load_dwordx2 s[10:11], s[4:5], 0x4c
	s_load_dword s14, s[4:5], 0x54
	v_fma_f32 v33, -v30, v31, 1.0
	v_fmac_f32_e32 v31, v33, v31
	v_mul_f32_e32 v33, v32, v31
	v_fma_f32 v34, -v30, v33, v32
	v_fmac_f32_e32 v33, v34, v31
	v_fma_f32 v30, -v30, v33, v32
	v_div_fmas_f32 v30, v30, v31, v33
	v_div_fixup_f32 v28, v30, v29, v28
	v_cvt_f64_f32_e32 v[28:29], v28
	v_add_f64 v[28:29], v[28:29], s[2:3]
	v_cvt_f32_f64_e32 v28, v[28:29]
	s_mov_b32 s2, 0x800000
	v_mul_f32_e32 v29, 0x4b800000, v28
	v_cmp_gt_f32_e32 vcc, s2, v28
	v_cndmask_b32_e32 v28, v28, v29, vcc
	v_rsq_f32_e32 v28, v28
	s_waitcnt lgkmcnt(0)
	s_cmp_lg_u32 s11, 0
	v_mul_f32_e32 v29, 0x45800000, v28
	v_cndmask_b32_e32 v28, v28, v29, vcc
	v_mov_b32_e32 v29, v28
	;;#ASMSTART
	v_pk_mul_f32 v[24:25], v[24:25], v[28:29]
	;;#ASMEND
	;;#ASMSTART
	v_pk_mul_f32 v[22:23], v[22:23], v[28:29]
	;;#ASMEND
	;;#ASMSTART
	v_pk_mul_f32 v[20:21], v[20:21], v[28:29]
	;;#ASMEND
	;;#ASMSTART
	v_pk_mul_f32 v[18:19], v[18:19], v[28:29]
	;;#ASMEND
	;;#ASMSTART
	v_pk_mul_f32 v[30:31], v[16:17], v[28:29]
	;;#ASMEND
	;;#ASMSTART
	v_pk_mul_f32 v[32:33], v[14:15], v[28:29]
	;;#ASMEND
	;;#ASMSTART
	v_pk_mul_f32 v[34:35], v[12:13], v[28:29]
	;;#ASMEND
	;;#ASMSTART
	v_pk_mul_f32 v[28:29], v[10:11], v[28:29]
	;;#ASMEND
	v_cvt_f32_f16_sdwa v11, v6 dst_sel:DWORD dst_unused:UNUSED_PAD src0_sel:WORD_1
	v_cvt_f32_f16_e32 v10, v6
	v_cvt_f32_f16_sdwa v13, v7 dst_sel:DWORD dst_unused:UNUSED_PAD src0_sel:WORD_1
	v_cvt_f32_f16_e32 v12, v7
	v_cvt_f32_f16_sdwa v7, v8 dst_sel:DWORD dst_unused:UNUSED_PAD src0_sel:WORD_1
	v_cvt_f32_f16_e32 v6, v8
	;;#ASMSTART
	v_pk_mul_f32 v[16:17], v[24:25], v[10:11]
	;;#ASMEND
	;;#ASMSTART
	v_pk_mul_f32 v[14:15], v[22:23], v[12:13]
	;;#ASMEND
	;;#ASMSTART
	v_pk_mul_f32 v[12:13], v[20:21], v[6:7]
	;;#ASMEND
	;;#ASMSTART
	v_pk_mul_f32 v[8:9], v[18:19], v[36:37]
	;;#ASMEND
	s_waitcnt vmcnt(0)
	v_cvt_f32_f16_sdwa v7, v2 dst_sel:DWORD dst_unused:UNUSED_PAD src0_sel:WORD_1
	v_cvt_f32_f16_e32 v6, v2
	v_cvt_f32_f16_sdwa v19, v3 dst_sel:DWORD dst_unused:UNUSED_PAD src0_sel:WORD_1
	v_cvt_f32_f16_e32 v18, v3
	;; [unrolled: 2-line block ×3, first 2 shown]
	v_cvt_f32_f16_e32 v20, v5
	v_cvt_f32_f16_sdwa v21, v5 dst_sel:DWORD dst_unused:UNUSED_PAD src0_sel:WORD_1
	;;#ASMSTART
	v_pk_mul_f32 v[10:11], v[30:31], v[6:7]
	;;#ASMEND
	;;#ASMSTART
	v_pk_mul_f32 v[6:7], v[32:33], v[18:19]
	;;#ASMEND
	;; [unrolled: 3-line block ×4, first 2 shown]
	v_and_b32_e32 v18, 0x7fffffff, v16
	v_mov_b32_e32 v20, 0x2edbe6ff
	v_and_b32_e32 v19, 0x7fffffff, v17
	;;#ASMSTART
	v_max3_f32 v18, v20, v18, v19

	;;#ASMEND
	v_and_b32_e32 v20, 0x7fffffff, v15
	v_and_b32_e32 v19, 0x7fffffff, v14
	;;#ASMSTART
	v_max3_f32 v18, v18, v19, v20

	;;#ASMEND
	v_and_b32_e32 v20, 0x7fffffff, v13
	;; [unrolled: 6-line block ×7, first 2 shown]
	v_and_b32_e32 v19, 0x7fffffff, v2
	;;#ASMSTART
	v_max3_f32 v20, v18, v19, v20

	;;#ASMEND
	s_cbranch_scc0 .LBB77_10
; %bb.4:
	s_ashr_i32 s15, s11, 31
	s_lshr_b32 s2, s15, 28
	s_add_i32 s2, s11, s2
	s_ashr_i32 s18, s2, 4
	s_cmp_lt_i32 s18, 16
	s_cbranch_scc1 .LBB77_11
; %bb.5:
	s_cmp_lt_i32 s18, 32
	s_cbranch_scc1 .LBB77_12
; %bb.6:
	;; [unrolled: 3-line block ×3, first 2 shown]
	s_cmp_eq_u32 s18, 64
	v_mov_b32_e32 v18, v20
	s_cbranch_scc0 .LBB77_9
; %bb.8:
	s_nop 0
	v_mov_b32_dpp v18, v20 quad_perm:[1,0,3,2] row_mask:0xf bank_mask:0xf
	v_cmp_gt_f32_e32 vcc, v20, v18
	v_cndmask_b32_e32 v18, v18, v20, vcc
	v_bfrev_b32_e32 v21, 0.5
	s_nop 0
	v_mov_b32_dpp v19, v18 quad_perm:[2,3,0,1] row_mask:0xf bank_mask:0xf
	v_cmp_gt_f32_e32 vcc, v18, v19
	v_cndmask_b32_e32 v18, v19, v18, vcc
	s_nop 1
	v_mov_b32_dpp v19, v18 row_ror:4 row_mask:0xf bank_mask:0xf
	v_cmp_gt_f32_e32 vcc, v18, v19
	v_cndmask_b32_e32 v18, v19, v18, vcc
	s_nop 1
	v_mov_b32_dpp v19, v18 row_ror:8 row_mask:0xf bank_mask:0xf
	v_cmp_gt_f32_e32 vcc, v18, v19
	v_cndmask_b32_e32 v18, v19, v18, vcc
	s_nop 1
	v_mov_b32_dpp v19, v18 row_bcast:15 row_mask:0xf bank_mask:0xf
	v_cmp_gt_f32_e32 vcc, v18, v19
	v_cndmask_b32_e32 v18, v19, v18, vcc
	s_nop 1
	v_mov_b32_dpp v19, v18 row_bcast:31 row_mask:0xf bank_mask:0xf
	v_cmp_gt_f32_e32 vcc, v18, v19
	v_cndmask_b32_e32 v18, v19, v18, vcc
	v_mbcnt_lo_u32_b32 v19, -1, 0
	v_mbcnt_hi_u32_b32 v19, -1, v19
	v_lshl_or_b32 v19, v19, 2, v21
	ds_bpermute_b32 v18, v19, v18
.LBB77_9:
	s_mov_b64 s[2:3], 0
	s_branch .LBB77_14
.LBB77_10:
	s_mov_b64 s[2:3], 0
                                        ; implicit-def: $vgpr21
                                        ; implicit-def: $vgpr18_vgpr19
	s_cbranch_execnz .LBB77_43
	s_branch .LBB77_46
.LBB77_11:
                                        ; implicit-def: $vgpr18
	s_branch .LBB77_21
.LBB77_12:
                                        ; implicit-def: $vgpr18
	s_branch .LBB77_18
.LBB77_13:
	s_mov_b64 s[2:3], -1
                                        ; implicit-def: $vgpr18
.LBB77_14:
	s_andn2_b64 vcc, exec, s[2:3]
	s_cbranch_vccnz .LBB77_17
; %bb.15:
	s_cmp_eq_u32 s18, 32
	s_waitcnt lgkmcnt(0)
	v_mov_b32_e32 v18, v20
	s_cbranch_scc0 .LBB77_17
; %bb.16:
	s_nop 0
	v_mov_b32_dpp v18, v20 quad_perm:[1,0,3,2] row_mask:0xf bank_mask:0xf
	v_cmp_gt_f32_e32 vcc, v20, v18
	v_cndmask_b32_e32 v18, v18, v20, vcc
	v_mov_b32_e32 v21, 0x7c
	s_nop 0
	v_mov_b32_dpp v19, v18 quad_perm:[2,3,0,1] row_mask:0xf bank_mask:0xf
	v_cmp_gt_f32_e32 vcc, v18, v19
	v_cndmask_b32_e32 v18, v19, v18, vcc
	s_nop 1
	v_mov_b32_dpp v19, v18 row_half_mirror row_mask:0xf bank_mask:0xf
	v_cmp_gt_f32_e32 vcc, v18, v19
	v_cndmask_b32_e32 v18, v19, v18, vcc
	s_nop 1
	v_mov_b32_dpp v19, v18 row_mirror row_mask:0xf bank_mask:0xf
	v_cmp_gt_f32_e32 vcc, v18, v19
	v_cndmask_b32_e32 v18, v19, v18, vcc
	s_nop 1
	v_mov_b32_dpp v19, v18 row_bcast:15 row_mask:0xa bank_mask:0xf
	v_cmp_gt_f32_e32 vcc, v18, v19
	v_cndmask_b32_e32 v18, v19, v18, vcc
	v_mbcnt_lo_u32_b32 v19, -1, 0
	v_mbcnt_hi_u32_b32 v19, -1, v19
	v_lshl_or_b32 v19, v19, 2, v21
	ds_bpermute_b32 v18, v19, v18
.LBB77_17:
	s_cbranch_execnz .LBB77_20
.LBB77_18:
	s_cmp_eq_u32 s18, 16
	s_waitcnt lgkmcnt(0)
	v_mov_b32_e32 v18, v20
	s_cbranch_scc0 .LBB77_20
; %bb.19:
	s_nop 0
	v_mov_b32_dpp v18, v20 quad_perm:[1,0,3,2] row_mask:0xf bank_mask:0xf
	v_cmp_gt_f32_e32 vcc, v20, v18
	v_cndmask_b32_e32 v18, v18, v20, vcc
	s_nop 1
	v_mov_b32_dpp v19, v18 quad_perm:[2,3,0,1] row_mask:0xf bank_mask:0xf
	v_cmp_gt_f32_e32 vcc, v18, v19
	v_cndmask_b32_e32 v18, v19, v18, vcc
	s_nop 1
	v_mov_b32_dpp v19, v18 row_half_mirror row_mask:0xf bank_mask:0xf
	v_cmp_gt_f32_e32 vcc, v18, v19
	v_cndmask_b32_e32 v18, v19, v18, vcc
	s_nop 1
	v_mov_b32_dpp v19, v18 row_mirror row_mask:0xf bank_mask:0xf
	v_cmp_gt_f32_e32 vcc, v18, v19
	v_cndmask_b32_e32 v18, v19, v18, vcc
.LBB77_20:
	s_cbranch_execnz .LBB77_33
.LBB77_21:
	s_cmp_lt_i32 s18, 4
	s_cbranch_scc1 .LBB77_25
; %bb.22:
	s_cmp_lt_i32 s18, 8
	s_cbranch_scc1 .LBB77_26
; %bb.23:
	s_cmp_eq_u32 s18, 8
	s_waitcnt lgkmcnt(0)
	v_mov_b32_e32 v18, v20
	s_cbranch_scc0 .LBB77_27
; %bb.24:
	s_nop 0
	v_mov_b32_dpp v18, v20 quad_perm:[1,0,3,2] row_mask:0xf bank_mask:0xf
	v_cmp_gt_f32_e32 vcc, v20, v18
	v_cndmask_b32_e32 v18, v18, v20, vcc
	s_nop 1
	v_mov_b32_dpp v19, v18 quad_perm:[2,3,0,1] row_mask:0xf bank_mask:0xf
	v_cmp_gt_f32_e32 vcc, v18, v19
	v_cndmask_b32_e32 v18, v19, v18, vcc
	s_nop 1
	v_mov_b32_dpp v19, v18 row_half_mirror row_mask:0xf bank_mask:0xf
	v_cmp_gt_f32_e32 vcc, v18, v19
	v_cndmask_b32_e32 v18, v19, v18, vcc
	s_cbranch_execz .LBB77_28
	s_branch .LBB77_30
.LBB77_25:
                                        ; implicit-def: $vgpr18
	s_branch .LBB77_31
.LBB77_26:
                                        ; implicit-def: $vgpr18
	s_branch .LBB77_28
.LBB77_27:
	s_cbranch_execnz .LBB77_30
.LBB77_28:
	s_cmp_eq_u32 s18, 4
	s_waitcnt lgkmcnt(0)
	v_mov_b32_e32 v18, v20
	s_cbranch_scc0 .LBB77_30
; %bb.29:
	s_nop 0
	v_mov_b32_dpp v18, v20 quad_perm:[1,0,3,2] row_mask:0xf bank_mask:0xf
	v_cmp_gt_f32_e32 vcc, v20, v18
	v_cndmask_b32_e32 v18, v18, v20, vcc
	s_nop 1
	v_mov_b32_dpp v19, v18 quad_perm:[2,3,0,1] row_mask:0xf bank_mask:0xf
	v_cmp_gt_f32_e32 vcc, v18, v19
	v_cndmask_b32_e32 v18, v19, v18, vcc
.LBB77_30:
	s_cbranch_execnz .LBB77_33
.LBB77_31:
	s_cmp_lg_u32 s18, 2
	s_waitcnt lgkmcnt(0)
	v_mov_b32_e32 v18, v20
	s_cbranch_scc1 .LBB77_33
; %bb.32:
	s_nop 0
	v_mov_b32_dpp v18, v20 quad_perm:[1,0,3,2] row_mask:0xf bank_mask:0xf
	v_cmp_gt_f32_e32 vcc, v20, v18
	v_cndmask_b32_e32 v18, v18, v20, vcc
.LBB77_33:
	v_cvt_f32_u32_e32 v19, s18
	s_waitcnt lgkmcnt(0)
	v_mul_f32_e32 v21, 0x3b124925, v18
	s_sub_i32 s2, 0, s18
	v_cmp_gt_u32_e32 vcc, s9, v27
	v_rcp_iflag_f32_e32 v19, v19
	s_mov_b64 s[16:17], 0
	v_mul_f32_e32 v18, 0x4f7ffffe, v19
	v_cvt_u32_f32_e32 v18, v18
	v_mul_lo_u32 v19, s2, v18
	v_mul_hi_u32 v19, v18, v19
	v_add_u32_e32 v18, v18, v19
	v_mul_hi_u32 v18, v0, v18
	v_mul_lo_u32 v19, v18, s18
	v_sub_u32_e32 v19, v0, v19
	v_add_u32_e32 v22, 1, v18
	v_cmp_le_u32_e64 s[2:3], s18, v19
	v_cndmask_b32_e64 v18, v18, v22, s[2:3]
	v_subrev_u32_e32 v22, s18, v19
	v_cndmask_b32_e64 v19, v19, v22, s[2:3]
	v_add_u32_e32 v22, 1, v18
	v_cmp_le_u32_e64 s[2:3], s18, v19
	v_cndmask_b32_e64 v22, v18, v22, s[2:3]
	v_mul_lo_u32 v18, v22, s18
	v_sub_u32_e32 v18, v0, v18
	v_cmp_eq_u32_e64 s[2:3], 0, v18
	s_and_b64 s[18:19], s[2:3], vcc
	s_mov_b64 s[2:3], 0
                                        ; implicit-def: $vgpr18_vgpr19
	s_and_saveexec_b64 s[20:21], s[18:19]
	s_xor_b64 s[18:19], exec, s[20:21]
	s_cbranch_execz .LBB77_42
; %bb.34:
	s_bitcmp0_b32 s14, 0
	s_cbranch_scc0 .LBB77_39
; %bb.35:
	s_ashr_i32 s2, s9, 31
	s_mul_hi_u32 s3, s9, s6
	s_mul_i32 s2, s2, s6
	s_add_i32 s21, s3, s2
	s_mul_i32 s20, s9, s6
	s_mov_b32 s14, s11
	s_or_b64 s[2:3], s[20:21], s[14:15]
	s_mov_b32 s2, 0
	s_cmp_lg_u64 s[2:3], 0
	s_cbranch_scc0 .LBB77_50
; %bb.36:
	s_add_u32 s2, s14, s15
	s_mov_b32 s24, s15
	s_mov_b32 s25, s15
	s_addc_u32 s3, s15, s15
	s_xor_b64 s[26:27], s[2:3], s[24:25]
	v_cvt_f32_u32_e32 v18, s26
	v_cvt_f32_u32_e32 v19, s27
	s_sub_u32 s2, 0, s26
	s_subb_u32 s3, 0, s27
	v_madmk_f32 v18, v19, 0x4f800000, v18
	v_rcp_f32_e32 v18, v18
	v_mul_f32_e32 v18, 0x5f7ffffc, v18
	v_mul_f32_e32 v19, 0x2f800000, v18
	v_trunc_f32_e32 v19, v19
	v_madmk_f32 v18, v19, 0xcf800000, v18
	v_cvt_u32_f32_e32 v19, v19
	v_cvt_u32_f32_e32 v18, v18
	v_readfirstlane_b32 s11, v19
	v_readfirstlane_b32 s15, v18
	s_mul_i32 s28, s2, s11
	s_mul_hi_u32 s30, s2, s15
	s_mul_i32 s29, s3, s15
	s_add_i32 s28, s30, s28
	s_add_i32 s28, s28, s29
	s_mul_i32 s31, s2, s15
	s_mul_hi_u32 s29, s15, s28
	s_mul_i32 s30, s15, s28
	s_mul_hi_u32 s15, s15, s31
	s_add_u32 s15, s15, s30
	s_addc_u32 s29, 0, s29
	s_mul_hi_u32 s33, s11, s31
	s_mul_i32 s31, s11, s31
	s_add_u32 s15, s15, s31
	s_mul_hi_u32 s30, s11, s28
	s_addc_u32 s15, s29, s33
	s_addc_u32 s29, s30, 0
	s_mul_i32 s28, s11, s28
	s_add_u32 s15, s15, s28
	s_addc_u32 s28, 0, s29
	v_add_co_u32_e32 v18, vcc, s15, v18
	s_cmp_lg_u64 vcc, 0
	s_addc_u32 s11, s11, s28
	v_readfirstlane_b32 s28, v18
	s_mul_i32 s15, s2, s11
	s_mul_hi_u32 s29, s2, s28
	s_add_i32 s15, s29, s15
	s_mul_i32 s3, s3, s28
	s_add_i32 s15, s15, s3
	s_mul_i32 s2, s2, s28
	s_mul_hi_u32 s29, s11, s2
	s_mul_i32 s30, s11, s2
	s_mul_i32 s33, s28, s15
	s_mul_hi_u32 s2, s28, s2
	s_mul_hi_u32 s31, s28, s15
	s_add_u32 s2, s2, s33
	s_addc_u32 s28, 0, s31
	s_add_u32 s2, s2, s30
	s_mul_hi_u32 s3, s11, s15
	s_addc_u32 s2, s28, s29
	s_addc_u32 s3, s3, 0
	s_mul_i32 s15, s11, s15
	s_add_u32 s2, s2, s15
	s_addc_u32 s3, 0, s3
	v_add_co_u32_e32 v18, vcc, s2, v18
	s_cmp_lg_u64 vcc, 0
	s_addc_u32 s11, s11, s3
	s_ashr_i32 s28, s21, 31
	s_add_u32 s2, s20, s28
	s_mov_b32 s29, s28
	s_addc_u32 s3, s21, s28
	s_xor_b64 s[30:31], s[2:3], s[28:29]
	v_readfirstlane_b32 s15, v18
	s_mul_i32 s3, s30, s11
	s_mul_hi_u32 s21, s30, s15
	s_mul_hi_u32 s2, s30, s11
	s_add_u32 s3, s21, s3
	s_addc_u32 s2, 0, s2
	s_mul_hi_u32 s33, s31, s15
	s_mul_i32 s15, s31, s15
	s_add_u32 s3, s3, s15
	s_mul_hi_u32 s21, s31, s11
	s_addc_u32 s2, s2, s33
	s_addc_u32 s3, s21, 0
	s_mul_i32 s11, s31, s11
	s_add_u32 s11, s2, s11
	s_addc_u32 s15, 0, s3
	s_mul_i32 s2, s26, s15
	s_mul_hi_u32 s3, s26, s11
	s_add_i32 s2, s3, s2
	s_mul_i32 s3, s27, s11
	s_add_i32 s21, s2, s3
	s_mul_i32 s3, s26, s11
	v_mov_b32_e32 v18, s3
	s_sub_i32 s2, s31, s21
	v_sub_co_u32_e32 v18, vcc, s30, v18
	s_cmp_lg_u64 vcc, 0
	s_subb_u32 s30, s2, s27
	v_subrev_co_u32_e64 v19, s[2:3], s26, v18
	s_cmp_lg_u64 s[2:3], 0
	s_subb_u32 s30, s30, 0
	s_cmp_ge_u32 s30, s27
	s_cselect_b32 s33, -1, 0
	v_cmp_le_u32_e64 s[2:3], s26, v19
	s_cmp_eq_u32 s30, s27
	v_cndmask_b32_e64 v19, 0, -1, s[2:3]
	v_mov_b32_e32 v23, s33
	s_cselect_b64 s[2:3], -1, 0
	v_cndmask_b32_e64 v19, v23, v19, s[2:3]
	s_add_u32 s2, s11, 1
	s_addc_u32 s30, s15, 0
	s_add_u32 s3, s11, 2
	s_addc_u32 s33, s15, 0
	v_mov_b32_e32 v23, s2
	v_mov_b32_e32 v24, s3
	v_cmp_ne_u32_e64 s[2:3], 0, v19
	v_cndmask_b32_e64 v19, v23, v24, s[2:3]
	v_mov_b32_e32 v23, s30
	v_mov_b32_e32 v24, s33
	s_cmp_lg_u64 vcc, 0
	v_cndmask_b32_e64 v23, v23, v24, s[2:3]
	s_subb_u32 s2, s31, s21
	s_cmp_ge_u32 s2, s27
	s_cselect_b32 s3, -1, 0
	v_cmp_le_u32_e32 vcc, s26, v18
	s_cmp_eq_u32 s2, s27
	v_cndmask_b32_e64 v18, 0, -1, vcc
	v_mov_b32_e32 v24, s3
	s_cselect_b64 vcc, -1, 0
	v_cndmask_b32_e32 v18, v24, v18, vcc
	v_mov_b32_e32 v24, s15
	v_cmp_ne_u32_e32 vcc, 0, v18
	v_cndmask_b32_e32 v18, v24, v23, vcc
	v_mov_b32_e32 v23, s11
	v_cndmask_b32_e32 v19, v23, v19, vcc
	s_xor_b64 s[2:3], s[28:29], s[24:25]
	v_xor_b32_e32 v19, s2, v19
	v_xor_b32_e32 v23, s3, v18
	v_mov_b32_e32 v24, s3
	v_subrev_co_u32_e32 v18, vcc, s2, v19
	v_subb_co_u32_e32 v19, vcc, v23, v24, vcc
	s_cbranch_execnz .LBB77_38
.LBB77_37:
	v_cvt_f32_u32_e32 v18, s14
	s_sub_i32 s2, 0, s14
	s_mov_b32 s3, 0
	v_rcp_iflag_f32_e32 v18, v18
	v_mul_f32_e32 v18, 0x4f7ffffe, v18
	v_cvt_u32_f32_e32 v18, v18
	v_readfirstlane_b32 s11, v18
	s_mul_i32 s2, s2, s11
	s_mul_hi_u32 s2, s11, s2
	s_add_i32 s11, s11, s2
	s_mul_hi_u32 s2, s20, s11
	s_mul_i32 s15, s2, s14
	s_sub_i32 s15, s20, s15
	s_add_i32 s11, s2, 1
	s_sub_i32 s20, s15, s14
	s_cmp_ge_u32 s15, s14
	s_cselect_b32 s2, s11, s2
	s_cselect_b32 s15, s20, s15
	s_add_i32 s11, s2, 1
	s_cmp_ge_u32 s15, s14
	s_cselect_b32 s2, s11, s2
	v_pk_mov_b32 v[18:19], s[2:3], s[2:3] op_sel:[0,1]
.LBB77_38:
	v_add_co_u32_e32 v18, vcc, v18, v22
	v_addc_co_u32_e32 v19, vcc, 0, v19, vcc
	s_branch .LBB77_41
.LBB77_39:
                                        ; implicit-def: $vgpr18_vgpr19
	s_cbranch_execz .LBB77_41
; %bb.40:
	v_mul_lo_u32 v18, v22, s8
	v_ashrrev_i32_e32 v19, 31, v18
	v_mov_b32_e32 v22, s7
	v_add_co_u32_e32 v18, vcc, s6, v18
	v_addc_co_u32_e32 v19, vcc, v19, v22, vcc
.LBB77_41:
	s_mov_b64 s[2:3], exec
.LBB77_42:
	s_or_b64 exec, exec, s[18:19]
	s_and_b64 vcc, exec, s[16:17]
	s_cbranch_vccz .LBB77_46
.LBB77_43:
	v_mov_b32_dpp v18, v20 quad_perm:[1,0,3,2] row_mask:0xf bank_mask:0xf
	v_cmp_gt_f32_e32 vcc, v20, v18
	v_cndmask_b32_e32 v18, v18, v20, vcc
	s_nop 1
	v_mov_b32_dpp v19, v18 quad_perm:[2,3,0,1] row_mask:0xf bank_mask:0xf
	v_cmp_gt_f32_e32 vcc, v18, v19
	v_cndmask_b32_e32 v18, v19, v18, vcc
	s_nop 1
	v_mov_b32_dpp v19, v18 row_half_mirror row_mask:0xf bank_mask:0xf
	v_cmp_gt_f32_e32 vcc, v18, v19
	v_cndmask_b32_e32 v18, v19, v18, vcc
	s_nop 1
	v_mov_b32_dpp v19, v18 row_mirror row_mask:0xf bank_mask:0xf
	v_cmp_gt_f32_e32 vcc, v18, v19
	v_cndmask_b32_e32 v18, v19, v18, vcc
	s_nop 1
	v_mov_b32_dpp v19, v18 row_bcast:15 row_mask:0xf bank_mask:0xf
	v_cmp_gt_f32_e32 vcc, v18, v19
	v_cndmask_b32_e32 v18, v19, v18, vcc
	s_nop 1
	v_mov_b32_dpp v19, v18 row_bcast:31 row_mask:0xf bank_mask:0xf
	s_and_saveexec_b64 s[2:3], s[0:1]
	s_cbranch_execz .LBB77_45
; %bb.44:
	v_lshrrev_b32_e32 v20, 4, v0
	v_cmp_gt_f32_e32 vcc, v18, v19
	v_and_b32_e32 v20, 60, v20
	v_cndmask_b32_e32 v18, v19, v18, vcc
	ds_write_b32 v20, v18
.LBB77_45:
	s_or_b64 exec, exec, s[2:3]
	s_waitcnt lgkmcnt(0)
	s_barrier
	ds_read_b32 v18, v26
	v_cmp_eq_u32_e64 s[2:3], 0, v0
	s_waitcnt lgkmcnt(0)
	v_mov_b32_dpp v19, v18 quad_perm:[1,0,3,2] row_mask:0xf bank_mask:0xf
	v_cmp_gt_f32_e32 vcc, v18, v19
	v_cndmask_b32_e32 v18, v19, v18, vcc
	s_nop 1
	v_mov_b32_dpp v19, v18 quad_perm:[2,3,0,1] row_mask:0xf bank_mask:0xf
	v_cmp_gt_f32_e32 vcc, v18, v19
	v_cndmask_b32_e32 v18, v19, v18, vcc
	v_mul_f32_e32 v21, 0x3b124925, v18
	v_pk_mov_b32 v[18:19], s[6:7], s[6:7] op_sel:[0,1]
.LBB77_46:
	s_and_saveexec_b64 s[0:1], s[2:3]
	s_cbranch_execz .LBB77_48
; %bb.47:
	v_lshlrev_b64 v[18:19], 2, v[18:19]
	v_mov_b32_e32 v0, s13
	v_add_co_u32_e32 v18, vcc, s12, v18
	v_addc_co_u32_e32 v19, vcc, v0, v19, vcc
	global_store_dword v[18:19], v21, off
.LBB77_48:
	s_or_b64 exec, exec, s[0:1]
	s_add_i32 s2, s9, 3
	s_load_dwordx2 s[0:1], s[4:5], 0x0
	s_ashr_i32 s3, s2, 31
	s_lshr_b32 s3, s3, 30
	;;#ASMSTART
	v_rcp_f32 v18, v21
	;;#ASMEND
	v_mov_b32_e32 v19, v18
	;;#ASMSTART
	v_pk_mul_f32 v[16:17], v[16:17], v[18:19]
	;;#ASMEND
	s_add_i32 s2, s2, s3
	s_ashr_i32 s3, s10, 31
	v_mov_b32_e32 v0, 0xc3e00000
	v_mov_b32_e32 v20, 0x43e00000
	;;#ASMSTART
	v_med3_f32 v16, v16, v0, v20
v_med3_f32 v17, v17, v0, v20
v_cvt_pk_fp8_f32 v21, v16, v17
	;;#ASMEND
	;;#ASMSTART
	v_pk_mul_f32 v[14:15], v[14:15], v[18:19]
	;;#ASMEND
	s_mul_hi_u32 s4, s10, s6
	s_mul_i32 s3, s3, s6
	;;#ASMSTART
	v_med3_f32 v14, v14, v0, v20
v_med3_f32 v15, v15, v0, v20
v_cvt_pk_fp8_f32 v16, v14, v15
	;;#ASMEND
	s_mov_b32 s5, 0x5040100
	s_and_b32 s2, s2, -4
	s_add_i32 s4, s4, s3
	s_mul_i32 s3, s10, s6
	v_perm_b32 v15, v16, v21, s5
	s_movk_i32 s6, 0xff
	s_waitcnt lgkmcnt(0)
	s_add_u32 s0, s0, s3
	v_and_b32_e32 v14, 0xffffff00, v16
	v_and_b32_sdwa v16, v15, s6 dst_sel:DWORD dst_unused:UNUSED_PAD src0_sel:WORD_1 src1_sel:DWORD
	s_addc_u32 s1, s1, s4
	s_mov_b32 s4, 0xffff
	v_or_b32_sdwa v14, v16, v14 dst_sel:WORD_1 dst_unused:UNUSED_PAD src0_sel:DWORD src1_sel:DWORD
	;;#ASMSTART
	v_pk_mul_f32 v[12:13], v[12:13], v[18:19]
	;;#ASMEND
	v_and_or_b32 v14, v15, s4, v14
	;;#ASMSTART
	v_med3_f32 v12, v12, v0, v20
v_med3_f32 v13, v13, v0, v20
v_cvt_pk_fp8_f32 v15, v12, v13
	;;#ASMEND
	;;#ASMSTART
	v_pk_mul_f32 v[8:9], v[8:9], v[18:19]
	;;#ASMEND
	;;#ASMSTART
	v_med3_f32 v8, v8, v0, v20
v_med3_f32 v9, v9, v0, v20
v_cvt_pk_fp8_f32 v12, v8, v9
	;;#ASMEND
	v_lshlrev_b32_e32 v8, 16, v12
	s_and_b32 s1, s1, 0xffff
	s_mov_b32 s3, 0x20000
	v_and_or_b32 v15, v15, s4, v8
	buffer_store_dwordx2 v[14:15], v1, s[0:3], 0 offen
	;;#ASMSTART
	s_nop 0
	;;#ASMEND
	;;#ASMSTART
	v_pk_mul_f32 v[8:9], v[10:11], v[18:19]
	;;#ASMEND
	;;#ASMSTART
	v_med3_f32 v8, v8, v0, v20
v_med3_f32 v9, v9, v0, v20
v_cvt_pk_fp8_f32 v10, v8, v9
	;;#ASMEND
	;;#ASMSTART
	v_pk_mul_f32 v[6:7], v[6:7], v[18:19]
	;;#ASMEND
	;;#ASMSTART
	v_med3_f32 v6, v6, v0, v20
v_med3_f32 v7, v7, v0, v20
v_cvt_pk_fp8_f32 v8, v6, v7
	;;#ASMEND
	v_perm_b32 v7, v8, v10, s5
	v_and_b32_e32 v6, 0xffffff00, v8
	v_and_b32_sdwa v8, v7, s6 dst_sel:DWORD dst_unused:UNUSED_PAD src0_sel:WORD_1 src1_sel:DWORD
	v_or_b32_sdwa v6, v8, v6 dst_sel:WORD_1 dst_unused:UNUSED_PAD src0_sel:DWORD src1_sel:DWORD
	;;#ASMSTART
	v_pk_mul_f32 v[4:5], v[4:5], v[18:19]
	;;#ASMEND
	v_and_or_b32 v6, v7, s4, v6
	;;#ASMSTART
	v_med3_f32 v4, v4, v0, v20
v_med3_f32 v5, v5, v0, v20
v_cvt_pk_fp8_f32 v7, v4, v5
	;;#ASMEND
	;;#ASMSTART
	v_pk_mul_f32 v[2:3], v[2:3], v[18:19]
	;;#ASMEND
	;;#ASMSTART
	v_med3_f32 v2, v2, v0, v20
v_med3_f32 v3, v3, v0, v20
v_cvt_pk_fp8_f32 v0, v2, v3
	;;#ASMEND
	v_lshlrev_b32_e32 v0, 16, v0
	v_and_or_b32 v7, v7, s4, v0
	s_movk_i32 s4, 0x200
	buffer_store_dwordx2 v[6:7], v1, s[0:3], s4 offen
	;;#ASMSTART
	s_nop 0
	;;#ASMEND
.LBB77_49:
	s_endpgm
.LBB77_50:
                                        ; implicit-def: $vgpr18_vgpr19
	s_branch .LBB77_37
	.section	.rodata,"a",@progbits
	.p2align	6, 0x0
	.amdhsa_kernel _ZN5aiter24add_rmsnorm_quant_kernelIDF16_DB8_Li256ELi16ELb0ELb1ELb1ELi1EEEvPT0_PT_PfS5_S5_S5_diiiiiiib
		.amdhsa_group_segment_fixed_size 32
		.amdhsa_private_segment_fixed_size 0
		.amdhsa_kernarg_size 88
		.amdhsa_user_sgpr_count 6
		.amdhsa_user_sgpr_private_segment_buffer 1
		.amdhsa_user_sgpr_dispatch_ptr 0
		.amdhsa_user_sgpr_queue_ptr 0
		.amdhsa_user_sgpr_kernarg_segment_ptr 1
		.amdhsa_user_sgpr_dispatch_id 0
		.amdhsa_user_sgpr_flat_scratch_init 0
		.amdhsa_user_sgpr_kernarg_preload_length 0
		.amdhsa_user_sgpr_kernarg_preload_offset 0
		.amdhsa_user_sgpr_private_segment_size 0
		.amdhsa_uses_dynamic_stack 0
		.amdhsa_system_sgpr_private_segment_wavefront_offset 0
		.amdhsa_system_sgpr_workgroup_id_x 1
		.amdhsa_system_sgpr_workgroup_id_y 0
		.amdhsa_system_sgpr_workgroup_id_z 0
		.amdhsa_system_sgpr_workgroup_info 0
		.amdhsa_system_vgpr_workitem_id 0
		.amdhsa_next_free_vgpr 45
		.amdhsa_next_free_sgpr 34
		.amdhsa_accum_offset 48
		.amdhsa_reserve_vcc 1
		.amdhsa_reserve_flat_scratch 0
		.amdhsa_float_round_mode_32 0
		.amdhsa_float_round_mode_16_64 0
		.amdhsa_float_denorm_mode_32 3
		.amdhsa_float_denorm_mode_16_64 3
		.amdhsa_dx10_clamp 1
		.amdhsa_ieee_mode 1
		.amdhsa_fp16_overflow 0
		.amdhsa_tg_split 0
		.amdhsa_exception_fp_ieee_invalid_op 0
		.amdhsa_exception_fp_denorm_src 0
		.amdhsa_exception_fp_ieee_div_zero 0
		.amdhsa_exception_fp_ieee_overflow 0
		.amdhsa_exception_fp_ieee_underflow 0
		.amdhsa_exception_fp_ieee_inexact 0
		.amdhsa_exception_int_div_zero 0
	.end_amdhsa_kernel
	.section	.text._ZN5aiter24add_rmsnorm_quant_kernelIDF16_DB8_Li256ELi16ELb0ELb1ELb1ELi1EEEvPT0_PT_PfS5_S5_S5_diiiiiiib,"axG",@progbits,_ZN5aiter24add_rmsnorm_quant_kernelIDF16_DB8_Li256ELi16ELb0ELb1ELb1ELi1EEEvPT0_PT_PfS5_S5_S5_diiiiiiib,comdat
.Lfunc_end77:
	.size	_ZN5aiter24add_rmsnorm_quant_kernelIDF16_DB8_Li256ELi16ELb0ELb1ELb1ELi1EEEvPT0_PT_PfS5_S5_S5_diiiiiiib, .Lfunc_end77-_ZN5aiter24add_rmsnorm_quant_kernelIDF16_DB8_Li256ELi16ELb0ELb1ELb1ELi1EEEvPT0_PT_PfS5_S5_S5_diiiiiiib
                                        ; -- End function
	.section	.AMDGPU.csdata,"",@progbits
; Kernel info:
; codeLenInByte = 3724
; NumSgprs: 38
; NumVgprs: 45
; NumAgprs: 0
; TotalNumVgprs: 45
; ScratchSize: 0
; MemoryBound: 0
; FloatMode: 240
; IeeeMode: 1
; LDSByteSize: 32 bytes/workgroup (compile time only)
; SGPRBlocks: 4
; VGPRBlocks: 5
; NumSGPRsForWavesPerEU: 38
; NumVGPRsForWavesPerEU: 45
; AccumOffset: 48
; Occupancy: 8
; WaveLimiterHint : 0
; COMPUTE_PGM_RSRC2:SCRATCH_EN: 0
; COMPUTE_PGM_RSRC2:USER_SGPR: 6
; COMPUTE_PGM_RSRC2:TRAP_HANDLER: 0
; COMPUTE_PGM_RSRC2:TGID_X_EN: 1
; COMPUTE_PGM_RSRC2:TGID_Y_EN: 0
; COMPUTE_PGM_RSRC2:TGID_Z_EN: 0
; COMPUTE_PGM_RSRC2:TIDIG_COMP_CNT: 0
; COMPUTE_PGM_RSRC3_GFX90A:ACCUM_OFFSET: 11
; COMPUTE_PGM_RSRC3_GFX90A:TG_SPLIT: 0
	.section	.text._ZN5aiter24add_rmsnorm_quant_kernelItDB8_Li256ELi16ELb0ELb1ELb1ELi1EEEvPT0_PT_PfS5_S5_S5_diiiiiiib,"axG",@progbits,_ZN5aiter24add_rmsnorm_quant_kernelItDB8_Li256ELi16ELb0ELb1ELb1ELi1EEEvPT0_PT_PfS5_S5_S5_diiiiiiib,comdat
	.protected	_ZN5aiter24add_rmsnorm_quant_kernelItDB8_Li256ELi16ELb0ELb1ELb1ELi1EEEvPT0_PT_PfS5_S5_S5_diiiiiiib ; -- Begin function _ZN5aiter24add_rmsnorm_quant_kernelItDB8_Li256ELi16ELb0ELb1ELb1ELi1EEEvPT0_PT_PfS5_S5_S5_diiiiiiib
	.globl	_ZN5aiter24add_rmsnorm_quant_kernelItDB8_Li256ELi16ELb0ELb1ELb1ELi1EEEvPT0_PT_PfS5_S5_S5_diiiiiiib
	.p2align	8
	.type	_ZN5aiter24add_rmsnorm_quant_kernelItDB8_Li256ELi16ELb0ELb1ELb1ELi1EEEvPT0_PT_PfS5_S5_S5_diiiiiiib,@function
_ZN5aiter24add_rmsnorm_quant_kernelItDB8_Li256ELi16ELb0ELb1ELb1ELi1EEEvPT0_PT_PfS5_S5_S5_diiiiiiib: ; @_ZN5aiter24add_rmsnorm_quant_kernelItDB8_Li256ELi16ELb0ELb1ELb1ELi1EEEvPT0_PT_PfS5_S5_S5_diiiiiiib
; %bb.0:
	s_load_dwordx4 s[8:11], s[4:5], 0x38
	s_mov_b32 s7, 0
	s_waitcnt lgkmcnt(0)
	s_ashr_i32 s0, s8, 31
	v_mov_b32_e32 v2, s8
	v_mov_b32_e32 v3, s0
	v_cmp_ge_i64_e32 vcc, s[6:7], v[2:3]
	s_cbranch_vccnz .LBB78_49
; %bb.1:
	s_load_dwordx4 s[12:15], s[4:5], 0x10
	s_load_dwordx4 s[0:3], s[4:5], 0x28
	s_ashr_i32 s11, s10, 31
	s_mul_hi_u32 s16, s10, s6
	s_mul_i32 s11, s11, s6
	s_add_i32 s11, s16, s11
	s_mul_i32 s10, s10, s6
	s_lshl_b64 s[10:11], s[10:11], 1
	s_waitcnt lgkmcnt(0)
	s_add_u32 s16, s14, s10
	s_addc_u32 s10, s15, s11
	s_add_i32 s11, s9, 1
	s_lshr_b32 s14, s11, 31
	v_lshlrev_b32_e32 v27, 4, v0
	s_add_i32 s11, s11, s14
	s_and_b32 s17, s10, 0xffff
	v_lshlrev_b32_e32 v1, 3, v0
	v_and_b32_e32 v2, 0x3c00, v27
	s_movk_i32 s10, 0x1f8
	s_lshl_b32 s11, s11, 1
	v_and_or_b32 v1, v1, s10, v2
	s_and_b32 s18, s11, -4
	s_mov_b32 s19, 0x20000
	v_lshlrev_b32_e32 v14, 1, v1
	buffer_load_dwordx4 v[10:13], v14, s[16:19], 0 offen glc slc
	s_movk_i32 s10, 0x400
	buffer_load_dwordx4 v[28:31], v14, s[16:19], s10 offen glc slc
	s_mov_b32 s16, s0
	s_and_b32 s17, s1, 0xffff
	buffer_load_dwordx4 v[6:9], v14, s[16:19], 0 offen
	buffer_load_dwordx4 v[2:5], v14, s[16:19], s10 offen
	v_and_b32_e32 v44, 63, v0
	v_cmp_eq_u32_e64 s[0:1], 63, v44
	s_waitcnt vmcnt(3)
	v_cvt_f32_u32_sdwa v25, v10 dst_sel:DWORD dst_unused:UNUSED_PAD src0_sel:WORD_1
	v_cvt_f32_u32_sdwa v24, v10 dst_sel:DWORD dst_unused:UNUSED_PAD src0_sel:WORD_0
	v_cvt_f32_u32_sdwa v23, v11 dst_sel:DWORD dst_unused:UNUSED_PAD src0_sel:WORD_1
	v_cvt_f32_u32_sdwa v22, v11 dst_sel:DWORD dst_unused:UNUSED_PAD src0_sel:WORD_0
	v_cvt_f32_u32_sdwa v21, v12 dst_sel:DWORD dst_unused:UNUSED_PAD src0_sel:WORD_1
	v_cvt_f32_u32_sdwa v20, v12 dst_sel:DWORD dst_unused:UNUSED_PAD src0_sel:WORD_0
	s_waitcnt vmcnt(2)
	v_cvt_f32_u32_sdwa v17, v28 dst_sel:DWORD dst_unused:UNUSED_PAD src0_sel:WORD_1
	v_cvt_f32_u32_sdwa v16, v28 dst_sel:DWORD dst_unused:UNUSED_PAD src0_sel:WORD_0
	v_cvt_f32_u32_sdwa v15, v29 dst_sel:DWORD dst_unused:UNUSED_PAD src0_sel:WORD_1
	v_cvt_f32_u32_sdwa v14, v29 dst_sel:DWORD dst_unused:UNUSED_PAD src0_sel:WORD_0
	v_pk_mul_f32 v[28:29], v[24:25], v[24:25]
	v_cvt_f32_u32_sdwa v19, v13 dst_sel:DWORD dst_unused:UNUSED_PAD src0_sel:WORD_1
	v_cvt_f32_u32_sdwa v18, v13 dst_sel:DWORD dst_unused:UNUSED_PAD src0_sel:WORD_0
	v_cvt_f32_u32_sdwa v13, v30 dst_sel:DWORD dst_unused:UNUSED_PAD src0_sel:WORD_1
	v_cvt_f32_u32_sdwa v12, v30 dst_sel:DWORD dst_unused:UNUSED_PAD src0_sel:WORD_0
	;; [unrolled: 2-line block ×3, first 2 shown]
	v_pk_mul_f32 v[30:31], v[22:23], v[22:23]
	v_add_f32_e32 v26, v28, v29
	v_add_f32_e32 v26, v30, v26
	v_pk_mul_f32 v[32:33], v[20:21], v[20:21]
	v_add_f32_e32 v26, v31, v26
	v_add_f32_e32 v26, v32, v26
	;; [unrolled: 3-line block ×7, first 2 shown]
	v_add_f32_e32 v26, v43, v26
	s_nop 1
	v_mov_b32_dpp v28, v26 quad_perm:[1,0,3,2] row_mask:0xf bank_mask:0xf
	v_add_f32_e32 v26, v26, v28
	s_nop 1
	v_mov_b32_dpp v28, v26 quad_perm:[2,3,0,1] row_mask:0xf bank_mask:0xf
	v_add_f32_e32 v26, v26, v28
	s_nop 1
	v_mov_b32_dpp v28, v26 row_half_mirror row_mask:0xf bank_mask:0xf
	v_add_f32_e32 v26, v26, v28
	s_nop 1
	v_mov_b32_dpp v28, v26 row_mirror row_mask:0xf bank_mask:0xf
	v_add_f32_e32 v26, v26, v28
	s_nop 1
	v_mov_b32_dpp v28, v26 row_bcast:15 row_mask:0xf bank_mask:0xf
	v_add_f32_e32 v26, v26, v28
	s_nop 1
	v_mov_b32_dpp v28, v26 row_bcast:31 row_mask:0xf bank_mask:0xf
	s_and_saveexec_b64 s[10:11], s[0:1]
	s_cbranch_execz .LBB78_3
; %bb.2:
	v_lshrrev_b32_e32 v29, 4, v0
	v_and_b32_e32 v29, 60, v29
	v_add_f32_e32 v26, v26, v28
	ds_write_b32 v29, v26 offset:16
.LBB78_3:
	s_or_b64 exec, exec, s[10:11]
	v_and_b32_e32 v26, 3, v0
	v_lshlrev_b32_e32 v26, 2, v26
	s_waitcnt lgkmcnt(0)
	s_barrier
	ds_read_b32 v28, v26 offset:16
	v_cvt_f32_i32_e32 v29, s9
	s_waitcnt vmcnt(1)
	v_cvt_f32_u32_sdwa v37, v9 dst_sel:DWORD dst_unused:UNUSED_PAD src0_sel:WORD_1
	v_cvt_f32_u32_sdwa v36, v9 dst_sel:DWORD dst_unused:UNUSED_PAD src0_sel:WORD_0
	s_waitcnt lgkmcnt(0)
	v_mov_b32_dpp v30, v28 quad_perm:[1,0,3,2] row_mask:0xf bank_mask:0xf
	v_add_f32_e32 v28, v28, v30
	s_nop 1
	v_mov_b32_dpp v30, v28 quad_perm:[2,3,0,1] row_mask:0xf bank_mask:0xf
	v_add_f32_e32 v28, v28, v30
	v_div_scale_f32 v30, s[10:11], v29, v29, v28
	v_rcp_f32_e32 v31, v30
	v_div_scale_f32 v32, vcc, v28, v29, v28
	s_load_dwordx2 s[10:11], s[4:5], 0x4c
	s_load_dword s14, s[4:5], 0x54
	v_fma_f32 v33, -v30, v31, 1.0
	v_fmac_f32_e32 v31, v33, v31
	v_mul_f32_e32 v33, v32, v31
	v_fma_f32 v34, -v30, v33, v32
	v_fmac_f32_e32 v33, v34, v31
	v_fma_f32 v30, -v30, v33, v32
	v_div_fmas_f32 v30, v30, v31, v33
	v_div_fixup_f32 v28, v30, v29, v28
	v_cvt_f64_f32_e32 v[28:29], v28
	v_add_f64 v[28:29], v[28:29], s[2:3]
	v_cvt_f32_f64_e32 v28, v[28:29]
	s_mov_b32 s2, 0x800000
	v_mul_f32_e32 v29, 0x4b800000, v28
	v_cmp_gt_f32_e32 vcc, s2, v28
	v_cndmask_b32_e32 v28, v28, v29, vcc
	v_rsq_f32_e32 v28, v28
	s_waitcnt lgkmcnt(0)
	s_cmp_lg_u32 s11, 0
	v_mul_f32_e32 v29, 0x45800000, v28
	v_cndmask_b32_e32 v28, v28, v29, vcc
	v_mov_b32_e32 v29, v28
	;;#ASMSTART
	v_pk_mul_f32 v[24:25], v[24:25], v[28:29]
	;;#ASMEND
	;;#ASMSTART
	v_pk_mul_f32 v[22:23], v[22:23], v[28:29]
	;;#ASMEND
	;; [unrolled: 3-line block ×8, first 2 shown]
	v_cvt_f32_u32_sdwa v11, v6 dst_sel:DWORD dst_unused:UNUSED_PAD src0_sel:WORD_1
	v_cvt_f32_u32_sdwa v10, v6 dst_sel:DWORD dst_unused:UNUSED_PAD src0_sel:WORD_0
	v_cvt_f32_u32_sdwa v13, v7 dst_sel:DWORD dst_unused:UNUSED_PAD src0_sel:WORD_1
	v_cvt_f32_u32_sdwa v12, v7 dst_sel:DWORD dst_unused:UNUSED_PAD src0_sel:WORD_0
	;; [unrolled: 2-line block ×3, first 2 shown]
	;;#ASMSTART
	v_pk_mul_f32 v[16:17], v[24:25], v[10:11]
	;;#ASMEND
	;;#ASMSTART
	v_pk_mul_f32 v[14:15], v[22:23], v[12:13]
	;;#ASMEND
	;;#ASMSTART
	v_pk_mul_f32 v[12:13], v[20:21], v[6:7]
	;;#ASMEND
	;;#ASMSTART
	v_pk_mul_f32 v[8:9], v[18:19], v[36:37]
	;;#ASMEND
	s_waitcnt vmcnt(0)
	v_cvt_f32_u32_sdwa v7, v2 dst_sel:DWORD dst_unused:UNUSED_PAD src0_sel:WORD_1
	v_cvt_f32_u32_sdwa v6, v2 dst_sel:DWORD dst_unused:UNUSED_PAD src0_sel:WORD_0
	v_cvt_f32_u32_sdwa v19, v3 dst_sel:DWORD dst_unused:UNUSED_PAD src0_sel:WORD_1
	v_cvt_f32_u32_sdwa v18, v3 dst_sel:DWORD dst_unused:UNUSED_PAD src0_sel:WORD_0
	;; [unrolled: 2-line block ×3, first 2 shown]
	v_cvt_f32_u32_sdwa v20, v5 dst_sel:DWORD dst_unused:UNUSED_PAD src0_sel:WORD_0
	v_cvt_f32_u32_sdwa v21, v5 dst_sel:DWORD dst_unused:UNUSED_PAD src0_sel:WORD_1
	;;#ASMSTART
	v_pk_mul_f32 v[10:11], v[30:31], v[6:7]
	;;#ASMEND
	;;#ASMSTART
	v_pk_mul_f32 v[6:7], v[32:33], v[18:19]
	;;#ASMEND
	;; [unrolled: 3-line block ×4, first 2 shown]
	v_and_b32_e32 v18, 0x7fffffff, v16
	v_mov_b32_e32 v20, 0x2edbe6ff
	v_and_b32_e32 v19, 0x7fffffff, v17
	;;#ASMSTART
	v_max3_f32 v18, v20, v18, v19

	;;#ASMEND
	v_and_b32_e32 v20, 0x7fffffff, v15
	v_and_b32_e32 v19, 0x7fffffff, v14
	;;#ASMSTART
	v_max3_f32 v18, v18, v19, v20

	;;#ASMEND
	v_and_b32_e32 v20, 0x7fffffff, v13
	;; [unrolled: 6-line block ×7, first 2 shown]
	v_and_b32_e32 v19, 0x7fffffff, v2
	;;#ASMSTART
	v_max3_f32 v20, v18, v19, v20

	;;#ASMEND
	s_cbranch_scc0 .LBB78_10
; %bb.4:
	s_ashr_i32 s15, s11, 31
	s_lshr_b32 s2, s15, 28
	s_add_i32 s2, s11, s2
	s_ashr_i32 s18, s2, 4
	s_cmp_lt_i32 s18, 16
	s_cbranch_scc1 .LBB78_11
; %bb.5:
	s_cmp_lt_i32 s18, 32
	s_cbranch_scc1 .LBB78_12
; %bb.6:
	;; [unrolled: 3-line block ×3, first 2 shown]
	s_cmp_eq_u32 s18, 64
	v_mov_b32_e32 v18, v20
	s_cbranch_scc0 .LBB78_9
; %bb.8:
	s_nop 0
	v_mov_b32_dpp v18, v20 quad_perm:[1,0,3,2] row_mask:0xf bank_mask:0xf
	v_cmp_gt_f32_e32 vcc, v20, v18
	v_cndmask_b32_e32 v18, v18, v20, vcc
	v_bfrev_b32_e32 v21, 0.5
	s_nop 0
	v_mov_b32_dpp v19, v18 quad_perm:[2,3,0,1] row_mask:0xf bank_mask:0xf
	v_cmp_gt_f32_e32 vcc, v18, v19
	v_cndmask_b32_e32 v18, v19, v18, vcc
	s_nop 1
	v_mov_b32_dpp v19, v18 row_ror:4 row_mask:0xf bank_mask:0xf
	v_cmp_gt_f32_e32 vcc, v18, v19
	v_cndmask_b32_e32 v18, v19, v18, vcc
	s_nop 1
	v_mov_b32_dpp v19, v18 row_ror:8 row_mask:0xf bank_mask:0xf
	v_cmp_gt_f32_e32 vcc, v18, v19
	v_cndmask_b32_e32 v18, v19, v18, vcc
	s_nop 1
	v_mov_b32_dpp v19, v18 row_bcast:15 row_mask:0xf bank_mask:0xf
	v_cmp_gt_f32_e32 vcc, v18, v19
	v_cndmask_b32_e32 v18, v19, v18, vcc
	s_nop 1
	v_mov_b32_dpp v19, v18 row_bcast:31 row_mask:0xf bank_mask:0xf
	v_cmp_gt_f32_e32 vcc, v18, v19
	v_cndmask_b32_e32 v18, v19, v18, vcc
	v_mbcnt_lo_u32_b32 v19, -1, 0
	v_mbcnt_hi_u32_b32 v19, -1, v19
	v_lshl_or_b32 v19, v19, 2, v21
	ds_bpermute_b32 v18, v19, v18
.LBB78_9:
	s_mov_b64 s[2:3], 0
	s_branch .LBB78_14
.LBB78_10:
	s_mov_b64 s[2:3], 0
                                        ; implicit-def: $vgpr21
                                        ; implicit-def: $vgpr18_vgpr19
	s_cbranch_execnz .LBB78_43
	s_branch .LBB78_46
.LBB78_11:
                                        ; implicit-def: $vgpr18
	s_branch .LBB78_21
.LBB78_12:
                                        ; implicit-def: $vgpr18
	s_branch .LBB78_18
.LBB78_13:
	s_mov_b64 s[2:3], -1
                                        ; implicit-def: $vgpr18
.LBB78_14:
	s_andn2_b64 vcc, exec, s[2:3]
	s_cbranch_vccnz .LBB78_17
; %bb.15:
	s_cmp_eq_u32 s18, 32
	s_waitcnt lgkmcnt(0)
	v_mov_b32_e32 v18, v20
	s_cbranch_scc0 .LBB78_17
; %bb.16:
	s_nop 0
	v_mov_b32_dpp v18, v20 quad_perm:[1,0,3,2] row_mask:0xf bank_mask:0xf
	v_cmp_gt_f32_e32 vcc, v20, v18
	v_cndmask_b32_e32 v18, v18, v20, vcc
	v_mov_b32_e32 v21, 0x7c
	s_nop 0
	v_mov_b32_dpp v19, v18 quad_perm:[2,3,0,1] row_mask:0xf bank_mask:0xf
	v_cmp_gt_f32_e32 vcc, v18, v19
	v_cndmask_b32_e32 v18, v19, v18, vcc
	s_nop 1
	v_mov_b32_dpp v19, v18 row_half_mirror row_mask:0xf bank_mask:0xf
	v_cmp_gt_f32_e32 vcc, v18, v19
	v_cndmask_b32_e32 v18, v19, v18, vcc
	s_nop 1
	v_mov_b32_dpp v19, v18 row_mirror row_mask:0xf bank_mask:0xf
	v_cmp_gt_f32_e32 vcc, v18, v19
	v_cndmask_b32_e32 v18, v19, v18, vcc
	s_nop 1
	v_mov_b32_dpp v19, v18 row_bcast:15 row_mask:0xa bank_mask:0xf
	v_cmp_gt_f32_e32 vcc, v18, v19
	v_cndmask_b32_e32 v18, v19, v18, vcc
	v_mbcnt_lo_u32_b32 v19, -1, 0
	v_mbcnt_hi_u32_b32 v19, -1, v19
	v_lshl_or_b32 v19, v19, 2, v21
	ds_bpermute_b32 v18, v19, v18
.LBB78_17:
	s_cbranch_execnz .LBB78_20
.LBB78_18:
	s_cmp_eq_u32 s18, 16
	s_waitcnt lgkmcnt(0)
	v_mov_b32_e32 v18, v20
	s_cbranch_scc0 .LBB78_20
; %bb.19:
	s_nop 0
	v_mov_b32_dpp v18, v20 quad_perm:[1,0,3,2] row_mask:0xf bank_mask:0xf
	v_cmp_gt_f32_e32 vcc, v20, v18
	v_cndmask_b32_e32 v18, v18, v20, vcc
	s_nop 1
	v_mov_b32_dpp v19, v18 quad_perm:[2,3,0,1] row_mask:0xf bank_mask:0xf
	v_cmp_gt_f32_e32 vcc, v18, v19
	v_cndmask_b32_e32 v18, v19, v18, vcc
	s_nop 1
	v_mov_b32_dpp v19, v18 row_half_mirror row_mask:0xf bank_mask:0xf
	v_cmp_gt_f32_e32 vcc, v18, v19
	v_cndmask_b32_e32 v18, v19, v18, vcc
	s_nop 1
	v_mov_b32_dpp v19, v18 row_mirror row_mask:0xf bank_mask:0xf
	v_cmp_gt_f32_e32 vcc, v18, v19
	v_cndmask_b32_e32 v18, v19, v18, vcc
.LBB78_20:
	s_cbranch_execnz .LBB78_33
.LBB78_21:
	s_cmp_lt_i32 s18, 4
	s_cbranch_scc1 .LBB78_25
; %bb.22:
	s_cmp_lt_i32 s18, 8
	s_cbranch_scc1 .LBB78_26
; %bb.23:
	s_cmp_eq_u32 s18, 8
	s_waitcnt lgkmcnt(0)
	v_mov_b32_e32 v18, v20
	s_cbranch_scc0 .LBB78_27
; %bb.24:
	s_nop 0
	v_mov_b32_dpp v18, v20 quad_perm:[1,0,3,2] row_mask:0xf bank_mask:0xf
	v_cmp_gt_f32_e32 vcc, v20, v18
	v_cndmask_b32_e32 v18, v18, v20, vcc
	s_nop 1
	v_mov_b32_dpp v19, v18 quad_perm:[2,3,0,1] row_mask:0xf bank_mask:0xf
	v_cmp_gt_f32_e32 vcc, v18, v19
	v_cndmask_b32_e32 v18, v19, v18, vcc
	s_nop 1
	v_mov_b32_dpp v19, v18 row_half_mirror row_mask:0xf bank_mask:0xf
	v_cmp_gt_f32_e32 vcc, v18, v19
	v_cndmask_b32_e32 v18, v19, v18, vcc
	s_cbranch_execz .LBB78_28
	s_branch .LBB78_30
.LBB78_25:
                                        ; implicit-def: $vgpr18
	s_branch .LBB78_31
.LBB78_26:
                                        ; implicit-def: $vgpr18
	s_branch .LBB78_28
.LBB78_27:
	s_cbranch_execnz .LBB78_30
.LBB78_28:
	s_cmp_eq_u32 s18, 4
	s_waitcnt lgkmcnt(0)
	v_mov_b32_e32 v18, v20
	s_cbranch_scc0 .LBB78_30
; %bb.29:
	s_nop 0
	v_mov_b32_dpp v18, v20 quad_perm:[1,0,3,2] row_mask:0xf bank_mask:0xf
	v_cmp_gt_f32_e32 vcc, v20, v18
	v_cndmask_b32_e32 v18, v18, v20, vcc
	s_nop 1
	v_mov_b32_dpp v19, v18 quad_perm:[2,3,0,1] row_mask:0xf bank_mask:0xf
	v_cmp_gt_f32_e32 vcc, v18, v19
	v_cndmask_b32_e32 v18, v19, v18, vcc
.LBB78_30:
	s_cbranch_execnz .LBB78_33
.LBB78_31:
	s_cmp_lg_u32 s18, 2
	s_waitcnt lgkmcnt(0)
	v_mov_b32_e32 v18, v20
	s_cbranch_scc1 .LBB78_33
; %bb.32:
	s_nop 0
	v_mov_b32_dpp v18, v20 quad_perm:[1,0,3,2] row_mask:0xf bank_mask:0xf
	v_cmp_gt_f32_e32 vcc, v20, v18
	v_cndmask_b32_e32 v18, v18, v20, vcc
.LBB78_33:
	v_cvt_f32_u32_e32 v19, s18
	s_waitcnt lgkmcnt(0)
	v_mul_f32_e32 v21, 0x3b124925, v18
	s_sub_i32 s2, 0, s18
	v_cmp_gt_u32_e32 vcc, s9, v27
	v_rcp_iflag_f32_e32 v19, v19
	s_mov_b64 s[16:17], 0
	v_mul_f32_e32 v18, 0x4f7ffffe, v19
	v_cvt_u32_f32_e32 v18, v18
	v_mul_lo_u32 v19, s2, v18
	v_mul_hi_u32 v19, v18, v19
	v_add_u32_e32 v18, v18, v19
	v_mul_hi_u32 v18, v0, v18
	v_mul_lo_u32 v19, v18, s18
	v_sub_u32_e32 v19, v0, v19
	v_add_u32_e32 v22, 1, v18
	v_cmp_le_u32_e64 s[2:3], s18, v19
	v_cndmask_b32_e64 v18, v18, v22, s[2:3]
	v_subrev_u32_e32 v22, s18, v19
	v_cndmask_b32_e64 v19, v19, v22, s[2:3]
	v_add_u32_e32 v22, 1, v18
	v_cmp_le_u32_e64 s[2:3], s18, v19
	v_cndmask_b32_e64 v22, v18, v22, s[2:3]
	v_mul_lo_u32 v18, v22, s18
	v_sub_u32_e32 v18, v0, v18
	v_cmp_eq_u32_e64 s[2:3], 0, v18
	s_and_b64 s[18:19], s[2:3], vcc
	s_mov_b64 s[2:3], 0
                                        ; implicit-def: $vgpr18_vgpr19
	s_and_saveexec_b64 s[20:21], s[18:19]
	s_xor_b64 s[18:19], exec, s[20:21]
	s_cbranch_execz .LBB78_42
; %bb.34:
	s_bitcmp0_b32 s14, 0
	s_cbranch_scc0 .LBB78_39
; %bb.35:
	s_ashr_i32 s2, s9, 31
	s_mul_hi_u32 s3, s9, s6
	s_mul_i32 s2, s2, s6
	s_add_i32 s21, s3, s2
	s_mul_i32 s20, s9, s6
	s_mov_b32 s14, s11
	s_or_b64 s[2:3], s[20:21], s[14:15]
	s_mov_b32 s2, 0
	s_cmp_lg_u64 s[2:3], 0
	s_cbranch_scc0 .LBB78_50
; %bb.36:
	s_add_u32 s2, s14, s15
	s_mov_b32 s24, s15
	s_mov_b32 s25, s15
	s_addc_u32 s3, s15, s15
	s_xor_b64 s[26:27], s[2:3], s[24:25]
	v_cvt_f32_u32_e32 v18, s26
	v_cvt_f32_u32_e32 v19, s27
	s_sub_u32 s2, 0, s26
	s_subb_u32 s3, 0, s27
	v_madmk_f32 v18, v19, 0x4f800000, v18
	v_rcp_f32_e32 v18, v18
	v_mul_f32_e32 v18, 0x5f7ffffc, v18
	v_mul_f32_e32 v19, 0x2f800000, v18
	v_trunc_f32_e32 v19, v19
	v_madmk_f32 v18, v19, 0xcf800000, v18
	v_cvt_u32_f32_e32 v19, v19
	v_cvt_u32_f32_e32 v18, v18
	v_readfirstlane_b32 s11, v19
	v_readfirstlane_b32 s15, v18
	s_mul_i32 s28, s2, s11
	s_mul_hi_u32 s30, s2, s15
	s_mul_i32 s29, s3, s15
	s_add_i32 s28, s30, s28
	s_add_i32 s28, s28, s29
	s_mul_i32 s31, s2, s15
	s_mul_hi_u32 s29, s15, s28
	s_mul_i32 s30, s15, s28
	s_mul_hi_u32 s15, s15, s31
	s_add_u32 s15, s15, s30
	s_addc_u32 s29, 0, s29
	s_mul_hi_u32 s33, s11, s31
	s_mul_i32 s31, s11, s31
	s_add_u32 s15, s15, s31
	s_mul_hi_u32 s30, s11, s28
	s_addc_u32 s15, s29, s33
	s_addc_u32 s29, s30, 0
	s_mul_i32 s28, s11, s28
	s_add_u32 s15, s15, s28
	s_addc_u32 s28, 0, s29
	v_add_co_u32_e32 v18, vcc, s15, v18
	s_cmp_lg_u64 vcc, 0
	s_addc_u32 s11, s11, s28
	v_readfirstlane_b32 s28, v18
	s_mul_i32 s15, s2, s11
	s_mul_hi_u32 s29, s2, s28
	s_add_i32 s15, s29, s15
	s_mul_i32 s3, s3, s28
	s_add_i32 s15, s15, s3
	s_mul_i32 s2, s2, s28
	s_mul_hi_u32 s29, s11, s2
	s_mul_i32 s30, s11, s2
	s_mul_i32 s33, s28, s15
	s_mul_hi_u32 s2, s28, s2
	s_mul_hi_u32 s31, s28, s15
	s_add_u32 s2, s2, s33
	s_addc_u32 s28, 0, s31
	s_add_u32 s2, s2, s30
	s_mul_hi_u32 s3, s11, s15
	s_addc_u32 s2, s28, s29
	s_addc_u32 s3, s3, 0
	s_mul_i32 s15, s11, s15
	s_add_u32 s2, s2, s15
	s_addc_u32 s3, 0, s3
	v_add_co_u32_e32 v18, vcc, s2, v18
	s_cmp_lg_u64 vcc, 0
	s_addc_u32 s11, s11, s3
	s_ashr_i32 s28, s21, 31
	s_add_u32 s2, s20, s28
	s_mov_b32 s29, s28
	s_addc_u32 s3, s21, s28
	s_xor_b64 s[30:31], s[2:3], s[28:29]
	v_readfirstlane_b32 s15, v18
	s_mul_i32 s3, s30, s11
	s_mul_hi_u32 s21, s30, s15
	s_mul_hi_u32 s2, s30, s11
	s_add_u32 s3, s21, s3
	s_addc_u32 s2, 0, s2
	s_mul_hi_u32 s33, s31, s15
	s_mul_i32 s15, s31, s15
	s_add_u32 s3, s3, s15
	s_mul_hi_u32 s21, s31, s11
	s_addc_u32 s2, s2, s33
	s_addc_u32 s3, s21, 0
	s_mul_i32 s11, s31, s11
	s_add_u32 s11, s2, s11
	s_addc_u32 s15, 0, s3
	s_mul_i32 s2, s26, s15
	s_mul_hi_u32 s3, s26, s11
	s_add_i32 s2, s3, s2
	s_mul_i32 s3, s27, s11
	s_add_i32 s21, s2, s3
	s_mul_i32 s3, s26, s11
	v_mov_b32_e32 v18, s3
	s_sub_i32 s2, s31, s21
	v_sub_co_u32_e32 v18, vcc, s30, v18
	s_cmp_lg_u64 vcc, 0
	s_subb_u32 s30, s2, s27
	v_subrev_co_u32_e64 v19, s[2:3], s26, v18
	s_cmp_lg_u64 s[2:3], 0
	s_subb_u32 s30, s30, 0
	s_cmp_ge_u32 s30, s27
	s_cselect_b32 s33, -1, 0
	v_cmp_le_u32_e64 s[2:3], s26, v19
	s_cmp_eq_u32 s30, s27
	v_cndmask_b32_e64 v19, 0, -1, s[2:3]
	v_mov_b32_e32 v23, s33
	s_cselect_b64 s[2:3], -1, 0
	v_cndmask_b32_e64 v19, v23, v19, s[2:3]
	s_add_u32 s2, s11, 1
	s_addc_u32 s30, s15, 0
	s_add_u32 s3, s11, 2
	s_addc_u32 s33, s15, 0
	v_mov_b32_e32 v23, s2
	v_mov_b32_e32 v24, s3
	v_cmp_ne_u32_e64 s[2:3], 0, v19
	v_cndmask_b32_e64 v19, v23, v24, s[2:3]
	v_mov_b32_e32 v23, s30
	v_mov_b32_e32 v24, s33
	s_cmp_lg_u64 vcc, 0
	v_cndmask_b32_e64 v23, v23, v24, s[2:3]
	s_subb_u32 s2, s31, s21
	s_cmp_ge_u32 s2, s27
	s_cselect_b32 s3, -1, 0
	v_cmp_le_u32_e32 vcc, s26, v18
	s_cmp_eq_u32 s2, s27
	v_cndmask_b32_e64 v18, 0, -1, vcc
	v_mov_b32_e32 v24, s3
	s_cselect_b64 vcc, -1, 0
	v_cndmask_b32_e32 v18, v24, v18, vcc
	v_mov_b32_e32 v24, s15
	v_cmp_ne_u32_e32 vcc, 0, v18
	v_cndmask_b32_e32 v18, v24, v23, vcc
	v_mov_b32_e32 v23, s11
	v_cndmask_b32_e32 v19, v23, v19, vcc
	s_xor_b64 s[2:3], s[28:29], s[24:25]
	v_xor_b32_e32 v19, s2, v19
	v_xor_b32_e32 v23, s3, v18
	v_mov_b32_e32 v24, s3
	v_subrev_co_u32_e32 v18, vcc, s2, v19
	v_subb_co_u32_e32 v19, vcc, v23, v24, vcc
	s_cbranch_execnz .LBB78_38
.LBB78_37:
	v_cvt_f32_u32_e32 v18, s14
	s_sub_i32 s2, 0, s14
	s_mov_b32 s3, 0
	v_rcp_iflag_f32_e32 v18, v18
	v_mul_f32_e32 v18, 0x4f7ffffe, v18
	v_cvt_u32_f32_e32 v18, v18
	v_readfirstlane_b32 s11, v18
	s_mul_i32 s2, s2, s11
	s_mul_hi_u32 s2, s11, s2
	s_add_i32 s11, s11, s2
	s_mul_hi_u32 s2, s20, s11
	s_mul_i32 s15, s2, s14
	s_sub_i32 s15, s20, s15
	s_add_i32 s11, s2, 1
	s_sub_i32 s20, s15, s14
	s_cmp_ge_u32 s15, s14
	s_cselect_b32 s2, s11, s2
	s_cselect_b32 s15, s20, s15
	s_add_i32 s11, s2, 1
	s_cmp_ge_u32 s15, s14
	s_cselect_b32 s2, s11, s2
	v_pk_mov_b32 v[18:19], s[2:3], s[2:3] op_sel:[0,1]
.LBB78_38:
	v_add_co_u32_e32 v18, vcc, v18, v22
	v_addc_co_u32_e32 v19, vcc, 0, v19, vcc
	s_branch .LBB78_41
.LBB78_39:
                                        ; implicit-def: $vgpr18_vgpr19
	s_cbranch_execz .LBB78_41
; %bb.40:
	v_mul_lo_u32 v18, v22, s8
	v_ashrrev_i32_e32 v19, 31, v18
	v_mov_b32_e32 v22, s7
	v_add_co_u32_e32 v18, vcc, s6, v18
	v_addc_co_u32_e32 v19, vcc, v19, v22, vcc
.LBB78_41:
	s_mov_b64 s[2:3], exec
.LBB78_42:
	s_or_b64 exec, exec, s[18:19]
	s_and_b64 vcc, exec, s[16:17]
	s_cbranch_vccz .LBB78_46
.LBB78_43:
	v_mov_b32_dpp v18, v20 quad_perm:[1,0,3,2] row_mask:0xf bank_mask:0xf
	v_cmp_gt_f32_e32 vcc, v20, v18
	v_cndmask_b32_e32 v18, v18, v20, vcc
	s_nop 1
	v_mov_b32_dpp v19, v18 quad_perm:[2,3,0,1] row_mask:0xf bank_mask:0xf
	v_cmp_gt_f32_e32 vcc, v18, v19
	v_cndmask_b32_e32 v18, v19, v18, vcc
	s_nop 1
	v_mov_b32_dpp v19, v18 row_half_mirror row_mask:0xf bank_mask:0xf
	v_cmp_gt_f32_e32 vcc, v18, v19
	v_cndmask_b32_e32 v18, v19, v18, vcc
	s_nop 1
	v_mov_b32_dpp v19, v18 row_mirror row_mask:0xf bank_mask:0xf
	v_cmp_gt_f32_e32 vcc, v18, v19
	v_cndmask_b32_e32 v18, v19, v18, vcc
	s_nop 1
	v_mov_b32_dpp v19, v18 row_bcast:15 row_mask:0xf bank_mask:0xf
	v_cmp_gt_f32_e32 vcc, v18, v19
	v_cndmask_b32_e32 v18, v19, v18, vcc
	s_nop 1
	v_mov_b32_dpp v19, v18 row_bcast:31 row_mask:0xf bank_mask:0xf
	s_and_saveexec_b64 s[2:3], s[0:1]
	s_cbranch_execz .LBB78_45
; %bb.44:
	v_lshrrev_b32_e32 v20, 4, v0
	v_cmp_gt_f32_e32 vcc, v18, v19
	v_and_b32_e32 v20, 60, v20
	v_cndmask_b32_e32 v18, v19, v18, vcc
	ds_write_b32 v20, v18
.LBB78_45:
	s_or_b64 exec, exec, s[2:3]
	s_waitcnt lgkmcnt(0)
	s_barrier
	ds_read_b32 v18, v26
	v_cmp_eq_u32_e64 s[2:3], 0, v0
	s_waitcnt lgkmcnt(0)
	v_mov_b32_dpp v19, v18 quad_perm:[1,0,3,2] row_mask:0xf bank_mask:0xf
	v_cmp_gt_f32_e32 vcc, v18, v19
	v_cndmask_b32_e32 v18, v19, v18, vcc
	s_nop 1
	v_mov_b32_dpp v19, v18 quad_perm:[2,3,0,1] row_mask:0xf bank_mask:0xf
	v_cmp_gt_f32_e32 vcc, v18, v19
	v_cndmask_b32_e32 v18, v19, v18, vcc
	v_mul_f32_e32 v21, 0x3b124925, v18
	v_pk_mov_b32 v[18:19], s[6:7], s[6:7] op_sel:[0,1]
.LBB78_46:
	s_and_saveexec_b64 s[0:1], s[2:3]
	s_cbranch_execz .LBB78_48
; %bb.47:
	v_lshlrev_b64 v[18:19], 2, v[18:19]
	v_mov_b32_e32 v0, s13
	v_add_co_u32_e32 v18, vcc, s12, v18
	v_addc_co_u32_e32 v19, vcc, v0, v19, vcc
	global_store_dword v[18:19], v21, off
.LBB78_48:
	s_or_b64 exec, exec, s[0:1]
	s_add_i32 s2, s9, 3
	s_load_dwordx2 s[0:1], s[4:5], 0x0
	s_ashr_i32 s3, s2, 31
	s_lshr_b32 s3, s3, 30
	;;#ASMSTART
	v_rcp_f32 v18, v21
	;;#ASMEND
	v_mov_b32_e32 v19, v18
	;;#ASMSTART
	v_pk_mul_f32 v[16:17], v[16:17], v[18:19]
	;;#ASMEND
	s_add_i32 s2, s2, s3
	s_ashr_i32 s3, s10, 31
	v_mov_b32_e32 v0, 0xc3e00000
	v_mov_b32_e32 v20, 0x43e00000
	;;#ASMSTART
	v_med3_f32 v16, v16, v0, v20
v_med3_f32 v17, v17, v0, v20
v_cvt_pk_fp8_f32 v21, v16, v17
	;;#ASMEND
	;;#ASMSTART
	v_pk_mul_f32 v[14:15], v[14:15], v[18:19]
	;;#ASMEND
	s_mul_hi_u32 s4, s10, s6
	s_mul_i32 s3, s3, s6
	;;#ASMSTART
	v_med3_f32 v14, v14, v0, v20
v_med3_f32 v15, v15, v0, v20
v_cvt_pk_fp8_f32 v16, v14, v15
	;;#ASMEND
	s_mov_b32 s5, 0x5040100
	s_and_b32 s2, s2, -4
	s_add_i32 s4, s4, s3
	s_mul_i32 s3, s10, s6
	v_perm_b32 v15, v16, v21, s5
	s_movk_i32 s6, 0xff
	s_waitcnt lgkmcnt(0)
	s_add_u32 s0, s0, s3
	v_and_b32_e32 v14, 0xffffff00, v16
	v_and_b32_sdwa v16, v15, s6 dst_sel:DWORD dst_unused:UNUSED_PAD src0_sel:WORD_1 src1_sel:DWORD
	s_addc_u32 s1, s1, s4
	s_mov_b32 s4, 0xffff
	v_or_b32_sdwa v14, v16, v14 dst_sel:WORD_1 dst_unused:UNUSED_PAD src0_sel:DWORD src1_sel:DWORD
	;;#ASMSTART
	v_pk_mul_f32 v[12:13], v[12:13], v[18:19]
	;;#ASMEND
	v_and_or_b32 v14, v15, s4, v14
	;;#ASMSTART
	v_med3_f32 v12, v12, v0, v20
v_med3_f32 v13, v13, v0, v20
v_cvt_pk_fp8_f32 v15, v12, v13
	;;#ASMEND
	;;#ASMSTART
	v_pk_mul_f32 v[8:9], v[8:9], v[18:19]
	;;#ASMEND
	;;#ASMSTART
	v_med3_f32 v8, v8, v0, v20
v_med3_f32 v9, v9, v0, v20
v_cvt_pk_fp8_f32 v12, v8, v9
	;;#ASMEND
	v_lshlrev_b32_e32 v8, 16, v12
	s_and_b32 s1, s1, 0xffff
	s_mov_b32 s3, 0x20000
	v_and_or_b32 v15, v15, s4, v8
	buffer_store_dwordx2 v[14:15], v1, s[0:3], 0 offen
	;;#ASMSTART
	s_nop 0
	;;#ASMEND
	;;#ASMSTART
	v_pk_mul_f32 v[8:9], v[10:11], v[18:19]
	;;#ASMEND
	;;#ASMSTART
	v_med3_f32 v8, v8, v0, v20
v_med3_f32 v9, v9, v0, v20
v_cvt_pk_fp8_f32 v10, v8, v9
	;;#ASMEND
	;;#ASMSTART
	v_pk_mul_f32 v[6:7], v[6:7], v[18:19]
	;;#ASMEND
	;;#ASMSTART
	v_med3_f32 v6, v6, v0, v20
v_med3_f32 v7, v7, v0, v20
v_cvt_pk_fp8_f32 v8, v6, v7
	;;#ASMEND
	v_perm_b32 v7, v8, v10, s5
	v_and_b32_e32 v6, 0xffffff00, v8
	v_and_b32_sdwa v8, v7, s6 dst_sel:DWORD dst_unused:UNUSED_PAD src0_sel:WORD_1 src1_sel:DWORD
	v_or_b32_sdwa v6, v8, v6 dst_sel:WORD_1 dst_unused:UNUSED_PAD src0_sel:DWORD src1_sel:DWORD
	;;#ASMSTART
	v_pk_mul_f32 v[4:5], v[4:5], v[18:19]
	;;#ASMEND
	v_and_or_b32 v6, v7, s4, v6
	;;#ASMSTART
	v_med3_f32 v4, v4, v0, v20
v_med3_f32 v5, v5, v0, v20
v_cvt_pk_fp8_f32 v7, v4, v5
	;;#ASMEND
	;;#ASMSTART
	v_pk_mul_f32 v[2:3], v[2:3], v[18:19]
	;;#ASMEND
	;;#ASMSTART
	v_med3_f32 v2, v2, v0, v20
v_med3_f32 v3, v3, v0, v20
v_cvt_pk_fp8_f32 v0, v2, v3
	;;#ASMEND
	v_lshlrev_b32_e32 v0, 16, v0
	v_and_or_b32 v7, v7, s4, v0
	s_movk_i32 s4, 0x200
	buffer_store_dwordx2 v[6:7], v1, s[0:3], s4 offen
	;;#ASMSTART
	s_nop 0
	;;#ASMEND
.LBB78_49:
	s_endpgm
.LBB78_50:
                                        ; implicit-def: $vgpr18_vgpr19
	s_branch .LBB78_37
	.section	.rodata,"a",@progbits
	.p2align	6, 0x0
	.amdhsa_kernel _ZN5aiter24add_rmsnorm_quant_kernelItDB8_Li256ELi16ELb0ELb1ELb1ELi1EEEvPT0_PT_PfS5_S5_S5_diiiiiiib
		.amdhsa_group_segment_fixed_size 32
		.amdhsa_private_segment_fixed_size 0
		.amdhsa_kernarg_size 88
		.amdhsa_user_sgpr_count 6
		.amdhsa_user_sgpr_private_segment_buffer 1
		.amdhsa_user_sgpr_dispatch_ptr 0
		.amdhsa_user_sgpr_queue_ptr 0
		.amdhsa_user_sgpr_kernarg_segment_ptr 1
		.amdhsa_user_sgpr_dispatch_id 0
		.amdhsa_user_sgpr_flat_scratch_init 0
		.amdhsa_user_sgpr_kernarg_preload_length 0
		.amdhsa_user_sgpr_kernarg_preload_offset 0
		.amdhsa_user_sgpr_private_segment_size 0
		.amdhsa_uses_dynamic_stack 0
		.amdhsa_system_sgpr_private_segment_wavefront_offset 0
		.amdhsa_system_sgpr_workgroup_id_x 1
		.amdhsa_system_sgpr_workgroup_id_y 0
		.amdhsa_system_sgpr_workgroup_id_z 0
		.amdhsa_system_sgpr_workgroup_info 0
		.amdhsa_system_vgpr_workitem_id 0
		.amdhsa_next_free_vgpr 45
		.amdhsa_next_free_sgpr 34
		.amdhsa_accum_offset 48
		.amdhsa_reserve_vcc 1
		.amdhsa_reserve_flat_scratch 0
		.amdhsa_float_round_mode_32 0
		.amdhsa_float_round_mode_16_64 0
		.amdhsa_float_denorm_mode_32 3
		.amdhsa_float_denorm_mode_16_64 3
		.amdhsa_dx10_clamp 1
		.amdhsa_ieee_mode 1
		.amdhsa_fp16_overflow 0
		.amdhsa_tg_split 0
		.amdhsa_exception_fp_ieee_invalid_op 0
		.amdhsa_exception_fp_denorm_src 0
		.amdhsa_exception_fp_ieee_div_zero 0
		.amdhsa_exception_fp_ieee_overflow 0
		.amdhsa_exception_fp_ieee_underflow 0
		.amdhsa_exception_fp_ieee_inexact 0
		.amdhsa_exception_int_div_zero 0
	.end_amdhsa_kernel
	.section	.text._ZN5aiter24add_rmsnorm_quant_kernelItDB8_Li256ELi16ELb0ELb1ELb1ELi1EEEvPT0_PT_PfS5_S5_S5_diiiiiiib,"axG",@progbits,_ZN5aiter24add_rmsnorm_quant_kernelItDB8_Li256ELi16ELb0ELb1ELb1ELi1EEEvPT0_PT_PfS5_S5_S5_diiiiiiib,comdat
.Lfunc_end78:
	.size	_ZN5aiter24add_rmsnorm_quant_kernelItDB8_Li256ELi16ELb0ELb1ELb1ELi1EEEvPT0_PT_PfS5_S5_S5_diiiiiiib, .Lfunc_end78-_ZN5aiter24add_rmsnorm_quant_kernelItDB8_Li256ELi16ELb0ELb1ELb1ELi1EEEvPT0_PT_PfS5_S5_S5_diiiiiiib
                                        ; -- End function
	.section	.AMDGPU.csdata,"",@progbits
; Kernel info:
; codeLenInByte = 3788
; NumSgprs: 38
; NumVgprs: 45
; NumAgprs: 0
; TotalNumVgprs: 45
; ScratchSize: 0
; MemoryBound: 0
; FloatMode: 240
; IeeeMode: 1
; LDSByteSize: 32 bytes/workgroup (compile time only)
; SGPRBlocks: 4
; VGPRBlocks: 5
; NumSGPRsForWavesPerEU: 38
; NumVGPRsForWavesPerEU: 45
; AccumOffset: 48
; Occupancy: 8
; WaveLimiterHint : 0
; COMPUTE_PGM_RSRC2:SCRATCH_EN: 0
; COMPUTE_PGM_RSRC2:USER_SGPR: 6
; COMPUTE_PGM_RSRC2:TRAP_HANDLER: 0
; COMPUTE_PGM_RSRC2:TGID_X_EN: 1
; COMPUTE_PGM_RSRC2:TGID_Y_EN: 0
; COMPUTE_PGM_RSRC2:TGID_Z_EN: 0
; COMPUTE_PGM_RSRC2:TIDIG_COMP_CNT: 0
; COMPUTE_PGM_RSRC3_GFX90A:ACCUM_OFFSET: 11
; COMPUTE_PGM_RSRC3_GFX90A:TG_SPLIT: 0
	.section	.text._ZN5aiter24add_rmsnorm_quant_kernelIDF16_DB8_Li256ELi16ELb0ELb1ELb0ELi1EEEvPT0_PT_PfS5_S5_S5_diiiiiiib,"axG",@progbits,_ZN5aiter24add_rmsnorm_quant_kernelIDF16_DB8_Li256ELi16ELb0ELb1ELb0ELi1EEEvPT0_PT_PfS5_S5_S5_diiiiiiib,comdat
	.protected	_ZN5aiter24add_rmsnorm_quant_kernelIDF16_DB8_Li256ELi16ELb0ELb1ELb0ELi1EEEvPT0_PT_PfS5_S5_S5_diiiiiiib ; -- Begin function _ZN5aiter24add_rmsnorm_quant_kernelIDF16_DB8_Li256ELi16ELb0ELb1ELb0ELi1EEEvPT0_PT_PfS5_S5_S5_diiiiiiib
	.globl	_ZN5aiter24add_rmsnorm_quant_kernelIDF16_DB8_Li256ELi16ELb0ELb1ELb0ELi1EEEvPT0_PT_PfS5_S5_S5_diiiiiiib
	.p2align	8
	.type	_ZN5aiter24add_rmsnorm_quant_kernelIDF16_DB8_Li256ELi16ELb0ELb1ELb0ELi1EEEvPT0_PT_PfS5_S5_S5_diiiiiiib,@function
_ZN5aiter24add_rmsnorm_quant_kernelIDF16_DB8_Li256ELi16ELb0ELb1ELb0ELi1EEEvPT0_PT_PfS5_S5_S5_diiiiiiib: ; @_ZN5aiter24add_rmsnorm_quant_kernelIDF16_DB8_Li256ELi16ELb0ELb1ELb0ELi1EEEvPT0_PT_PfS5_S5_S5_diiiiiiib
; %bb.0:
	s_load_dwordx4 s[8:11], s[4:5], 0x38
	s_mov_b32 s7, 0
	s_waitcnt lgkmcnt(0)
	s_ashr_i32 s0, s8, 31
	v_mov_b32_e32 v2, s8
	v_mov_b32_e32 v3, s0
	v_cmp_ge_i64_e32 vcc, s[6:7], v[2:3]
	s_cbranch_vccnz .LBB79_49
; %bb.1:
	s_load_dwordx4 s[12:15], s[4:5], 0x10
	s_load_dwordx4 s[0:3], s[4:5], 0x28
	s_ashr_i32 s11, s10, 31
	s_mul_hi_u32 s16, s10, s6
	s_mul_i32 s11, s11, s6
	s_add_i32 s11, s16, s11
	s_mul_i32 s10, s10, s6
	s_lshl_b64 s[10:11], s[10:11], 1
	s_waitcnt lgkmcnt(0)
	s_add_u32 s16, s14, s10
	s_addc_u32 s10, s15, s11
	s_add_i32 s11, s9, 1
	s_lshr_b32 s14, s11, 31
	s_add_i32 s11, s11, s14
	s_lshl_b32 s11, s11, 1
	s_and_b32 s18, s11, -4
	s_and_b32 s17, s10, 0xffff
	s_mov_b32 s19, 0x20000
	v_lshlrev_b32_e32 v1, 5, v0
	buffer_load_dwordx4 v[10:13], v1, s[16:19], 0 offen
	buffer_load_dwordx4 v[26:29], v1, s[16:19], 16 offen
	s_mov_b32 s16, s0
	s_and_b32 s17, s1, 0xffff
	buffer_load_dwordx4 v[6:9], v1, s[16:19], 0 offen
	buffer_load_dwordx4 v[2:5], v1, s[16:19], 16 offen
	v_and_b32_e32 v42, 63, v0
	v_cmp_eq_u32_e64 s[0:1], 63, v42
	s_waitcnt vmcnt(3)
	v_cvt_f32_f16_e32 v24, v10
	v_cvt_f32_f16_sdwa v25, v10 dst_sel:DWORD dst_unused:UNUSED_PAD src0_sel:WORD_1
	v_cvt_f32_f16_e32 v22, v11
	v_cvt_f32_f16_sdwa v23, v11 dst_sel:DWORD dst_unused:UNUSED_PAD src0_sel:WORD_1
	;; [unrolled: 2-line block ×3, first 2 shown]
	s_waitcnt vmcnt(2)
	v_cvt_f32_f16_e32 v16, v26
	v_cvt_f32_f16_sdwa v17, v26 dst_sel:DWORD dst_unused:UNUSED_PAD src0_sel:WORD_1
	v_cvt_f32_f16_e32 v14, v27
	v_cvt_f32_f16_sdwa v15, v27 dst_sel:DWORD dst_unused:UNUSED_PAD src0_sel:WORD_1
	v_pk_mul_f32 v[26:27], v[24:25], v[24:25]
	v_cvt_f32_f16_e32 v18, v13
	v_cvt_f32_f16_sdwa v19, v13 dst_sel:DWORD dst_unused:UNUSED_PAD src0_sel:WORD_1
	v_cvt_f32_f16_e32 v12, v28
	v_cvt_f32_f16_sdwa v13, v28 dst_sel:DWORD dst_unused:UNUSED_PAD src0_sel:WORD_1
	;; [unrolled: 2-line block ×3, first 2 shown]
	v_pk_mul_f32 v[28:29], v[22:23], v[22:23]
	v_add_f32_e32 v1, v26, v27
	v_add_f32_e32 v1, v28, v1
	v_pk_mul_f32 v[30:31], v[20:21], v[20:21]
	v_add_f32_e32 v1, v29, v1
	v_add_f32_e32 v1, v30, v1
	;; [unrolled: 3-line block ×7, first 2 shown]
	v_add_f32_e32 v1, v41, v1
	s_nop 1
	v_mov_b32_dpp v26, v1 quad_perm:[1,0,3,2] row_mask:0xf bank_mask:0xf
	v_add_f32_e32 v1, v1, v26
	s_nop 1
	v_mov_b32_dpp v26, v1 quad_perm:[2,3,0,1] row_mask:0xf bank_mask:0xf
	v_add_f32_e32 v1, v1, v26
	s_nop 1
	v_mov_b32_dpp v26, v1 row_half_mirror row_mask:0xf bank_mask:0xf
	v_add_f32_e32 v1, v1, v26
	s_nop 1
	v_mov_b32_dpp v26, v1 row_mirror row_mask:0xf bank_mask:0xf
	v_add_f32_e32 v1, v1, v26
	s_nop 1
	v_mov_b32_dpp v26, v1 row_bcast:15 row_mask:0xf bank_mask:0xf
	v_add_f32_e32 v1, v1, v26
	s_nop 1
	v_mov_b32_dpp v26, v1 row_bcast:31 row_mask:0xf bank_mask:0xf
	s_and_saveexec_b64 s[10:11], s[0:1]
	s_cbranch_execz .LBB79_3
; %bb.2:
	v_lshrrev_b32_e32 v27, 4, v0
	v_and_b32_e32 v27, 60, v27
	v_add_f32_e32 v1, v1, v26
	ds_write_b32 v27, v1 offset:16
.LBB79_3:
	s_or_b64 exec, exec, s[10:11]
	v_and_b32_e32 v1, 3, v0
	v_lshlrev_b32_e32 v26, 2, v1
	s_waitcnt lgkmcnt(0)
	s_barrier
	ds_read_b32 v1, v26 offset:16
	v_cvt_f32_i32_e32 v27, s9
	s_waitcnt vmcnt(1)
	v_cvt_f32_f16_sdwa v37, v9 dst_sel:DWORD dst_unused:UNUSED_PAD src0_sel:WORD_1
	v_cvt_f32_f16_e32 v36, v9
	s_waitcnt vmcnt(0)
	v_cvt_f32_f16_sdwa v9, v2 dst_sel:DWORD dst_unused:UNUSED_PAD src0_sel:WORD_1
	s_waitcnt lgkmcnt(0)
	v_mov_b32_dpp v28, v1 quad_perm:[1,0,3,2] row_mask:0xf bank_mask:0xf
	v_add_f32_e32 v1, v1, v28
	s_nop 1
	v_mov_b32_dpp v28, v1 quad_perm:[2,3,0,1] row_mask:0xf bank_mask:0xf
	v_add_f32_e32 v1, v1, v28
	v_div_scale_f32 v28, s[10:11], v27, v27, v1
	v_rcp_f32_e32 v29, v28
	v_div_scale_f32 v30, vcc, v1, v27, v1
	s_load_dwordx2 s[10:11], s[4:5], 0x4c
	s_load_dword s14, s[4:5], 0x54
	v_fma_f32 v31, -v28, v29, 1.0
	v_fmac_f32_e32 v29, v31, v29
	v_mul_f32_e32 v31, v30, v29
	v_fma_f32 v32, -v28, v31, v30
	v_fmac_f32_e32 v31, v32, v29
	v_fma_f32 v28, -v28, v31, v30
	v_div_fmas_f32 v28, v28, v29, v31
	v_div_fixup_f32 v1, v28, v27, v1
	v_cvt_f64_f32_e32 v[28:29], v1
	v_add_f64 v[28:29], v[28:29], s[2:3]
	v_cvt_f32_f64_e32 v1, v[28:29]
	s_mov_b32 s2, 0x800000
	v_mul_f32_e32 v27, 0x4b800000, v1
	v_cmp_gt_f32_e32 vcc, s2, v1
	v_cndmask_b32_e32 v1, v1, v27, vcc
	v_rsq_f32_e32 v27, v1
	v_lshlrev_b32_e32 v1, 4, v0
	s_waitcnt lgkmcnt(0)
	s_cmp_lg_u32 s11, 0
	v_mul_f32_e32 v28, 0x45800000, v27
	v_cndmask_b32_e32 v28, v27, v28, vcc
	v_mov_b32_e32 v29, v28
	;;#ASMSTART
	v_pk_mul_f32 v[24:25], v[24:25], v[28:29]
	;;#ASMEND
	;;#ASMSTART
	v_pk_mul_f32 v[22:23], v[22:23], v[28:29]
	;;#ASMEND
	;; [unrolled: 3-line block ×8, first 2 shown]
	v_cvt_f32_f16_sdwa v11, v6 dst_sel:DWORD dst_unused:UNUSED_PAD src0_sel:WORD_1
	v_cvt_f32_f16_e32 v10, v6
	v_cvt_f32_f16_sdwa v13, v7 dst_sel:DWORD dst_unused:UNUSED_PAD src0_sel:WORD_1
	v_cvt_f32_f16_e32 v12, v7
	;; [unrolled: 2-line block ×3, first 2 shown]
	;;#ASMSTART
	v_pk_mul_f32 v[16:17], v[24:25], v[10:11]
	;;#ASMEND
	;;#ASMSTART
	v_pk_mul_f32 v[14:15], v[22:23], v[12:13]
	;;#ASMEND
	;; [unrolled: 3-line block ×4, first 2 shown]
	v_cvt_f32_f16_e32 v8, v2
	v_cvt_f32_f16_sdwa v19, v3 dst_sel:DWORD dst_unused:UNUSED_PAD src0_sel:WORD_1
	v_cvt_f32_f16_e32 v18, v3
	v_cvt_f32_f16_sdwa v3, v4 dst_sel:DWORD dst_unused:UNUSED_PAD src0_sel:WORD_1
	v_cvt_f32_f16_e32 v2, v4
	v_cvt_f32_f16_e32 v20, v5
	v_cvt_f32_f16_sdwa v21, v5 dst_sel:DWORD dst_unused:UNUSED_PAD src0_sel:WORD_1
	;;#ASMSTART
	v_pk_mul_f32 v[12:13], v[30:31], v[8:9]
	;;#ASMEND
	;;#ASMSTART
	v_pk_mul_f32 v[8:9], v[32:33], v[18:19]
	;;#ASMEND
	;; [unrolled: 3-line block ×4, first 2 shown]
	v_and_b32_e32 v18, 0x7fffffff, v16
	v_mov_b32_e32 v20, 0x2edbe6ff
	v_and_b32_e32 v19, 0x7fffffff, v17
	;;#ASMSTART
	v_max3_f32 v18, v20, v18, v19

	;;#ASMEND
	v_and_b32_e32 v20, 0x7fffffff, v15
	v_and_b32_e32 v19, 0x7fffffff, v14
	;;#ASMSTART
	v_max3_f32 v18, v18, v19, v20

	;;#ASMEND
	v_and_b32_e32 v20, 0x7fffffff, v11
	;; [unrolled: 6-line block ×7, first 2 shown]
	v_and_b32_e32 v19, 0x7fffffff, v2
	;;#ASMSTART
	v_max3_f32 v20, v18, v19, v20

	;;#ASMEND
	s_cbranch_scc0 .LBB79_10
; %bb.4:
	s_ashr_i32 s15, s11, 31
	s_lshr_b32 s2, s15, 28
	s_add_i32 s2, s11, s2
	s_ashr_i32 s18, s2, 4
	s_cmp_lt_i32 s18, 16
	s_cbranch_scc1 .LBB79_11
; %bb.5:
	s_cmp_lt_i32 s18, 32
	s_cbranch_scc1 .LBB79_12
; %bb.6:
	;; [unrolled: 3-line block ×3, first 2 shown]
	s_cmp_eq_u32 s18, 64
	v_mov_b32_e32 v18, v20
	s_cbranch_scc0 .LBB79_9
; %bb.8:
	s_nop 0
	v_mov_b32_dpp v18, v20 quad_perm:[1,0,3,2] row_mask:0xf bank_mask:0xf
	v_cmp_gt_f32_e32 vcc, v20, v18
	v_cndmask_b32_e32 v18, v18, v20, vcc
	v_bfrev_b32_e32 v21, 0.5
	s_nop 0
	v_mov_b32_dpp v19, v18 quad_perm:[2,3,0,1] row_mask:0xf bank_mask:0xf
	v_cmp_gt_f32_e32 vcc, v18, v19
	v_cndmask_b32_e32 v18, v19, v18, vcc
	s_nop 1
	v_mov_b32_dpp v19, v18 row_ror:4 row_mask:0xf bank_mask:0xf
	v_cmp_gt_f32_e32 vcc, v18, v19
	v_cndmask_b32_e32 v18, v19, v18, vcc
	s_nop 1
	v_mov_b32_dpp v19, v18 row_ror:8 row_mask:0xf bank_mask:0xf
	v_cmp_gt_f32_e32 vcc, v18, v19
	v_cndmask_b32_e32 v18, v19, v18, vcc
	s_nop 1
	v_mov_b32_dpp v19, v18 row_bcast:15 row_mask:0xf bank_mask:0xf
	v_cmp_gt_f32_e32 vcc, v18, v19
	v_cndmask_b32_e32 v18, v19, v18, vcc
	s_nop 1
	v_mov_b32_dpp v19, v18 row_bcast:31 row_mask:0xf bank_mask:0xf
	v_cmp_gt_f32_e32 vcc, v18, v19
	v_cndmask_b32_e32 v18, v19, v18, vcc
	v_mbcnt_lo_u32_b32 v19, -1, 0
	v_mbcnt_hi_u32_b32 v19, -1, v19
	v_lshl_or_b32 v19, v19, 2, v21
	ds_bpermute_b32 v18, v19, v18
.LBB79_9:
	s_mov_b64 s[2:3], 0
	s_branch .LBB79_14
.LBB79_10:
	s_mov_b64 s[2:3], 0
                                        ; implicit-def: $vgpr21
                                        ; implicit-def: $vgpr18_vgpr19
	s_cbranch_execnz .LBB79_43
	s_branch .LBB79_46
.LBB79_11:
                                        ; implicit-def: $vgpr18
	s_branch .LBB79_21
.LBB79_12:
                                        ; implicit-def: $vgpr18
	s_branch .LBB79_18
.LBB79_13:
	s_mov_b64 s[2:3], -1
                                        ; implicit-def: $vgpr18
.LBB79_14:
	s_andn2_b64 vcc, exec, s[2:3]
	s_cbranch_vccnz .LBB79_17
; %bb.15:
	s_cmp_eq_u32 s18, 32
	s_waitcnt lgkmcnt(0)
	v_mov_b32_e32 v18, v20
	s_cbranch_scc0 .LBB79_17
; %bb.16:
	s_nop 0
	v_mov_b32_dpp v18, v20 quad_perm:[1,0,3,2] row_mask:0xf bank_mask:0xf
	v_cmp_gt_f32_e32 vcc, v20, v18
	v_cndmask_b32_e32 v18, v18, v20, vcc
	v_mov_b32_e32 v21, 0x7c
	s_nop 0
	v_mov_b32_dpp v19, v18 quad_perm:[2,3,0,1] row_mask:0xf bank_mask:0xf
	v_cmp_gt_f32_e32 vcc, v18, v19
	v_cndmask_b32_e32 v18, v19, v18, vcc
	s_nop 1
	v_mov_b32_dpp v19, v18 row_half_mirror row_mask:0xf bank_mask:0xf
	v_cmp_gt_f32_e32 vcc, v18, v19
	v_cndmask_b32_e32 v18, v19, v18, vcc
	s_nop 1
	v_mov_b32_dpp v19, v18 row_mirror row_mask:0xf bank_mask:0xf
	v_cmp_gt_f32_e32 vcc, v18, v19
	v_cndmask_b32_e32 v18, v19, v18, vcc
	s_nop 1
	v_mov_b32_dpp v19, v18 row_bcast:15 row_mask:0xa bank_mask:0xf
	v_cmp_gt_f32_e32 vcc, v18, v19
	v_cndmask_b32_e32 v18, v19, v18, vcc
	v_mbcnt_lo_u32_b32 v19, -1, 0
	v_mbcnt_hi_u32_b32 v19, -1, v19
	v_lshl_or_b32 v19, v19, 2, v21
	ds_bpermute_b32 v18, v19, v18
.LBB79_17:
	s_cbranch_execnz .LBB79_20
.LBB79_18:
	s_cmp_eq_u32 s18, 16
	s_waitcnt lgkmcnt(0)
	v_mov_b32_e32 v18, v20
	s_cbranch_scc0 .LBB79_20
; %bb.19:
	s_nop 0
	v_mov_b32_dpp v18, v20 quad_perm:[1,0,3,2] row_mask:0xf bank_mask:0xf
	v_cmp_gt_f32_e32 vcc, v20, v18
	v_cndmask_b32_e32 v18, v18, v20, vcc
	s_nop 1
	v_mov_b32_dpp v19, v18 quad_perm:[2,3,0,1] row_mask:0xf bank_mask:0xf
	v_cmp_gt_f32_e32 vcc, v18, v19
	v_cndmask_b32_e32 v18, v19, v18, vcc
	s_nop 1
	v_mov_b32_dpp v19, v18 row_half_mirror row_mask:0xf bank_mask:0xf
	v_cmp_gt_f32_e32 vcc, v18, v19
	v_cndmask_b32_e32 v18, v19, v18, vcc
	s_nop 1
	v_mov_b32_dpp v19, v18 row_mirror row_mask:0xf bank_mask:0xf
	v_cmp_gt_f32_e32 vcc, v18, v19
	v_cndmask_b32_e32 v18, v19, v18, vcc
.LBB79_20:
	s_cbranch_execnz .LBB79_33
.LBB79_21:
	s_cmp_lt_i32 s18, 4
	s_cbranch_scc1 .LBB79_25
; %bb.22:
	s_cmp_lt_i32 s18, 8
	s_cbranch_scc1 .LBB79_26
; %bb.23:
	s_cmp_eq_u32 s18, 8
	s_waitcnt lgkmcnt(0)
	v_mov_b32_e32 v18, v20
	s_cbranch_scc0 .LBB79_27
; %bb.24:
	s_nop 0
	v_mov_b32_dpp v18, v20 quad_perm:[1,0,3,2] row_mask:0xf bank_mask:0xf
	v_cmp_gt_f32_e32 vcc, v20, v18
	v_cndmask_b32_e32 v18, v18, v20, vcc
	s_nop 1
	v_mov_b32_dpp v19, v18 quad_perm:[2,3,0,1] row_mask:0xf bank_mask:0xf
	v_cmp_gt_f32_e32 vcc, v18, v19
	v_cndmask_b32_e32 v18, v19, v18, vcc
	s_nop 1
	v_mov_b32_dpp v19, v18 row_half_mirror row_mask:0xf bank_mask:0xf
	v_cmp_gt_f32_e32 vcc, v18, v19
	v_cndmask_b32_e32 v18, v19, v18, vcc
	s_cbranch_execz .LBB79_28
	s_branch .LBB79_30
.LBB79_25:
                                        ; implicit-def: $vgpr18
	s_branch .LBB79_31
.LBB79_26:
                                        ; implicit-def: $vgpr18
	s_branch .LBB79_28
.LBB79_27:
	s_cbranch_execnz .LBB79_30
.LBB79_28:
	s_cmp_eq_u32 s18, 4
	s_waitcnt lgkmcnt(0)
	v_mov_b32_e32 v18, v20
	s_cbranch_scc0 .LBB79_30
; %bb.29:
	s_nop 0
	v_mov_b32_dpp v18, v20 quad_perm:[1,0,3,2] row_mask:0xf bank_mask:0xf
	v_cmp_gt_f32_e32 vcc, v20, v18
	v_cndmask_b32_e32 v18, v18, v20, vcc
	s_nop 1
	v_mov_b32_dpp v19, v18 quad_perm:[2,3,0,1] row_mask:0xf bank_mask:0xf
	v_cmp_gt_f32_e32 vcc, v18, v19
	v_cndmask_b32_e32 v18, v19, v18, vcc
.LBB79_30:
	s_cbranch_execnz .LBB79_33
.LBB79_31:
	s_cmp_lg_u32 s18, 2
	s_waitcnt lgkmcnt(0)
	v_mov_b32_e32 v18, v20
	s_cbranch_scc1 .LBB79_33
; %bb.32:
	s_nop 0
	v_mov_b32_dpp v18, v20 quad_perm:[1,0,3,2] row_mask:0xf bank_mask:0xf
	v_cmp_gt_f32_e32 vcc, v20, v18
	v_cndmask_b32_e32 v18, v18, v20, vcc
.LBB79_33:
	v_cvt_f32_u32_e32 v19, s18
	s_waitcnt lgkmcnt(0)
	v_mul_f32_e32 v21, 0x3b124925, v18
	s_sub_i32 s2, 0, s18
	v_cmp_gt_u32_e32 vcc, s9, v1
	v_rcp_iflag_f32_e32 v19, v19
	s_mov_b64 s[16:17], 0
	v_mul_f32_e32 v18, 0x4f7ffffe, v19
	v_cvt_u32_f32_e32 v18, v18
	v_mul_lo_u32 v19, s2, v18
	v_mul_hi_u32 v19, v18, v19
	v_add_u32_e32 v18, v18, v19
	v_mul_hi_u32 v18, v0, v18
	v_mul_lo_u32 v19, v18, s18
	v_sub_u32_e32 v19, v0, v19
	v_add_u32_e32 v22, 1, v18
	v_cmp_le_u32_e64 s[2:3], s18, v19
	v_cndmask_b32_e64 v18, v18, v22, s[2:3]
	v_subrev_u32_e32 v22, s18, v19
	v_cndmask_b32_e64 v19, v19, v22, s[2:3]
	v_add_u32_e32 v22, 1, v18
	v_cmp_le_u32_e64 s[2:3], s18, v19
	v_cndmask_b32_e64 v22, v18, v22, s[2:3]
	v_mul_lo_u32 v18, v22, s18
	v_sub_u32_e32 v18, v0, v18
	v_cmp_eq_u32_e64 s[2:3], 0, v18
	s_and_b64 s[18:19], s[2:3], vcc
	s_mov_b64 s[2:3], 0
                                        ; implicit-def: $vgpr18_vgpr19
	s_and_saveexec_b64 s[20:21], s[18:19]
	s_xor_b64 s[18:19], exec, s[20:21]
	s_cbranch_execz .LBB79_42
; %bb.34:
	s_bitcmp0_b32 s14, 0
	s_cbranch_scc0 .LBB79_39
; %bb.35:
	s_ashr_i32 s2, s9, 31
	s_mul_hi_u32 s3, s9, s6
	s_mul_i32 s2, s2, s6
	s_add_i32 s21, s3, s2
	s_mul_i32 s20, s9, s6
	s_mov_b32 s14, s11
	s_or_b64 s[2:3], s[20:21], s[14:15]
	s_mov_b32 s2, 0
	s_cmp_lg_u64 s[2:3], 0
	s_cbranch_scc0 .LBB79_50
; %bb.36:
	s_add_u32 s2, s14, s15
	s_mov_b32 s24, s15
	s_mov_b32 s25, s15
	s_addc_u32 s3, s15, s15
	s_xor_b64 s[26:27], s[2:3], s[24:25]
	v_cvt_f32_u32_e32 v18, s26
	v_cvt_f32_u32_e32 v19, s27
	s_sub_u32 s2, 0, s26
	s_subb_u32 s3, 0, s27
	v_madmk_f32 v18, v19, 0x4f800000, v18
	v_rcp_f32_e32 v18, v18
	v_mul_f32_e32 v18, 0x5f7ffffc, v18
	v_mul_f32_e32 v19, 0x2f800000, v18
	v_trunc_f32_e32 v19, v19
	v_madmk_f32 v18, v19, 0xcf800000, v18
	v_cvt_u32_f32_e32 v19, v19
	v_cvt_u32_f32_e32 v18, v18
	v_readfirstlane_b32 s11, v19
	v_readfirstlane_b32 s15, v18
	s_mul_i32 s28, s2, s11
	s_mul_hi_u32 s30, s2, s15
	s_mul_i32 s29, s3, s15
	s_add_i32 s28, s30, s28
	s_add_i32 s28, s28, s29
	s_mul_i32 s31, s2, s15
	s_mul_hi_u32 s29, s15, s28
	s_mul_i32 s30, s15, s28
	s_mul_hi_u32 s15, s15, s31
	s_add_u32 s15, s15, s30
	s_addc_u32 s29, 0, s29
	s_mul_hi_u32 s33, s11, s31
	s_mul_i32 s31, s11, s31
	s_add_u32 s15, s15, s31
	s_mul_hi_u32 s30, s11, s28
	s_addc_u32 s15, s29, s33
	s_addc_u32 s29, s30, 0
	s_mul_i32 s28, s11, s28
	s_add_u32 s15, s15, s28
	s_addc_u32 s28, 0, s29
	v_add_co_u32_e32 v18, vcc, s15, v18
	s_cmp_lg_u64 vcc, 0
	s_addc_u32 s11, s11, s28
	v_readfirstlane_b32 s28, v18
	s_mul_i32 s15, s2, s11
	s_mul_hi_u32 s29, s2, s28
	s_add_i32 s15, s29, s15
	s_mul_i32 s3, s3, s28
	s_add_i32 s15, s15, s3
	s_mul_i32 s2, s2, s28
	s_mul_hi_u32 s29, s11, s2
	s_mul_i32 s30, s11, s2
	s_mul_i32 s33, s28, s15
	s_mul_hi_u32 s2, s28, s2
	s_mul_hi_u32 s31, s28, s15
	s_add_u32 s2, s2, s33
	s_addc_u32 s28, 0, s31
	s_add_u32 s2, s2, s30
	s_mul_hi_u32 s3, s11, s15
	s_addc_u32 s2, s28, s29
	s_addc_u32 s3, s3, 0
	s_mul_i32 s15, s11, s15
	s_add_u32 s2, s2, s15
	s_addc_u32 s3, 0, s3
	v_add_co_u32_e32 v18, vcc, s2, v18
	s_cmp_lg_u64 vcc, 0
	s_addc_u32 s11, s11, s3
	s_ashr_i32 s28, s21, 31
	s_add_u32 s2, s20, s28
	s_mov_b32 s29, s28
	s_addc_u32 s3, s21, s28
	s_xor_b64 s[30:31], s[2:3], s[28:29]
	v_readfirstlane_b32 s15, v18
	s_mul_i32 s3, s30, s11
	s_mul_hi_u32 s21, s30, s15
	s_mul_hi_u32 s2, s30, s11
	s_add_u32 s3, s21, s3
	s_addc_u32 s2, 0, s2
	s_mul_hi_u32 s33, s31, s15
	s_mul_i32 s15, s31, s15
	s_add_u32 s3, s3, s15
	s_mul_hi_u32 s21, s31, s11
	s_addc_u32 s2, s2, s33
	s_addc_u32 s3, s21, 0
	s_mul_i32 s11, s31, s11
	s_add_u32 s11, s2, s11
	s_addc_u32 s15, 0, s3
	s_mul_i32 s2, s26, s15
	s_mul_hi_u32 s3, s26, s11
	s_add_i32 s2, s3, s2
	s_mul_i32 s3, s27, s11
	s_add_i32 s21, s2, s3
	s_mul_i32 s3, s26, s11
	v_mov_b32_e32 v18, s3
	s_sub_i32 s2, s31, s21
	v_sub_co_u32_e32 v18, vcc, s30, v18
	s_cmp_lg_u64 vcc, 0
	s_subb_u32 s30, s2, s27
	v_subrev_co_u32_e64 v19, s[2:3], s26, v18
	s_cmp_lg_u64 s[2:3], 0
	s_subb_u32 s30, s30, 0
	s_cmp_ge_u32 s30, s27
	s_cselect_b32 s33, -1, 0
	v_cmp_le_u32_e64 s[2:3], s26, v19
	s_cmp_eq_u32 s30, s27
	v_cndmask_b32_e64 v19, 0, -1, s[2:3]
	v_mov_b32_e32 v23, s33
	s_cselect_b64 s[2:3], -1, 0
	v_cndmask_b32_e64 v19, v23, v19, s[2:3]
	s_add_u32 s2, s11, 1
	s_addc_u32 s30, s15, 0
	s_add_u32 s3, s11, 2
	s_addc_u32 s33, s15, 0
	v_mov_b32_e32 v23, s2
	v_mov_b32_e32 v24, s3
	v_cmp_ne_u32_e64 s[2:3], 0, v19
	v_cndmask_b32_e64 v19, v23, v24, s[2:3]
	v_mov_b32_e32 v23, s30
	v_mov_b32_e32 v24, s33
	s_cmp_lg_u64 vcc, 0
	v_cndmask_b32_e64 v23, v23, v24, s[2:3]
	s_subb_u32 s2, s31, s21
	s_cmp_ge_u32 s2, s27
	s_cselect_b32 s3, -1, 0
	v_cmp_le_u32_e32 vcc, s26, v18
	s_cmp_eq_u32 s2, s27
	v_cndmask_b32_e64 v18, 0, -1, vcc
	v_mov_b32_e32 v24, s3
	s_cselect_b64 vcc, -1, 0
	v_cndmask_b32_e32 v18, v24, v18, vcc
	v_mov_b32_e32 v24, s15
	v_cmp_ne_u32_e32 vcc, 0, v18
	v_cndmask_b32_e32 v18, v24, v23, vcc
	v_mov_b32_e32 v23, s11
	v_cndmask_b32_e32 v19, v23, v19, vcc
	s_xor_b64 s[2:3], s[28:29], s[24:25]
	v_xor_b32_e32 v19, s2, v19
	v_xor_b32_e32 v23, s3, v18
	v_mov_b32_e32 v24, s3
	v_subrev_co_u32_e32 v18, vcc, s2, v19
	v_subb_co_u32_e32 v19, vcc, v23, v24, vcc
	s_cbranch_execnz .LBB79_38
.LBB79_37:
	v_cvt_f32_u32_e32 v18, s14
	s_sub_i32 s2, 0, s14
	s_mov_b32 s3, 0
	v_rcp_iflag_f32_e32 v18, v18
	v_mul_f32_e32 v18, 0x4f7ffffe, v18
	v_cvt_u32_f32_e32 v18, v18
	v_readfirstlane_b32 s11, v18
	s_mul_i32 s2, s2, s11
	s_mul_hi_u32 s2, s11, s2
	s_add_i32 s11, s11, s2
	s_mul_hi_u32 s2, s20, s11
	s_mul_i32 s15, s2, s14
	s_sub_i32 s15, s20, s15
	s_add_i32 s11, s2, 1
	s_sub_i32 s20, s15, s14
	s_cmp_ge_u32 s15, s14
	s_cselect_b32 s2, s11, s2
	s_cselect_b32 s15, s20, s15
	s_add_i32 s11, s2, 1
	s_cmp_ge_u32 s15, s14
	s_cselect_b32 s2, s11, s2
	v_pk_mov_b32 v[18:19], s[2:3], s[2:3] op_sel:[0,1]
.LBB79_38:
	v_add_co_u32_e32 v18, vcc, v18, v22
	v_addc_co_u32_e32 v19, vcc, 0, v19, vcc
	s_branch .LBB79_41
.LBB79_39:
                                        ; implicit-def: $vgpr18_vgpr19
	s_cbranch_execz .LBB79_41
; %bb.40:
	v_mul_lo_u32 v18, v22, s8
	v_ashrrev_i32_e32 v19, 31, v18
	v_mov_b32_e32 v22, s7
	v_add_co_u32_e32 v18, vcc, s6, v18
	v_addc_co_u32_e32 v19, vcc, v19, v22, vcc
.LBB79_41:
	s_mov_b64 s[2:3], exec
.LBB79_42:
	s_or_b64 exec, exec, s[18:19]
	s_and_b64 vcc, exec, s[16:17]
	s_cbranch_vccz .LBB79_46
.LBB79_43:
	v_mov_b32_dpp v18, v20 quad_perm:[1,0,3,2] row_mask:0xf bank_mask:0xf
	v_cmp_gt_f32_e32 vcc, v20, v18
	v_cndmask_b32_e32 v18, v18, v20, vcc
	s_nop 1
	v_mov_b32_dpp v19, v18 quad_perm:[2,3,0,1] row_mask:0xf bank_mask:0xf
	v_cmp_gt_f32_e32 vcc, v18, v19
	v_cndmask_b32_e32 v18, v19, v18, vcc
	s_nop 1
	v_mov_b32_dpp v19, v18 row_half_mirror row_mask:0xf bank_mask:0xf
	v_cmp_gt_f32_e32 vcc, v18, v19
	v_cndmask_b32_e32 v18, v19, v18, vcc
	s_nop 1
	v_mov_b32_dpp v19, v18 row_mirror row_mask:0xf bank_mask:0xf
	v_cmp_gt_f32_e32 vcc, v18, v19
	v_cndmask_b32_e32 v18, v19, v18, vcc
	s_nop 1
	v_mov_b32_dpp v19, v18 row_bcast:15 row_mask:0xf bank_mask:0xf
	v_cmp_gt_f32_e32 vcc, v18, v19
	v_cndmask_b32_e32 v18, v19, v18, vcc
	s_nop 1
	v_mov_b32_dpp v19, v18 row_bcast:31 row_mask:0xf bank_mask:0xf
	s_and_saveexec_b64 s[2:3], s[0:1]
	s_cbranch_execz .LBB79_45
; %bb.44:
	v_lshrrev_b32_e32 v20, 4, v0
	v_cmp_gt_f32_e32 vcc, v18, v19
	v_and_b32_e32 v20, 60, v20
	v_cndmask_b32_e32 v18, v19, v18, vcc
	ds_write_b32 v20, v18
.LBB79_45:
	s_or_b64 exec, exec, s[2:3]
	s_waitcnt lgkmcnt(0)
	s_barrier
	ds_read_b32 v18, v26
	v_cmp_eq_u32_e64 s[2:3], 0, v0
	s_waitcnt lgkmcnt(0)
	v_mov_b32_dpp v19, v18 quad_perm:[1,0,3,2] row_mask:0xf bank_mask:0xf
	v_cmp_gt_f32_e32 vcc, v18, v19
	v_cndmask_b32_e32 v18, v19, v18, vcc
	s_nop 1
	v_mov_b32_dpp v19, v18 quad_perm:[2,3,0,1] row_mask:0xf bank_mask:0xf
	v_cmp_gt_f32_e32 vcc, v18, v19
	v_cndmask_b32_e32 v18, v19, v18, vcc
	v_mul_f32_e32 v21, 0x3b124925, v18
	v_pk_mov_b32 v[18:19], s[6:7], s[6:7] op_sel:[0,1]
.LBB79_46:
	s_and_saveexec_b64 s[0:1], s[2:3]
	s_cbranch_execz .LBB79_48
; %bb.47:
	v_lshlrev_b64 v[18:19], 2, v[18:19]
	v_mov_b32_e32 v0, s13
	v_add_co_u32_e32 v18, vcc, s12, v18
	v_addc_co_u32_e32 v19, vcc, v0, v19, vcc
	global_store_dword v[18:19], v21, off
.LBB79_48:
	s_or_b64 exec, exec, s[0:1]
	s_add_i32 s2, s9, 3
	s_load_dwordx2 s[0:1], s[4:5], 0x0
	s_ashr_i32 s3, s2, 31
	s_lshr_b32 s3, s3, 30
	s_add_i32 s2, s2, s3
	s_ashr_i32 s3, s10, 31
	s_mul_hi_u32 s4, s10, s6
	s_mul_i32 s3, s3, s6
	;;#ASMSTART
	v_rcp_f32 v18, v21
	;;#ASMEND
	v_mov_b32_e32 v19, v18
	;;#ASMSTART
	v_pk_mul_f32 v[16:17], v[16:17], v[18:19]
	;;#ASMEND
	s_and_b32 s2, s2, -4
	s_add_i32 s4, s4, s3
	s_mul_i32 s3, s10, s6
	v_mov_b32_e32 v0, 0xc3e00000
	v_mov_b32_e32 v20, 0x43e00000
	;;#ASMSTART
	v_med3_f32 v16, v16, v0, v20
v_med3_f32 v17, v17, v0, v20
v_cvt_pk_fp8_f32 v21, v16, v17
	;;#ASMEND
	;;#ASMSTART
	v_pk_mul_f32 v[14:15], v[14:15], v[18:19]
	;;#ASMEND
	s_waitcnt lgkmcnt(0)
	s_add_u32 s0, s0, s3
	;;#ASMSTART
	v_med3_f32 v14, v14, v0, v20
v_med3_f32 v15, v15, v0, v20
v_cvt_pk_fp8_f32 v16, v14, v15
	;;#ASMEND
	;;#ASMSTART
	v_pk_mul_f32 v[10:11], v[10:11], v[18:19]
	;;#ASMEND
	s_addc_u32 s1, s1, s4
	s_mov_b32 s4, 0x5040100
	;;#ASMSTART
	v_med3_f32 v10, v10, v0, v20
v_med3_f32 v11, v11, v0, v20
v_cvt_pk_fp8_f32 v15, v10, v11
	;;#ASMEND
	;;#ASMSTART
	v_pk_mul_f32 v[6:7], v[6:7], v[18:19]
	;;#ASMEND
	v_perm_b32 v14, v16, v21, s4
	s_mov_b32 s4, 0x1060504
	;;#ASMSTART
	v_med3_f32 v6, v6, v0, v20
v_med3_f32 v7, v7, v0, v20
v_cvt_pk_fp8_f32 v10, v6, v7
	;;#ASMEND
	v_perm_b32 v14, v14, v16, s4
	s_mov_b32 s4, 0x1000504
	;;#ASMSTART
	v_pk_mul_f32 v[6:7], v[12:13], v[18:19]
	;;#ASMEND
	v_perm_b32 v15, v15, v10, s4
	;;#ASMSTART
	v_med3_f32 v6, v6, v0, v20
v_med3_f32 v7, v7, v0, v20
v_cvt_pk_fp8_f32 v10, v6, v7
	;;#ASMEND
	;;#ASMSTART
	v_pk_mul_f32 v[6:7], v[8:9], v[18:19]
	;;#ASMEND
	;;#ASMSTART
	v_med3_f32 v6, v6, v0, v20
v_med3_f32 v7, v7, v0, v20
v_cvt_pk_fp8_f32 v8, v6, v7
	;;#ASMEND
	;;#ASMSTART
	v_pk_mul_f32 v[4:5], v[4:5], v[18:19]
	;;#ASMEND
	;; [unrolled: 8-line block ×3, first 2 shown]
	s_and_b32 s1, s1, 0xffff
	s_mov_b32 s3, 0x20000
	v_perm_b32 v16, v10, v8, s4
	;;#ASMSTART
	v_med3_f32 v2, v2, v0, v20
v_med3_f32 v3, v3, v0, v20
v_cvt_pk_fp8_f32 v0, v2, v3
	;;#ASMEND
	v_perm_b32 v17, v6, v0, s4
	buffer_store_dwordx4 v[14:17], v1, s[0:3], 0 offen
	;;#ASMSTART
	s_nop 0
	;;#ASMEND
.LBB79_49:
	s_endpgm
.LBB79_50:
                                        ; implicit-def: $vgpr18_vgpr19
	s_branch .LBB79_37
	.section	.rodata,"a",@progbits
	.p2align	6, 0x0
	.amdhsa_kernel _ZN5aiter24add_rmsnorm_quant_kernelIDF16_DB8_Li256ELi16ELb0ELb1ELb0ELi1EEEvPT0_PT_PfS5_S5_S5_diiiiiiib
		.amdhsa_group_segment_fixed_size 32
		.amdhsa_private_segment_fixed_size 0
		.amdhsa_kernarg_size 88
		.amdhsa_user_sgpr_count 6
		.amdhsa_user_sgpr_private_segment_buffer 1
		.amdhsa_user_sgpr_dispatch_ptr 0
		.amdhsa_user_sgpr_queue_ptr 0
		.amdhsa_user_sgpr_kernarg_segment_ptr 1
		.amdhsa_user_sgpr_dispatch_id 0
		.amdhsa_user_sgpr_flat_scratch_init 0
		.amdhsa_user_sgpr_kernarg_preload_length 0
		.amdhsa_user_sgpr_kernarg_preload_offset 0
		.amdhsa_user_sgpr_private_segment_size 0
		.amdhsa_uses_dynamic_stack 0
		.amdhsa_system_sgpr_private_segment_wavefront_offset 0
		.amdhsa_system_sgpr_workgroup_id_x 1
		.amdhsa_system_sgpr_workgroup_id_y 0
		.amdhsa_system_sgpr_workgroup_id_z 0
		.amdhsa_system_sgpr_workgroup_info 0
		.amdhsa_system_vgpr_workitem_id 0
		.amdhsa_next_free_vgpr 43
		.amdhsa_next_free_sgpr 34
		.amdhsa_accum_offset 44
		.amdhsa_reserve_vcc 1
		.amdhsa_reserve_flat_scratch 0
		.amdhsa_float_round_mode_32 0
		.amdhsa_float_round_mode_16_64 0
		.amdhsa_float_denorm_mode_32 3
		.amdhsa_float_denorm_mode_16_64 3
		.amdhsa_dx10_clamp 1
		.amdhsa_ieee_mode 1
		.amdhsa_fp16_overflow 0
		.amdhsa_tg_split 0
		.amdhsa_exception_fp_ieee_invalid_op 0
		.amdhsa_exception_fp_denorm_src 0
		.amdhsa_exception_fp_ieee_div_zero 0
		.amdhsa_exception_fp_ieee_overflow 0
		.amdhsa_exception_fp_ieee_underflow 0
		.amdhsa_exception_fp_ieee_inexact 0
		.amdhsa_exception_int_div_zero 0
	.end_amdhsa_kernel
	.section	.text._ZN5aiter24add_rmsnorm_quant_kernelIDF16_DB8_Li256ELi16ELb0ELb1ELb0ELi1EEEvPT0_PT_PfS5_S5_S5_diiiiiiib,"axG",@progbits,_ZN5aiter24add_rmsnorm_quant_kernelIDF16_DB8_Li256ELi16ELb0ELb1ELb0ELi1EEEvPT0_PT_PfS5_S5_S5_diiiiiiib,comdat
.Lfunc_end79:
	.size	_ZN5aiter24add_rmsnorm_quant_kernelIDF16_DB8_Li256ELi16ELb0ELb1ELb0ELi1EEEvPT0_PT_PfS5_S5_S5_diiiiiiib, .Lfunc_end79-_ZN5aiter24add_rmsnorm_quant_kernelIDF16_DB8_Li256ELi16ELb0ELb1ELb0ELi1EEEvPT0_PT_PfS5_S5_S5_diiiiiiib
                                        ; -- End function
	.section	.AMDGPU.csdata,"",@progbits
; Kernel info:
; codeLenInByte = 3616
; NumSgprs: 38
; NumVgprs: 43
; NumAgprs: 0
; TotalNumVgprs: 43
; ScratchSize: 0
; MemoryBound: 0
; FloatMode: 240
; IeeeMode: 1
; LDSByteSize: 32 bytes/workgroup (compile time only)
; SGPRBlocks: 4
; VGPRBlocks: 5
; NumSGPRsForWavesPerEU: 38
; NumVGPRsForWavesPerEU: 43
; AccumOffset: 44
; Occupancy: 8
; WaveLimiterHint : 0
; COMPUTE_PGM_RSRC2:SCRATCH_EN: 0
; COMPUTE_PGM_RSRC2:USER_SGPR: 6
; COMPUTE_PGM_RSRC2:TRAP_HANDLER: 0
; COMPUTE_PGM_RSRC2:TGID_X_EN: 1
; COMPUTE_PGM_RSRC2:TGID_Y_EN: 0
; COMPUTE_PGM_RSRC2:TGID_Z_EN: 0
; COMPUTE_PGM_RSRC2:TIDIG_COMP_CNT: 0
; COMPUTE_PGM_RSRC3_GFX90A:ACCUM_OFFSET: 10
; COMPUTE_PGM_RSRC3_GFX90A:TG_SPLIT: 0
	.section	.text._ZN5aiter24add_rmsnorm_quant_kernelItDB8_Li256ELi16ELb0ELb1ELb0ELi1EEEvPT0_PT_PfS5_S5_S5_diiiiiiib,"axG",@progbits,_ZN5aiter24add_rmsnorm_quant_kernelItDB8_Li256ELi16ELb0ELb1ELb0ELi1EEEvPT0_PT_PfS5_S5_S5_diiiiiiib,comdat
	.protected	_ZN5aiter24add_rmsnorm_quant_kernelItDB8_Li256ELi16ELb0ELb1ELb0ELi1EEEvPT0_PT_PfS5_S5_S5_diiiiiiib ; -- Begin function _ZN5aiter24add_rmsnorm_quant_kernelItDB8_Li256ELi16ELb0ELb1ELb0ELi1EEEvPT0_PT_PfS5_S5_S5_diiiiiiib
	.globl	_ZN5aiter24add_rmsnorm_quant_kernelItDB8_Li256ELi16ELb0ELb1ELb0ELi1EEEvPT0_PT_PfS5_S5_S5_diiiiiiib
	.p2align	8
	.type	_ZN5aiter24add_rmsnorm_quant_kernelItDB8_Li256ELi16ELb0ELb1ELb0ELi1EEEvPT0_PT_PfS5_S5_S5_diiiiiiib,@function
_ZN5aiter24add_rmsnorm_quant_kernelItDB8_Li256ELi16ELb0ELb1ELb0ELi1EEEvPT0_PT_PfS5_S5_S5_diiiiiiib: ; @_ZN5aiter24add_rmsnorm_quant_kernelItDB8_Li256ELi16ELb0ELb1ELb0ELi1EEEvPT0_PT_PfS5_S5_S5_diiiiiiib
; %bb.0:
	s_load_dwordx4 s[8:11], s[4:5], 0x38
	s_mov_b32 s7, 0
	s_waitcnt lgkmcnt(0)
	s_ashr_i32 s0, s8, 31
	v_mov_b32_e32 v2, s8
	v_mov_b32_e32 v3, s0
	v_cmp_ge_i64_e32 vcc, s[6:7], v[2:3]
	s_cbranch_vccnz .LBB80_49
; %bb.1:
	s_load_dwordx4 s[12:15], s[4:5], 0x10
	s_load_dwordx4 s[0:3], s[4:5], 0x28
	s_ashr_i32 s11, s10, 31
	s_mul_hi_u32 s16, s10, s6
	s_mul_i32 s11, s11, s6
	s_add_i32 s11, s16, s11
	s_mul_i32 s10, s10, s6
	s_lshl_b64 s[10:11], s[10:11], 1
	s_waitcnt lgkmcnt(0)
	s_add_u32 s16, s14, s10
	s_addc_u32 s10, s15, s11
	s_add_i32 s11, s9, 1
	s_lshr_b32 s14, s11, 31
	s_add_i32 s11, s11, s14
	s_lshl_b32 s11, s11, 1
	s_and_b32 s18, s11, -4
	s_and_b32 s17, s10, 0xffff
	s_mov_b32 s19, 0x20000
	v_lshlrev_b32_e32 v1, 5, v0
	buffer_load_dwordx4 v[10:13], v1, s[16:19], 0 offen
	buffer_load_dwordx4 v[26:29], v1, s[16:19], 16 offen
	s_mov_b32 s16, s0
	s_and_b32 s17, s1, 0xffff
	buffer_load_dwordx4 v[6:9], v1, s[16:19], 0 offen
	buffer_load_dwordx4 v[2:5], v1, s[16:19], 16 offen
	v_and_b32_e32 v42, 63, v0
	v_cmp_eq_u32_e64 s[0:1], 63, v42
	s_waitcnt vmcnt(3)
	v_cvt_f32_u32_sdwa v25, v10 dst_sel:DWORD dst_unused:UNUSED_PAD src0_sel:WORD_1
	v_cvt_f32_u32_sdwa v24, v10 dst_sel:DWORD dst_unused:UNUSED_PAD src0_sel:WORD_0
	v_cvt_f32_u32_sdwa v23, v11 dst_sel:DWORD dst_unused:UNUSED_PAD src0_sel:WORD_1
	v_cvt_f32_u32_sdwa v22, v11 dst_sel:DWORD dst_unused:UNUSED_PAD src0_sel:WORD_0
	;; [unrolled: 2-line block ×3, first 2 shown]
	s_waitcnt vmcnt(2)
	v_cvt_f32_u32_sdwa v17, v26 dst_sel:DWORD dst_unused:UNUSED_PAD src0_sel:WORD_1
	v_cvt_f32_u32_sdwa v16, v26 dst_sel:DWORD dst_unused:UNUSED_PAD src0_sel:WORD_0
	v_cvt_f32_u32_sdwa v15, v27 dst_sel:DWORD dst_unused:UNUSED_PAD src0_sel:WORD_1
	v_cvt_f32_u32_sdwa v14, v27 dst_sel:DWORD dst_unused:UNUSED_PAD src0_sel:WORD_0
	v_pk_mul_f32 v[26:27], v[24:25], v[24:25]
	v_cvt_f32_u32_sdwa v19, v13 dst_sel:DWORD dst_unused:UNUSED_PAD src0_sel:WORD_1
	v_cvt_f32_u32_sdwa v18, v13 dst_sel:DWORD dst_unused:UNUSED_PAD src0_sel:WORD_0
	v_cvt_f32_u32_sdwa v13, v28 dst_sel:DWORD dst_unused:UNUSED_PAD src0_sel:WORD_1
	v_cvt_f32_u32_sdwa v12, v28 dst_sel:DWORD dst_unused:UNUSED_PAD src0_sel:WORD_0
	v_cvt_f32_u32_sdwa v11, v29 dst_sel:DWORD dst_unused:UNUSED_PAD src0_sel:WORD_1
	v_cvt_f32_u32_sdwa v10, v29 dst_sel:DWORD dst_unused:UNUSED_PAD src0_sel:WORD_0
	v_pk_mul_f32 v[28:29], v[22:23], v[22:23]
	v_add_f32_e32 v1, v26, v27
	v_add_f32_e32 v1, v28, v1
	v_pk_mul_f32 v[30:31], v[20:21], v[20:21]
	v_add_f32_e32 v1, v29, v1
	v_add_f32_e32 v1, v30, v1
	;; [unrolled: 3-line block ×7, first 2 shown]
	v_add_f32_e32 v1, v41, v1
	s_nop 1
	v_mov_b32_dpp v26, v1 quad_perm:[1,0,3,2] row_mask:0xf bank_mask:0xf
	v_add_f32_e32 v1, v1, v26
	s_nop 1
	v_mov_b32_dpp v26, v1 quad_perm:[2,3,0,1] row_mask:0xf bank_mask:0xf
	v_add_f32_e32 v1, v1, v26
	s_nop 1
	v_mov_b32_dpp v26, v1 row_half_mirror row_mask:0xf bank_mask:0xf
	v_add_f32_e32 v1, v1, v26
	s_nop 1
	v_mov_b32_dpp v26, v1 row_mirror row_mask:0xf bank_mask:0xf
	v_add_f32_e32 v1, v1, v26
	s_nop 1
	v_mov_b32_dpp v26, v1 row_bcast:15 row_mask:0xf bank_mask:0xf
	v_add_f32_e32 v1, v1, v26
	s_nop 1
	v_mov_b32_dpp v26, v1 row_bcast:31 row_mask:0xf bank_mask:0xf
	s_and_saveexec_b64 s[10:11], s[0:1]
	s_cbranch_execz .LBB80_3
; %bb.2:
	v_lshrrev_b32_e32 v27, 4, v0
	v_and_b32_e32 v27, 60, v27
	v_add_f32_e32 v1, v1, v26
	ds_write_b32 v27, v1 offset:16
.LBB80_3:
	s_or_b64 exec, exec, s[10:11]
	v_and_b32_e32 v1, 3, v0
	v_lshlrev_b32_e32 v26, 2, v1
	s_waitcnt lgkmcnt(0)
	s_barrier
	ds_read_b32 v1, v26 offset:16
	v_cvt_f32_i32_e32 v27, s9
	s_waitcnt vmcnt(1)
	v_cvt_f32_u32_sdwa v37, v9 dst_sel:DWORD dst_unused:UNUSED_PAD src0_sel:WORD_1
	v_cvt_f32_u32_sdwa v36, v9 dst_sel:DWORD dst_unused:UNUSED_PAD src0_sel:WORD_0
	s_waitcnt vmcnt(0)
	v_cvt_f32_u32_sdwa v9, v2 dst_sel:DWORD dst_unused:UNUSED_PAD src0_sel:WORD_1
	s_waitcnt lgkmcnt(0)
	v_mov_b32_dpp v28, v1 quad_perm:[1,0,3,2] row_mask:0xf bank_mask:0xf
	v_add_f32_e32 v1, v1, v28
	s_nop 1
	v_mov_b32_dpp v28, v1 quad_perm:[2,3,0,1] row_mask:0xf bank_mask:0xf
	v_add_f32_e32 v1, v1, v28
	v_div_scale_f32 v28, s[10:11], v27, v27, v1
	v_rcp_f32_e32 v29, v28
	v_div_scale_f32 v30, vcc, v1, v27, v1
	s_load_dwordx2 s[10:11], s[4:5], 0x4c
	s_load_dword s14, s[4:5], 0x54
	v_fma_f32 v31, -v28, v29, 1.0
	v_fmac_f32_e32 v29, v31, v29
	v_mul_f32_e32 v31, v30, v29
	v_fma_f32 v32, -v28, v31, v30
	v_fmac_f32_e32 v31, v32, v29
	v_fma_f32 v28, -v28, v31, v30
	v_div_fmas_f32 v28, v28, v29, v31
	v_div_fixup_f32 v1, v28, v27, v1
	v_cvt_f64_f32_e32 v[28:29], v1
	v_add_f64 v[28:29], v[28:29], s[2:3]
	v_cvt_f32_f64_e32 v1, v[28:29]
	s_mov_b32 s2, 0x800000
	v_mul_f32_e32 v27, 0x4b800000, v1
	v_cmp_gt_f32_e32 vcc, s2, v1
	v_cndmask_b32_e32 v1, v1, v27, vcc
	v_rsq_f32_e32 v27, v1
	v_lshlrev_b32_e32 v1, 4, v0
	s_waitcnt lgkmcnt(0)
	s_cmp_lg_u32 s11, 0
	v_mul_f32_e32 v28, 0x45800000, v27
	v_cndmask_b32_e32 v28, v27, v28, vcc
	v_mov_b32_e32 v29, v28
	;;#ASMSTART
	v_pk_mul_f32 v[24:25], v[24:25], v[28:29]
	;;#ASMEND
	;;#ASMSTART
	v_pk_mul_f32 v[22:23], v[22:23], v[28:29]
	;;#ASMEND
	;; [unrolled: 3-line block ×8, first 2 shown]
	v_cvt_f32_u32_sdwa v11, v6 dst_sel:DWORD dst_unused:UNUSED_PAD src0_sel:WORD_1
	v_cvt_f32_u32_sdwa v10, v6 dst_sel:DWORD dst_unused:UNUSED_PAD src0_sel:WORD_0
	v_cvt_f32_u32_sdwa v13, v7 dst_sel:DWORD dst_unused:UNUSED_PAD src0_sel:WORD_1
	v_cvt_f32_u32_sdwa v12, v7 dst_sel:DWORD dst_unused:UNUSED_PAD src0_sel:WORD_0
	;; [unrolled: 2-line block ×3, first 2 shown]
	;;#ASMSTART
	v_pk_mul_f32 v[16:17], v[24:25], v[10:11]
	;;#ASMEND
	;;#ASMSTART
	v_pk_mul_f32 v[14:15], v[22:23], v[12:13]
	;;#ASMEND
	;; [unrolled: 3-line block ×4, first 2 shown]
	v_cvt_f32_u32_sdwa v8, v2 dst_sel:DWORD dst_unused:UNUSED_PAD src0_sel:WORD_0
	v_cvt_f32_u32_sdwa v19, v3 dst_sel:DWORD dst_unused:UNUSED_PAD src0_sel:WORD_1
	v_cvt_f32_u32_sdwa v18, v3 dst_sel:DWORD dst_unused:UNUSED_PAD src0_sel:WORD_0
	v_cvt_f32_u32_sdwa v3, v4 dst_sel:DWORD dst_unused:UNUSED_PAD src0_sel:WORD_1
	v_cvt_f32_u32_sdwa v2, v4 dst_sel:DWORD dst_unused:UNUSED_PAD src0_sel:WORD_0
	v_cvt_f32_u32_sdwa v20, v5 dst_sel:DWORD dst_unused:UNUSED_PAD src0_sel:WORD_0
	v_cvt_f32_u32_sdwa v21, v5 dst_sel:DWORD dst_unused:UNUSED_PAD src0_sel:WORD_1
	;;#ASMSTART
	v_pk_mul_f32 v[12:13], v[30:31], v[8:9]
	;;#ASMEND
	;;#ASMSTART
	v_pk_mul_f32 v[8:9], v[32:33], v[18:19]
	;;#ASMEND
	;; [unrolled: 3-line block ×4, first 2 shown]
	v_and_b32_e32 v18, 0x7fffffff, v16
	v_mov_b32_e32 v20, 0x2edbe6ff
	v_and_b32_e32 v19, 0x7fffffff, v17
	;;#ASMSTART
	v_max3_f32 v18, v20, v18, v19

	;;#ASMEND
	v_and_b32_e32 v20, 0x7fffffff, v15
	v_and_b32_e32 v19, 0x7fffffff, v14
	;;#ASMSTART
	v_max3_f32 v18, v18, v19, v20

	;;#ASMEND
	v_and_b32_e32 v20, 0x7fffffff, v11
	;; [unrolled: 6-line block ×7, first 2 shown]
	v_and_b32_e32 v19, 0x7fffffff, v2
	;;#ASMSTART
	v_max3_f32 v20, v18, v19, v20

	;;#ASMEND
	s_cbranch_scc0 .LBB80_10
; %bb.4:
	s_ashr_i32 s15, s11, 31
	s_lshr_b32 s2, s15, 28
	s_add_i32 s2, s11, s2
	s_ashr_i32 s18, s2, 4
	s_cmp_lt_i32 s18, 16
	s_cbranch_scc1 .LBB80_11
; %bb.5:
	s_cmp_lt_i32 s18, 32
	s_cbranch_scc1 .LBB80_12
; %bb.6:
	;; [unrolled: 3-line block ×3, first 2 shown]
	s_cmp_eq_u32 s18, 64
	v_mov_b32_e32 v18, v20
	s_cbranch_scc0 .LBB80_9
; %bb.8:
	s_nop 0
	v_mov_b32_dpp v18, v20 quad_perm:[1,0,3,2] row_mask:0xf bank_mask:0xf
	v_cmp_gt_f32_e32 vcc, v20, v18
	v_cndmask_b32_e32 v18, v18, v20, vcc
	v_bfrev_b32_e32 v21, 0.5
	s_nop 0
	v_mov_b32_dpp v19, v18 quad_perm:[2,3,0,1] row_mask:0xf bank_mask:0xf
	v_cmp_gt_f32_e32 vcc, v18, v19
	v_cndmask_b32_e32 v18, v19, v18, vcc
	s_nop 1
	v_mov_b32_dpp v19, v18 row_ror:4 row_mask:0xf bank_mask:0xf
	v_cmp_gt_f32_e32 vcc, v18, v19
	v_cndmask_b32_e32 v18, v19, v18, vcc
	s_nop 1
	v_mov_b32_dpp v19, v18 row_ror:8 row_mask:0xf bank_mask:0xf
	v_cmp_gt_f32_e32 vcc, v18, v19
	v_cndmask_b32_e32 v18, v19, v18, vcc
	s_nop 1
	v_mov_b32_dpp v19, v18 row_bcast:15 row_mask:0xf bank_mask:0xf
	v_cmp_gt_f32_e32 vcc, v18, v19
	v_cndmask_b32_e32 v18, v19, v18, vcc
	s_nop 1
	v_mov_b32_dpp v19, v18 row_bcast:31 row_mask:0xf bank_mask:0xf
	v_cmp_gt_f32_e32 vcc, v18, v19
	v_cndmask_b32_e32 v18, v19, v18, vcc
	v_mbcnt_lo_u32_b32 v19, -1, 0
	v_mbcnt_hi_u32_b32 v19, -1, v19
	v_lshl_or_b32 v19, v19, 2, v21
	ds_bpermute_b32 v18, v19, v18
.LBB80_9:
	s_mov_b64 s[2:3], 0
	s_branch .LBB80_14
.LBB80_10:
	s_mov_b64 s[2:3], 0
                                        ; implicit-def: $vgpr21
                                        ; implicit-def: $vgpr18_vgpr19
	s_cbranch_execnz .LBB80_43
	s_branch .LBB80_46
.LBB80_11:
                                        ; implicit-def: $vgpr18
	s_branch .LBB80_21
.LBB80_12:
                                        ; implicit-def: $vgpr18
	s_branch .LBB80_18
.LBB80_13:
	s_mov_b64 s[2:3], -1
                                        ; implicit-def: $vgpr18
.LBB80_14:
	s_andn2_b64 vcc, exec, s[2:3]
	s_cbranch_vccnz .LBB80_17
; %bb.15:
	s_cmp_eq_u32 s18, 32
	s_waitcnt lgkmcnt(0)
	v_mov_b32_e32 v18, v20
	s_cbranch_scc0 .LBB80_17
; %bb.16:
	s_nop 0
	v_mov_b32_dpp v18, v20 quad_perm:[1,0,3,2] row_mask:0xf bank_mask:0xf
	v_cmp_gt_f32_e32 vcc, v20, v18
	v_cndmask_b32_e32 v18, v18, v20, vcc
	v_mov_b32_e32 v21, 0x7c
	s_nop 0
	v_mov_b32_dpp v19, v18 quad_perm:[2,3,0,1] row_mask:0xf bank_mask:0xf
	v_cmp_gt_f32_e32 vcc, v18, v19
	v_cndmask_b32_e32 v18, v19, v18, vcc
	s_nop 1
	v_mov_b32_dpp v19, v18 row_half_mirror row_mask:0xf bank_mask:0xf
	v_cmp_gt_f32_e32 vcc, v18, v19
	v_cndmask_b32_e32 v18, v19, v18, vcc
	s_nop 1
	v_mov_b32_dpp v19, v18 row_mirror row_mask:0xf bank_mask:0xf
	v_cmp_gt_f32_e32 vcc, v18, v19
	v_cndmask_b32_e32 v18, v19, v18, vcc
	s_nop 1
	v_mov_b32_dpp v19, v18 row_bcast:15 row_mask:0xa bank_mask:0xf
	v_cmp_gt_f32_e32 vcc, v18, v19
	v_cndmask_b32_e32 v18, v19, v18, vcc
	v_mbcnt_lo_u32_b32 v19, -1, 0
	v_mbcnt_hi_u32_b32 v19, -1, v19
	v_lshl_or_b32 v19, v19, 2, v21
	ds_bpermute_b32 v18, v19, v18
.LBB80_17:
	s_cbranch_execnz .LBB80_20
.LBB80_18:
	s_cmp_eq_u32 s18, 16
	s_waitcnt lgkmcnt(0)
	v_mov_b32_e32 v18, v20
	s_cbranch_scc0 .LBB80_20
; %bb.19:
	s_nop 0
	v_mov_b32_dpp v18, v20 quad_perm:[1,0,3,2] row_mask:0xf bank_mask:0xf
	v_cmp_gt_f32_e32 vcc, v20, v18
	v_cndmask_b32_e32 v18, v18, v20, vcc
	s_nop 1
	v_mov_b32_dpp v19, v18 quad_perm:[2,3,0,1] row_mask:0xf bank_mask:0xf
	v_cmp_gt_f32_e32 vcc, v18, v19
	v_cndmask_b32_e32 v18, v19, v18, vcc
	s_nop 1
	v_mov_b32_dpp v19, v18 row_half_mirror row_mask:0xf bank_mask:0xf
	v_cmp_gt_f32_e32 vcc, v18, v19
	v_cndmask_b32_e32 v18, v19, v18, vcc
	s_nop 1
	v_mov_b32_dpp v19, v18 row_mirror row_mask:0xf bank_mask:0xf
	v_cmp_gt_f32_e32 vcc, v18, v19
	v_cndmask_b32_e32 v18, v19, v18, vcc
.LBB80_20:
	s_cbranch_execnz .LBB80_33
.LBB80_21:
	s_cmp_lt_i32 s18, 4
	s_cbranch_scc1 .LBB80_25
; %bb.22:
	s_cmp_lt_i32 s18, 8
	s_cbranch_scc1 .LBB80_26
; %bb.23:
	s_cmp_eq_u32 s18, 8
	s_waitcnt lgkmcnt(0)
	v_mov_b32_e32 v18, v20
	s_cbranch_scc0 .LBB80_27
; %bb.24:
	s_nop 0
	v_mov_b32_dpp v18, v20 quad_perm:[1,0,3,2] row_mask:0xf bank_mask:0xf
	v_cmp_gt_f32_e32 vcc, v20, v18
	v_cndmask_b32_e32 v18, v18, v20, vcc
	s_nop 1
	v_mov_b32_dpp v19, v18 quad_perm:[2,3,0,1] row_mask:0xf bank_mask:0xf
	v_cmp_gt_f32_e32 vcc, v18, v19
	v_cndmask_b32_e32 v18, v19, v18, vcc
	s_nop 1
	v_mov_b32_dpp v19, v18 row_half_mirror row_mask:0xf bank_mask:0xf
	v_cmp_gt_f32_e32 vcc, v18, v19
	v_cndmask_b32_e32 v18, v19, v18, vcc
	s_cbranch_execz .LBB80_28
	s_branch .LBB80_30
.LBB80_25:
                                        ; implicit-def: $vgpr18
	s_branch .LBB80_31
.LBB80_26:
                                        ; implicit-def: $vgpr18
	s_branch .LBB80_28
.LBB80_27:
	s_cbranch_execnz .LBB80_30
.LBB80_28:
	s_cmp_eq_u32 s18, 4
	s_waitcnt lgkmcnt(0)
	v_mov_b32_e32 v18, v20
	s_cbranch_scc0 .LBB80_30
; %bb.29:
	s_nop 0
	v_mov_b32_dpp v18, v20 quad_perm:[1,0,3,2] row_mask:0xf bank_mask:0xf
	v_cmp_gt_f32_e32 vcc, v20, v18
	v_cndmask_b32_e32 v18, v18, v20, vcc
	s_nop 1
	v_mov_b32_dpp v19, v18 quad_perm:[2,3,0,1] row_mask:0xf bank_mask:0xf
	v_cmp_gt_f32_e32 vcc, v18, v19
	v_cndmask_b32_e32 v18, v19, v18, vcc
.LBB80_30:
	s_cbranch_execnz .LBB80_33
.LBB80_31:
	s_cmp_lg_u32 s18, 2
	s_waitcnt lgkmcnt(0)
	v_mov_b32_e32 v18, v20
	s_cbranch_scc1 .LBB80_33
; %bb.32:
	s_nop 0
	v_mov_b32_dpp v18, v20 quad_perm:[1,0,3,2] row_mask:0xf bank_mask:0xf
	v_cmp_gt_f32_e32 vcc, v20, v18
	v_cndmask_b32_e32 v18, v18, v20, vcc
.LBB80_33:
	v_cvt_f32_u32_e32 v19, s18
	s_waitcnt lgkmcnt(0)
	v_mul_f32_e32 v21, 0x3b124925, v18
	s_sub_i32 s2, 0, s18
	v_cmp_gt_u32_e32 vcc, s9, v1
	v_rcp_iflag_f32_e32 v19, v19
	s_mov_b64 s[16:17], 0
	v_mul_f32_e32 v18, 0x4f7ffffe, v19
	v_cvt_u32_f32_e32 v18, v18
	v_mul_lo_u32 v19, s2, v18
	v_mul_hi_u32 v19, v18, v19
	v_add_u32_e32 v18, v18, v19
	v_mul_hi_u32 v18, v0, v18
	v_mul_lo_u32 v19, v18, s18
	v_sub_u32_e32 v19, v0, v19
	v_add_u32_e32 v22, 1, v18
	v_cmp_le_u32_e64 s[2:3], s18, v19
	v_cndmask_b32_e64 v18, v18, v22, s[2:3]
	v_subrev_u32_e32 v22, s18, v19
	v_cndmask_b32_e64 v19, v19, v22, s[2:3]
	v_add_u32_e32 v22, 1, v18
	v_cmp_le_u32_e64 s[2:3], s18, v19
	v_cndmask_b32_e64 v22, v18, v22, s[2:3]
	v_mul_lo_u32 v18, v22, s18
	v_sub_u32_e32 v18, v0, v18
	v_cmp_eq_u32_e64 s[2:3], 0, v18
	s_and_b64 s[18:19], s[2:3], vcc
	s_mov_b64 s[2:3], 0
                                        ; implicit-def: $vgpr18_vgpr19
	s_and_saveexec_b64 s[20:21], s[18:19]
	s_xor_b64 s[18:19], exec, s[20:21]
	s_cbranch_execz .LBB80_42
; %bb.34:
	s_bitcmp0_b32 s14, 0
	s_cbranch_scc0 .LBB80_39
; %bb.35:
	s_ashr_i32 s2, s9, 31
	s_mul_hi_u32 s3, s9, s6
	s_mul_i32 s2, s2, s6
	s_add_i32 s21, s3, s2
	s_mul_i32 s20, s9, s6
	s_mov_b32 s14, s11
	s_or_b64 s[2:3], s[20:21], s[14:15]
	s_mov_b32 s2, 0
	s_cmp_lg_u64 s[2:3], 0
	s_cbranch_scc0 .LBB80_50
; %bb.36:
	s_add_u32 s2, s14, s15
	s_mov_b32 s24, s15
	s_mov_b32 s25, s15
	s_addc_u32 s3, s15, s15
	s_xor_b64 s[26:27], s[2:3], s[24:25]
	v_cvt_f32_u32_e32 v18, s26
	v_cvt_f32_u32_e32 v19, s27
	s_sub_u32 s2, 0, s26
	s_subb_u32 s3, 0, s27
	v_madmk_f32 v18, v19, 0x4f800000, v18
	v_rcp_f32_e32 v18, v18
	v_mul_f32_e32 v18, 0x5f7ffffc, v18
	v_mul_f32_e32 v19, 0x2f800000, v18
	v_trunc_f32_e32 v19, v19
	v_madmk_f32 v18, v19, 0xcf800000, v18
	v_cvt_u32_f32_e32 v19, v19
	v_cvt_u32_f32_e32 v18, v18
	v_readfirstlane_b32 s11, v19
	v_readfirstlane_b32 s15, v18
	s_mul_i32 s28, s2, s11
	s_mul_hi_u32 s30, s2, s15
	s_mul_i32 s29, s3, s15
	s_add_i32 s28, s30, s28
	s_add_i32 s28, s28, s29
	s_mul_i32 s31, s2, s15
	s_mul_hi_u32 s29, s15, s28
	s_mul_i32 s30, s15, s28
	s_mul_hi_u32 s15, s15, s31
	s_add_u32 s15, s15, s30
	s_addc_u32 s29, 0, s29
	s_mul_hi_u32 s33, s11, s31
	s_mul_i32 s31, s11, s31
	s_add_u32 s15, s15, s31
	s_mul_hi_u32 s30, s11, s28
	s_addc_u32 s15, s29, s33
	s_addc_u32 s29, s30, 0
	s_mul_i32 s28, s11, s28
	s_add_u32 s15, s15, s28
	s_addc_u32 s28, 0, s29
	v_add_co_u32_e32 v18, vcc, s15, v18
	s_cmp_lg_u64 vcc, 0
	s_addc_u32 s11, s11, s28
	v_readfirstlane_b32 s28, v18
	s_mul_i32 s15, s2, s11
	s_mul_hi_u32 s29, s2, s28
	s_add_i32 s15, s29, s15
	s_mul_i32 s3, s3, s28
	s_add_i32 s15, s15, s3
	s_mul_i32 s2, s2, s28
	s_mul_hi_u32 s29, s11, s2
	s_mul_i32 s30, s11, s2
	s_mul_i32 s33, s28, s15
	s_mul_hi_u32 s2, s28, s2
	s_mul_hi_u32 s31, s28, s15
	s_add_u32 s2, s2, s33
	s_addc_u32 s28, 0, s31
	s_add_u32 s2, s2, s30
	s_mul_hi_u32 s3, s11, s15
	s_addc_u32 s2, s28, s29
	s_addc_u32 s3, s3, 0
	s_mul_i32 s15, s11, s15
	s_add_u32 s2, s2, s15
	s_addc_u32 s3, 0, s3
	v_add_co_u32_e32 v18, vcc, s2, v18
	s_cmp_lg_u64 vcc, 0
	s_addc_u32 s11, s11, s3
	s_ashr_i32 s28, s21, 31
	s_add_u32 s2, s20, s28
	s_mov_b32 s29, s28
	s_addc_u32 s3, s21, s28
	s_xor_b64 s[30:31], s[2:3], s[28:29]
	v_readfirstlane_b32 s15, v18
	s_mul_i32 s3, s30, s11
	s_mul_hi_u32 s21, s30, s15
	s_mul_hi_u32 s2, s30, s11
	s_add_u32 s3, s21, s3
	s_addc_u32 s2, 0, s2
	s_mul_hi_u32 s33, s31, s15
	s_mul_i32 s15, s31, s15
	s_add_u32 s3, s3, s15
	s_mul_hi_u32 s21, s31, s11
	s_addc_u32 s2, s2, s33
	s_addc_u32 s3, s21, 0
	s_mul_i32 s11, s31, s11
	s_add_u32 s11, s2, s11
	s_addc_u32 s15, 0, s3
	s_mul_i32 s2, s26, s15
	s_mul_hi_u32 s3, s26, s11
	s_add_i32 s2, s3, s2
	s_mul_i32 s3, s27, s11
	s_add_i32 s21, s2, s3
	s_mul_i32 s3, s26, s11
	v_mov_b32_e32 v18, s3
	s_sub_i32 s2, s31, s21
	v_sub_co_u32_e32 v18, vcc, s30, v18
	s_cmp_lg_u64 vcc, 0
	s_subb_u32 s30, s2, s27
	v_subrev_co_u32_e64 v19, s[2:3], s26, v18
	s_cmp_lg_u64 s[2:3], 0
	s_subb_u32 s30, s30, 0
	s_cmp_ge_u32 s30, s27
	s_cselect_b32 s33, -1, 0
	v_cmp_le_u32_e64 s[2:3], s26, v19
	s_cmp_eq_u32 s30, s27
	v_cndmask_b32_e64 v19, 0, -1, s[2:3]
	v_mov_b32_e32 v23, s33
	s_cselect_b64 s[2:3], -1, 0
	v_cndmask_b32_e64 v19, v23, v19, s[2:3]
	s_add_u32 s2, s11, 1
	s_addc_u32 s30, s15, 0
	s_add_u32 s3, s11, 2
	s_addc_u32 s33, s15, 0
	v_mov_b32_e32 v23, s2
	v_mov_b32_e32 v24, s3
	v_cmp_ne_u32_e64 s[2:3], 0, v19
	v_cndmask_b32_e64 v19, v23, v24, s[2:3]
	v_mov_b32_e32 v23, s30
	v_mov_b32_e32 v24, s33
	s_cmp_lg_u64 vcc, 0
	v_cndmask_b32_e64 v23, v23, v24, s[2:3]
	s_subb_u32 s2, s31, s21
	s_cmp_ge_u32 s2, s27
	s_cselect_b32 s3, -1, 0
	v_cmp_le_u32_e32 vcc, s26, v18
	s_cmp_eq_u32 s2, s27
	v_cndmask_b32_e64 v18, 0, -1, vcc
	v_mov_b32_e32 v24, s3
	s_cselect_b64 vcc, -1, 0
	v_cndmask_b32_e32 v18, v24, v18, vcc
	v_mov_b32_e32 v24, s15
	v_cmp_ne_u32_e32 vcc, 0, v18
	v_cndmask_b32_e32 v18, v24, v23, vcc
	v_mov_b32_e32 v23, s11
	v_cndmask_b32_e32 v19, v23, v19, vcc
	s_xor_b64 s[2:3], s[28:29], s[24:25]
	v_xor_b32_e32 v19, s2, v19
	v_xor_b32_e32 v23, s3, v18
	v_mov_b32_e32 v24, s3
	v_subrev_co_u32_e32 v18, vcc, s2, v19
	v_subb_co_u32_e32 v19, vcc, v23, v24, vcc
	s_cbranch_execnz .LBB80_38
.LBB80_37:
	v_cvt_f32_u32_e32 v18, s14
	s_sub_i32 s2, 0, s14
	s_mov_b32 s3, 0
	v_rcp_iflag_f32_e32 v18, v18
	v_mul_f32_e32 v18, 0x4f7ffffe, v18
	v_cvt_u32_f32_e32 v18, v18
	v_readfirstlane_b32 s11, v18
	s_mul_i32 s2, s2, s11
	s_mul_hi_u32 s2, s11, s2
	s_add_i32 s11, s11, s2
	s_mul_hi_u32 s2, s20, s11
	s_mul_i32 s15, s2, s14
	s_sub_i32 s15, s20, s15
	s_add_i32 s11, s2, 1
	s_sub_i32 s20, s15, s14
	s_cmp_ge_u32 s15, s14
	s_cselect_b32 s2, s11, s2
	s_cselect_b32 s15, s20, s15
	s_add_i32 s11, s2, 1
	s_cmp_ge_u32 s15, s14
	s_cselect_b32 s2, s11, s2
	v_pk_mov_b32 v[18:19], s[2:3], s[2:3] op_sel:[0,1]
.LBB80_38:
	v_add_co_u32_e32 v18, vcc, v18, v22
	v_addc_co_u32_e32 v19, vcc, 0, v19, vcc
	s_branch .LBB80_41
.LBB80_39:
                                        ; implicit-def: $vgpr18_vgpr19
	s_cbranch_execz .LBB80_41
; %bb.40:
	v_mul_lo_u32 v18, v22, s8
	v_ashrrev_i32_e32 v19, 31, v18
	v_mov_b32_e32 v22, s7
	v_add_co_u32_e32 v18, vcc, s6, v18
	v_addc_co_u32_e32 v19, vcc, v19, v22, vcc
.LBB80_41:
	s_mov_b64 s[2:3], exec
.LBB80_42:
	s_or_b64 exec, exec, s[18:19]
	s_and_b64 vcc, exec, s[16:17]
	s_cbranch_vccz .LBB80_46
.LBB80_43:
	v_mov_b32_dpp v18, v20 quad_perm:[1,0,3,2] row_mask:0xf bank_mask:0xf
	v_cmp_gt_f32_e32 vcc, v20, v18
	v_cndmask_b32_e32 v18, v18, v20, vcc
	s_nop 1
	v_mov_b32_dpp v19, v18 quad_perm:[2,3,0,1] row_mask:0xf bank_mask:0xf
	v_cmp_gt_f32_e32 vcc, v18, v19
	v_cndmask_b32_e32 v18, v19, v18, vcc
	s_nop 1
	v_mov_b32_dpp v19, v18 row_half_mirror row_mask:0xf bank_mask:0xf
	v_cmp_gt_f32_e32 vcc, v18, v19
	v_cndmask_b32_e32 v18, v19, v18, vcc
	s_nop 1
	v_mov_b32_dpp v19, v18 row_mirror row_mask:0xf bank_mask:0xf
	v_cmp_gt_f32_e32 vcc, v18, v19
	v_cndmask_b32_e32 v18, v19, v18, vcc
	s_nop 1
	v_mov_b32_dpp v19, v18 row_bcast:15 row_mask:0xf bank_mask:0xf
	v_cmp_gt_f32_e32 vcc, v18, v19
	v_cndmask_b32_e32 v18, v19, v18, vcc
	s_nop 1
	v_mov_b32_dpp v19, v18 row_bcast:31 row_mask:0xf bank_mask:0xf
	s_and_saveexec_b64 s[2:3], s[0:1]
	s_cbranch_execz .LBB80_45
; %bb.44:
	v_lshrrev_b32_e32 v20, 4, v0
	v_cmp_gt_f32_e32 vcc, v18, v19
	v_and_b32_e32 v20, 60, v20
	v_cndmask_b32_e32 v18, v19, v18, vcc
	ds_write_b32 v20, v18
.LBB80_45:
	s_or_b64 exec, exec, s[2:3]
	s_waitcnt lgkmcnt(0)
	s_barrier
	ds_read_b32 v18, v26
	v_cmp_eq_u32_e64 s[2:3], 0, v0
	s_waitcnt lgkmcnt(0)
	v_mov_b32_dpp v19, v18 quad_perm:[1,0,3,2] row_mask:0xf bank_mask:0xf
	v_cmp_gt_f32_e32 vcc, v18, v19
	v_cndmask_b32_e32 v18, v19, v18, vcc
	s_nop 1
	v_mov_b32_dpp v19, v18 quad_perm:[2,3,0,1] row_mask:0xf bank_mask:0xf
	v_cmp_gt_f32_e32 vcc, v18, v19
	v_cndmask_b32_e32 v18, v19, v18, vcc
	v_mul_f32_e32 v21, 0x3b124925, v18
	v_pk_mov_b32 v[18:19], s[6:7], s[6:7] op_sel:[0,1]
.LBB80_46:
	s_and_saveexec_b64 s[0:1], s[2:3]
	s_cbranch_execz .LBB80_48
; %bb.47:
	v_lshlrev_b64 v[18:19], 2, v[18:19]
	v_mov_b32_e32 v0, s13
	v_add_co_u32_e32 v18, vcc, s12, v18
	v_addc_co_u32_e32 v19, vcc, v0, v19, vcc
	global_store_dword v[18:19], v21, off
.LBB80_48:
	s_or_b64 exec, exec, s[0:1]
	s_add_i32 s2, s9, 3
	s_load_dwordx2 s[0:1], s[4:5], 0x0
	s_ashr_i32 s3, s2, 31
	s_lshr_b32 s3, s3, 30
	s_add_i32 s2, s2, s3
	s_ashr_i32 s3, s10, 31
	s_mul_hi_u32 s4, s10, s6
	s_mul_i32 s3, s3, s6
	;;#ASMSTART
	v_rcp_f32 v18, v21
	;;#ASMEND
	v_mov_b32_e32 v19, v18
	;;#ASMSTART
	v_pk_mul_f32 v[16:17], v[16:17], v[18:19]
	;;#ASMEND
	s_and_b32 s2, s2, -4
	s_add_i32 s4, s4, s3
	s_mul_i32 s3, s10, s6
	v_mov_b32_e32 v0, 0xc3e00000
	v_mov_b32_e32 v20, 0x43e00000
	;;#ASMSTART
	v_med3_f32 v16, v16, v0, v20
v_med3_f32 v17, v17, v0, v20
v_cvt_pk_fp8_f32 v21, v16, v17
	;;#ASMEND
	;;#ASMSTART
	v_pk_mul_f32 v[14:15], v[14:15], v[18:19]
	;;#ASMEND
	s_waitcnt lgkmcnt(0)
	s_add_u32 s0, s0, s3
	;;#ASMSTART
	v_med3_f32 v14, v14, v0, v20
v_med3_f32 v15, v15, v0, v20
v_cvt_pk_fp8_f32 v16, v14, v15
	;;#ASMEND
	;;#ASMSTART
	v_pk_mul_f32 v[10:11], v[10:11], v[18:19]
	;;#ASMEND
	s_addc_u32 s1, s1, s4
	s_mov_b32 s4, 0x5040100
	;;#ASMSTART
	v_med3_f32 v10, v10, v0, v20
v_med3_f32 v11, v11, v0, v20
v_cvt_pk_fp8_f32 v15, v10, v11
	;;#ASMEND
	;;#ASMSTART
	v_pk_mul_f32 v[6:7], v[6:7], v[18:19]
	;;#ASMEND
	v_perm_b32 v14, v16, v21, s4
	s_mov_b32 s4, 0x1060504
	;;#ASMSTART
	v_med3_f32 v6, v6, v0, v20
v_med3_f32 v7, v7, v0, v20
v_cvt_pk_fp8_f32 v10, v6, v7
	;;#ASMEND
	v_perm_b32 v14, v14, v16, s4
	s_mov_b32 s4, 0x1000504
	;;#ASMSTART
	v_pk_mul_f32 v[6:7], v[12:13], v[18:19]
	;;#ASMEND
	v_perm_b32 v15, v15, v10, s4
	;;#ASMSTART
	v_med3_f32 v6, v6, v0, v20
v_med3_f32 v7, v7, v0, v20
v_cvt_pk_fp8_f32 v10, v6, v7
	;;#ASMEND
	;;#ASMSTART
	v_pk_mul_f32 v[6:7], v[8:9], v[18:19]
	;;#ASMEND
	;;#ASMSTART
	v_med3_f32 v6, v6, v0, v20
v_med3_f32 v7, v7, v0, v20
v_cvt_pk_fp8_f32 v8, v6, v7
	;;#ASMEND
	;;#ASMSTART
	v_pk_mul_f32 v[4:5], v[4:5], v[18:19]
	;;#ASMEND
	;; [unrolled: 8-line block ×3, first 2 shown]
	s_and_b32 s1, s1, 0xffff
	s_mov_b32 s3, 0x20000
	v_perm_b32 v16, v10, v8, s4
	;;#ASMSTART
	v_med3_f32 v2, v2, v0, v20
v_med3_f32 v3, v3, v0, v20
v_cvt_pk_fp8_f32 v0, v2, v3
	;;#ASMEND
	v_perm_b32 v17, v6, v0, s4
	buffer_store_dwordx4 v[14:17], v1, s[0:3], 0 offen
	;;#ASMSTART
	s_nop 0
	;;#ASMEND
.LBB80_49:
	s_endpgm
.LBB80_50:
                                        ; implicit-def: $vgpr18_vgpr19
	s_branch .LBB80_37
	.section	.rodata,"a",@progbits
	.p2align	6, 0x0
	.amdhsa_kernel _ZN5aiter24add_rmsnorm_quant_kernelItDB8_Li256ELi16ELb0ELb1ELb0ELi1EEEvPT0_PT_PfS5_S5_S5_diiiiiiib
		.amdhsa_group_segment_fixed_size 32
		.amdhsa_private_segment_fixed_size 0
		.amdhsa_kernarg_size 88
		.amdhsa_user_sgpr_count 6
		.amdhsa_user_sgpr_private_segment_buffer 1
		.amdhsa_user_sgpr_dispatch_ptr 0
		.amdhsa_user_sgpr_queue_ptr 0
		.amdhsa_user_sgpr_kernarg_segment_ptr 1
		.amdhsa_user_sgpr_dispatch_id 0
		.amdhsa_user_sgpr_flat_scratch_init 0
		.amdhsa_user_sgpr_kernarg_preload_length 0
		.amdhsa_user_sgpr_kernarg_preload_offset 0
		.amdhsa_user_sgpr_private_segment_size 0
		.amdhsa_uses_dynamic_stack 0
		.amdhsa_system_sgpr_private_segment_wavefront_offset 0
		.amdhsa_system_sgpr_workgroup_id_x 1
		.amdhsa_system_sgpr_workgroup_id_y 0
		.amdhsa_system_sgpr_workgroup_id_z 0
		.amdhsa_system_sgpr_workgroup_info 0
		.amdhsa_system_vgpr_workitem_id 0
		.amdhsa_next_free_vgpr 43
		.amdhsa_next_free_sgpr 34
		.amdhsa_accum_offset 44
		.amdhsa_reserve_vcc 1
		.amdhsa_reserve_flat_scratch 0
		.amdhsa_float_round_mode_32 0
		.amdhsa_float_round_mode_16_64 0
		.amdhsa_float_denorm_mode_32 3
		.amdhsa_float_denorm_mode_16_64 3
		.amdhsa_dx10_clamp 1
		.amdhsa_ieee_mode 1
		.amdhsa_fp16_overflow 0
		.amdhsa_tg_split 0
		.amdhsa_exception_fp_ieee_invalid_op 0
		.amdhsa_exception_fp_denorm_src 0
		.amdhsa_exception_fp_ieee_div_zero 0
		.amdhsa_exception_fp_ieee_overflow 0
		.amdhsa_exception_fp_ieee_underflow 0
		.amdhsa_exception_fp_ieee_inexact 0
		.amdhsa_exception_int_div_zero 0
	.end_amdhsa_kernel
	.section	.text._ZN5aiter24add_rmsnorm_quant_kernelItDB8_Li256ELi16ELb0ELb1ELb0ELi1EEEvPT0_PT_PfS5_S5_S5_diiiiiiib,"axG",@progbits,_ZN5aiter24add_rmsnorm_quant_kernelItDB8_Li256ELi16ELb0ELb1ELb0ELi1EEEvPT0_PT_PfS5_S5_S5_diiiiiiib,comdat
.Lfunc_end80:
	.size	_ZN5aiter24add_rmsnorm_quant_kernelItDB8_Li256ELi16ELb0ELb1ELb0ELi1EEEvPT0_PT_PfS5_S5_S5_diiiiiiib, .Lfunc_end80-_ZN5aiter24add_rmsnorm_quant_kernelItDB8_Li256ELi16ELb0ELb1ELb0ELi1EEEvPT0_PT_PfS5_S5_S5_diiiiiiib
                                        ; -- End function
	.section	.AMDGPU.csdata,"",@progbits
; Kernel info:
; codeLenInByte = 3680
; NumSgprs: 38
; NumVgprs: 43
; NumAgprs: 0
; TotalNumVgprs: 43
; ScratchSize: 0
; MemoryBound: 0
; FloatMode: 240
; IeeeMode: 1
; LDSByteSize: 32 bytes/workgroup (compile time only)
; SGPRBlocks: 4
; VGPRBlocks: 5
; NumSGPRsForWavesPerEU: 38
; NumVGPRsForWavesPerEU: 43
; AccumOffset: 44
; Occupancy: 8
; WaveLimiterHint : 0
; COMPUTE_PGM_RSRC2:SCRATCH_EN: 0
; COMPUTE_PGM_RSRC2:USER_SGPR: 6
; COMPUTE_PGM_RSRC2:TRAP_HANDLER: 0
; COMPUTE_PGM_RSRC2:TGID_X_EN: 1
; COMPUTE_PGM_RSRC2:TGID_Y_EN: 0
; COMPUTE_PGM_RSRC2:TGID_Z_EN: 0
; COMPUTE_PGM_RSRC2:TIDIG_COMP_CNT: 0
; COMPUTE_PGM_RSRC3_GFX90A:ACCUM_OFFSET: 10
; COMPUTE_PGM_RSRC3_GFX90A:TG_SPLIT: 0
	.section	.text._ZN5aiter24add_rmsnorm_quant_kernelIDF16_DB8_Li256ELi24ELb0ELb1ELb1ELi1EEEvPT0_PT_PfS5_S5_S5_diiiiiiib,"axG",@progbits,_ZN5aiter24add_rmsnorm_quant_kernelIDF16_DB8_Li256ELi24ELb0ELb1ELb1ELi1EEEvPT0_PT_PfS5_S5_S5_diiiiiiib,comdat
	.protected	_ZN5aiter24add_rmsnorm_quant_kernelIDF16_DB8_Li256ELi24ELb0ELb1ELb1ELi1EEEvPT0_PT_PfS5_S5_S5_diiiiiiib ; -- Begin function _ZN5aiter24add_rmsnorm_quant_kernelIDF16_DB8_Li256ELi24ELb0ELb1ELb1ELi1EEEvPT0_PT_PfS5_S5_S5_diiiiiiib
	.globl	_ZN5aiter24add_rmsnorm_quant_kernelIDF16_DB8_Li256ELi24ELb0ELb1ELb1ELi1EEEvPT0_PT_PfS5_S5_S5_diiiiiiib
	.p2align	8
	.type	_ZN5aiter24add_rmsnorm_quant_kernelIDF16_DB8_Li256ELi24ELb0ELb1ELb1ELi1EEEvPT0_PT_PfS5_S5_S5_diiiiiiib,@function
_ZN5aiter24add_rmsnorm_quant_kernelIDF16_DB8_Li256ELi24ELb0ELb1ELb1ELi1EEEvPT0_PT_PfS5_S5_S5_diiiiiiib: ; @_ZN5aiter24add_rmsnorm_quant_kernelIDF16_DB8_Li256ELi24ELb0ELb1ELb1ELi1EEEvPT0_PT_PfS5_S5_S5_diiiiiiib
; %bb.0:
	s_load_dwordx4 s[8:11], s[4:5], 0x38
	s_mov_b32 s7, 0
	s_waitcnt lgkmcnt(0)
	s_ashr_i32 s0, s8, 31
	v_mov_b32_e32 v2, s8
	v_mov_b32_e32 v3, s0
	v_cmp_ge_i64_e32 vcc, s[6:7], v[2:3]
	s_cbranch_vccnz .LBB81_49
; %bb.1:
	s_load_dwordx4 s[12:15], s[4:5], 0x10
	s_load_dwordx4 s[0:3], s[4:5], 0x28
	s_ashr_i32 s11, s10, 31
	s_mul_hi_u32 s16, s10, s6
	s_mul_i32 s11, s11, s6
	s_add_i32 s11, s16, s11
	s_mul_i32 s10, s10, s6
	s_lshl_b64 s[10:11], s[10:11], 1
	s_waitcnt lgkmcnt(0)
	s_add_u32 s16, s14, s10
	s_addc_u32 s10, s15, s11
	s_add_i32 s11, s9, 1
	s_lshr_b32 s14, s11, 31
	v_and_b32_e32 v2, 0x3c0, v0
	s_add_i32 s11, s11, s14
	s_and_b32 s17, s10, 0xffff
	v_lshlrev_b32_e32 v1, 3, v0
	v_mul_u32_u24_e32 v2, 24, v2
	s_movk_i32 s10, 0x1f8
	s_lshl_b32 s11, s11, 1
	v_and_or_b32 v38, v1, s10, v2
	s_and_b32 s18, s11, -4
	s_mov_b32 s19, 0x20000
	v_lshlrev_b32_e32 v1, 1, v38
	buffer_load_dwordx4 v[14:17], v1, s[16:19], 0 offen glc slc
	s_movk_i32 s10, 0x400
	buffer_load_dwordx4 v[18:21], v1, s[16:19], s10 offen glc slc
	s_movk_i32 s11, 0x800
	buffer_load_dwordx4 v[40:43], v1, s[16:19], s11 offen glc slc
	s_mov_b32 s16, s0
	s_and_b32 s17, s1, 0xffff
	buffer_load_dwordx4 v[10:13], v1, s[16:19], 0 offen
	buffer_load_dwordx4 v[6:9], v1, s[16:19], s10 offen
	;; [unrolled: 1-line block ×3, first 2 shown]
	v_and_b32_e32 v60, 63, v0
	v_cmp_eq_u32_e64 s[0:1], 63, v60
	s_waitcnt vmcnt(5)
	v_cvt_f32_f16_e32 v36, v14
	v_cvt_f32_f16_sdwa v37, v14 dst_sel:DWORD dst_unused:UNUSED_PAD src0_sel:WORD_1
	v_cvt_f32_f16_e32 v34, v15
	v_cvt_f32_f16_sdwa v35, v15 dst_sel:DWORD dst_unused:UNUSED_PAD src0_sel:WORD_1
	;; [unrolled: 2-line block ×3, first 2 shown]
	s_waitcnt vmcnt(4)
	v_cvt_f32_f16_e32 v28, v18
	v_cvt_f32_f16_sdwa v29, v18 dst_sel:DWORD dst_unused:UNUSED_PAD src0_sel:WORD_1
	v_cvt_f32_f16_e32 v26, v19
	v_cvt_f32_f16_sdwa v27, v19 dst_sel:DWORD dst_unused:UNUSED_PAD src0_sel:WORD_1
	;; [unrolled: 2-line block ×4, first 2 shown]
	s_waitcnt vmcnt(3)
	v_cvt_f32_f16_e32 v20, v40
	v_cvt_f32_f16_sdwa v21, v40 dst_sel:DWORD dst_unused:UNUSED_PAD src0_sel:WORD_1
	v_cvt_f32_f16_e32 v18, v41
	v_cvt_f32_f16_sdwa v19, v41 dst_sel:DWORD dst_unused:UNUSED_PAD src0_sel:WORD_1
	v_pk_mul_f32 v[40:41], v[36:37], v[36:37]
	v_cvt_f32_f16_e32 v30, v17
	v_cvt_f32_f16_sdwa v31, v17 dst_sel:DWORD dst_unused:UNUSED_PAD src0_sel:WORD_1
	v_cvt_f32_f16_e32 v16, v42
	v_cvt_f32_f16_sdwa v17, v42 dst_sel:DWORD dst_unused:UNUSED_PAD src0_sel:WORD_1
	;; [unrolled: 2-line block ×3, first 2 shown]
	v_pk_mul_f32 v[42:43], v[34:35], v[34:35]
	v_add_f32_e32 v1, v40, v41
	v_add_f32_e32 v1, v42, v1
	v_pk_mul_f32 v[44:45], v[32:33], v[32:33]
	v_add_f32_e32 v1, v43, v1
	v_add_f32_e32 v1, v44, v1
	;; [unrolled: 3-line block ×11, first 2 shown]
	v_add_f32_e32 v1, v43, v1
	s_nop 1
	v_mov_b32_dpp v39, v1 quad_perm:[1,0,3,2] row_mask:0xf bank_mask:0xf
	v_add_f32_e32 v1, v1, v39
	s_nop 1
	v_mov_b32_dpp v39, v1 quad_perm:[2,3,0,1] row_mask:0xf bank_mask:0xf
	v_add_f32_e32 v1, v1, v39
	s_nop 1
	v_mov_b32_dpp v39, v1 row_half_mirror row_mask:0xf bank_mask:0xf
	v_add_f32_e32 v1, v1, v39
	s_nop 1
	v_mov_b32_dpp v39, v1 row_mirror row_mask:0xf bank_mask:0xf
	v_add_f32_e32 v1, v1, v39
	s_nop 1
	v_mov_b32_dpp v39, v1 row_bcast:15 row_mask:0xf bank_mask:0xf
	v_add_f32_e32 v1, v1, v39
	s_nop 1
	v_mov_b32_dpp v39, v1 row_bcast:31 row_mask:0xf bank_mask:0xf
	s_and_saveexec_b64 s[10:11], s[0:1]
	s_cbranch_execz .LBB81_3
; %bb.2:
	v_lshrrev_b32_e32 v40, 4, v0
	v_and_b32_e32 v40, 60, v40
	v_add_f32_e32 v1, v1, v39
	ds_write_b32 v40, v1 offset:16
.LBB81_3:
	s_or_b64 exec, exec, s[10:11]
	v_and_b32_e32 v1, 3, v0
	v_lshlrev_b32_e32 v1, 2, v1
	s_waitcnt lgkmcnt(0)
	s_barrier
	ds_read_b32 v39, v1 offset:16
	v_cvt_f32_i32_e32 v40, s9
	s_waitcnt lgkmcnt(0)
	v_mov_b32_dpp v41, v39 quad_perm:[1,0,3,2] row_mask:0xf bank_mask:0xf
	v_add_f32_e32 v39, v39, v41
	s_nop 1
	v_mov_b32_dpp v41, v39 quad_perm:[2,3,0,1] row_mask:0xf bank_mask:0xf
	v_add_f32_e32 v39, v39, v41
	v_div_scale_f32 v41, s[10:11], v40, v40, v39
	v_rcp_f32_e32 v42, v41
	v_div_scale_f32 v43, vcc, v39, v40, v39
	s_load_dwordx2 s[10:11], s[4:5], 0x4c
	s_load_dword s18, s[4:5], 0x54
	v_fma_f32 v44, -v41, v42, 1.0
	v_fmac_f32_e32 v42, v44, v42
	v_mul_f32_e32 v44, v43, v42
	v_fma_f32 v45, -v41, v44, v43
	v_fmac_f32_e32 v44, v45, v42
	v_fma_f32 v41, -v41, v44, v43
	v_div_fmas_f32 v41, v41, v42, v44
	v_div_fixup_f32 v39, v41, v40, v39
	v_cvt_f64_f32_e32 v[40:41], v39
	v_add_f64 v[40:41], v[40:41], s[2:3]
	v_cvt_f32_f64_e32 v39, v[40:41]
	s_mov_b32 s2, 0x800000
	v_mul_f32_e32 v40, 0x4b800000, v39
	v_cmp_gt_f32_e32 vcc, s2, v39
	v_cndmask_b32_e32 v39, v39, v40, vcc
	v_rsq_f32_e32 v39, v39
	s_waitcnt lgkmcnt(0)
	s_cmp_lg_u32 s11, 0
	v_mul_f32_e32 v40, 0x45800000, v39
	v_cndmask_b32_e32 v40, v39, v40, vcc
	v_mov_b32_e32 v41, v40
	;;#ASMSTART
	v_pk_mul_f32 v[36:37], v[36:37], v[40:41]
	;;#ASMEND
	;;#ASMSTART
	v_pk_mul_f32 v[34:35], v[34:35], v[40:41]
	;;#ASMEND
	;; [unrolled: 3-line block ×12, first 2 shown]
	s_waitcnt vmcnt(2)
	v_cvt_f32_f16_sdwa v15, v10 dst_sel:DWORD dst_unused:UNUSED_PAD src0_sel:WORD_1
	v_cvt_f32_f16_e32 v14, v10
	v_cvt_f32_f16_sdwa v17, v11 dst_sel:DWORD dst_unused:UNUSED_PAD src0_sel:WORD_1
	v_cvt_f32_f16_e32 v16, v11
	;; [unrolled: 2-line block ×4, first 2 shown]
	;;#ASMSTART
	v_pk_mul_f32 v[24:25], v[36:37], v[14:15]
	;;#ASMEND
	;;#ASMSTART
	v_pk_mul_f32 v[22:23], v[34:35], v[16:17]
	;;#ASMEND
	;; [unrolled: 3-line block ×3, first 2 shown]
	s_waitcnt vmcnt(1)
	v_cvt_f32_f16_sdwa v11, v6 dst_sel:DWORD dst_unused:UNUSED_PAD src0_sel:WORD_1
	v_cvt_f32_f16_e32 v10, v6
	v_cvt_f32_f16_sdwa v13, v7 dst_sel:DWORD dst_unused:UNUSED_PAD src0_sel:WORD_1
	v_cvt_f32_f16_e32 v12, v7
	;; [unrolled: 2-line block ×3, first 2 shown]
	;;#ASMSTART
	v_pk_mul_f32 v[16:17], v[30:31], v[18:19]
	;;#ASMEND
	;;#ASMSTART
	v_pk_mul_f32 v[18:19], v[28:29], v[10:11]
	;;#ASMEND
	;; [unrolled: 3-line block ×4, first 2 shown]
	s_waitcnt vmcnt(0)
	v_cvt_f32_f16_sdwa v7, v2 dst_sel:DWORD dst_unused:UNUSED_PAD src0_sel:WORD_1
	v_cvt_f32_f16_e32 v6, v2
	v_cvt_f32_f16_sdwa v27, v3 dst_sel:DWORD dst_unused:UNUSED_PAD src0_sel:WORD_1
	v_cvt_f32_f16_e32 v26, v3
	;; [unrolled: 2-line block ×3, first 2 shown]
	v_cvt_f32_f16_e32 v28, v5
	v_cvt_f32_f16_sdwa v31, v9 dst_sel:DWORD dst_unused:UNUSED_PAD src0_sel:WORD_1
	v_cvt_f32_f16_e32 v30, v9
	;;#ASMSTART
	v_pk_mul_f32 v[8:9], v[44:45], v[30:31]
	;;#ASMEND
	v_cvt_f32_f16_sdwa v29, v5 dst_sel:DWORD dst_unused:UNUSED_PAD src0_sel:WORD_1
	;;#ASMSTART
	v_pk_mul_f32 v[10:11], v[46:47], v[6:7]
	;;#ASMEND
	;;#ASMSTART
	v_pk_mul_f32 v[6:7], v[48:49], v[26:27]
	;;#ASMEND
	;;#ASMSTART
	v_pk_mul_f32 v[4:5], v[50:51], v[2:3]
	;;#ASMEND
	;;#ASMSTART
	v_pk_mul_f32 v[2:3], v[40:41], v[28:29]
	;;#ASMEND
	v_and_b32_e32 v26, 0x7fffffff, v24
	v_mov_b32_e32 v28, 0x2edbe6ff
	v_and_b32_e32 v27, 0x7fffffff, v25
	;;#ASMSTART
	v_max3_f32 v26, v28, v26, v27

	;;#ASMEND
	v_and_b32_e32 v28, 0x7fffffff, v23
	v_and_b32_e32 v27, 0x7fffffff, v22
	;;#ASMSTART
	v_max3_f32 v26, v26, v27, v28

	;;#ASMEND
	v_and_b32_e32 v28, 0x7fffffff, v21
	;; [unrolled: 6-line block ×11, first 2 shown]
	v_and_b32_e32 v27, 0x7fffffff, v2
	;;#ASMSTART
	v_max3_f32 v28, v26, v27, v28

	;;#ASMEND
	s_cbranch_scc0 .LBB81_10
; %bb.4:
	s_mul_hi_i32 s2, s11, 0x2aaaaaab
	s_lshr_b32 s3, s2, 31
	s_ashr_i32 s14, s2, 2
	s_add_i32 s14, s14, s3
	s_cmp_lt_i32 s14, 16
	s_cbranch_scc1 .LBB81_11
; %bb.5:
	s_cmp_lt_i32 s14, 32
	s_cbranch_scc1 .LBB81_12
; %bb.6:
	;; [unrolled: 3-line block ×3, first 2 shown]
	s_cmp_eq_u32 s14, 64
	v_mov_b32_e32 v26, v28
	s_cbranch_scc0 .LBB81_9
; %bb.8:
	s_nop 0
	v_mov_b32_dpp v26, v28 quad_perm:[1,0,3,2] row_mask:0xf bank_mask:0xf
	v_cmp_gt_f32_e32 vcc, v28, v26
	v_cndmask_b32_e32 v26, v26, v28, vcc
	v_bfrev_b32_e32 v29, 0.5
	s_nop 0
	v_mov_b32_dpp v27, v26 quad_perm:[2,3,0,1] row_mask:0xf bank_mask:0xf
	v_cmp_gt_f32_e32 vcc, v26, v27
	v_cndmask_b32_e32 v26, v27, v26, vcc
	s_nop 1
	v_mov_b32_dpp v27, v26 row_ror:4 row_mask:0xf bank_mask:0xf
	v_cmp_gt_f32_e32 vcc, v26, v27
	v_cndmask_b32_e32 v26, v27, v26, vcc
	s_nop 1
	v_mov_b32_dpp v27, v26 row_ror:8 row_mask:0xf bank_mask:0xf
	v_cmp_gt_f32_e32 vcc, v26, v27
	v_cndmask_b32_e32 v26, v27, v26, vcc
	s_nop 1
	v_mov_b32_dpp v27, v26 row_bcast:15 row_mask:0xf bank_mask:0xf
	v_cmp_gt_f32_e32 vcc, v26, v27
	v_cndmask_b32_e32 v26, v27, v26, vcc
	s_nop 1
	v_mov_b32_dpp v27, v26 row_bcast:31 row_mask:0xf bank_mask:0xf
	v_cmp_gt_f32_e32 vcc, v26, v27
	v_cndmask_b32_e32 v26, v27, v26, vcc
	v_mbcnt_lo_u32_b32 v27, -1, 0
	v_mbcnt_hi_u32_b32 v27, -1, v27
	v_lshl_or_b32 v27, v27, 2, v29
	ds_bpermute_b32 v26, v27, v26
.LBB81_9:
	s_mov_b64 s[2:3], 0
	s_branch .LBB81_14
.LBB81_10:
	s_mov_b64 s[2:3], 0
                                        ; implicit-def: $vgpr29
                                        ; implicit-def: $vgpr26_vgpr27
	s_cbranch_execnz .LBB81_43
	s_branch .LBB81_46
.LBB81_11:
                                        ; implicit-def: $vgpr26
	s_branch .LBB81_21
.LBB81_12:
                                        ; implicit-def: $vgpr26
	s_branch .LBB81_18
.LBB81_13:
	s_mov_b64 s[2:3], -1
                                        ; implicit-def: $vgpr26
.LBB81_14:
	s_andn2_b64 vcc, exec, s[2:3]
	s_cbranch_vccnz .LBB81_17
; %bb.15:
	s_cmp_eq_u32 s14, 32
	s_waitcnt lgkmcnt(0)
	v_mov_b32_e32 v26, v28
	s_cbranch_scc0 .LBB81_17
; %bb.16:
	s_nop 0
	v_mov_b32_dpp v26, v28 quad_perm:[1,0,3,2] row_mask:0xf bank_mask:0xf
	v_cmp_gt_f32_e32 vcc, v28, v26
	v_cndmask_b32_e32 v26, v26, v28, vcc
	v_mov_b32_e32 v29, 0x7c
	s_nop 0
	v_mov_b32_dpp v27, v26 quad_perm:[2,3,0,1] row_mask:0xf bank_mask:0xf
	v_cmp_gt_f32_e32 vcc, v26, v27
	v_cndmask_b32_e32 v26, v27, v26, vcc
	s_nop 1
	v_mov_b32_dpp v27, v26 row_half_mirror row_mask:0xf bank_mask:0xf
	v_cmp_gt_f32_e32 vcc, v26, v27
	v_cndmask_b32_e32 v26, v27, v26, vcc
	s_nop 1
	v_mov_b32_dpp v27, v26 row_mirror row_mask:0xf bank_mask:0xf
	v_cmp_gt_f32_e32 vcc, v26, v27
	v_cndmask_b32_e32 v26, v27, v26, vcc
	s_nop 1
	v_mov_b32_dpp v27, v26 row_bcast:15 row_mask:0xa bank_mask:0xf
	v_cmp_gt_f32_e32 vcc, v26, v27
	v_cndmask_b32_e32 v26, v27, v26, vcc
	v_mbcnt_lo_u32_b32 v27, -1, 0
	v_mbcnt_hi_u32_b32 v27, -1, v27
	v_lshl_or_b32 v27, v27, 2, v29
	ds_bpermute_b32 v26, v27, v26
.LBB81_17:
	s_cbranch_execnz .LBB81_20
.LBB81_18:
	s_cmp_eq_u32 s14, 16
	s_waitcnt lgkmcnt(0)
	v_mov_b32_e32 v26, v28
	s_cbranch_scc0 .LBB81_20
; %bb.19:
	s_nop 0
	v_mov_b32_dpp v26, v28 quad_perm:[1,0,3,2] row_mask:0xf bank_mask:0xf
	v_cmp_gt_f32_e32 vcc, v28, v26
	v_cndmask_b32_e32 v26, v26, v28, vcc
	s_nop 1
	v_mov_b32_dpp v27, v26 quad_perm:[2,3,0,1] row_mask:0xf bank_mask:0xf
	v_cmp_gt_f32_e32 vcc, v26, v27
	v_cndmask_b32_e32 v26, v27, v26, vcc
	s_nop 1
	v_mov_b32_dpp v27, v26 row_half_mirror row_mask:0xf bank_mask:0xf
	v_cmp_gt_f32_e32 vcc, v26, v27
	v_cndmask_b32_e32 v26, v27, v26, vcc
	s_nop 1
	v_mov_b32_dpp v27, v26 row_mirror row_mask:0xf bank_mask:0xf
	v_cmp_gt_f32_e32 vcc, v26, v27
	v_cndmask_b32_e32 v26, v27, v26, vcc
.LBB81_20:
	s_cbranch_execnz .LBB81_33
.LBB81_21:
	s_cmp_lt_i32 s14, 4
	s_cbranch_scc1 .LBB81_25
; %bb.22:
	s_cmp_lt_i32 s14, 8
	s_cbranch_scc1 .LBB81_26
; %bb.23:
	s_cmp_eq_u32 s14, 8
	s_waitcnt lgkmcnt(0)
	v_mov_b32_e32 v26, v28
	s_cbranch_scc0 .LBB81_27
; %bb.24:
	s_nop 0
	v_mov_b32_dpp v26, v28 quad_perm:[1,0,3,2] row_mask:0xf bank_mask:0xf
	v_cmp_gt_f32_e32 vcc, v28, v26
	v_cndmask_b32_e32 v26, v26, v28, vcc
	s_nop 1
	v_mov_b32_dpp v27, v26 quad_perm:[2,3,0,1] row_mask:0xf bank_mask:0xf
	v_cmp_gt_f32_e32 vcc, v26, v27
	v_cndmask_b32_e32 v26, v27, v26, vcc
	s_nop 1
	v_mov_b32_dpp v27, v26 row_half_mirror row_mask:0xf bank_mask:0xf
	v_cmp_gt_f32_e32 vcc, v26, v27
	v_cndmask_b32_e32 v26, v27, v26, vcc
	s_cbranch_execz .LBB81_28
	s_branch .LBB81_30
.LBB81_25:
                                        ; implicit-def: $vgpr26
	s_branch .LBB81_31
.LBB81_26:
                                        ; implicit-def: $vgpr26
	s_branch .LBB81_28
.LBB81_27:
	s_cbranch_execnz .LBB81_30
.LBB81_28:
	s_cmp_eq_u32 s14, 4
	s_waitcnt lgkmcnt(0)
	v_mov_b32_e32 v26, v28
	s_cbranch_scc0 .LBB81_30
; %bb.29:
	s_nop 0
	v_mov_b32_dpp v26, v28 quad_perm:[1,0,3,2] row_mask:0xf bank_mask:0xf
	v_cmp_gt_f32_e32 vcc, v28, v26
	v_cndmask_b32_e32 v26, v26, v28, vcc
	s_nop 1
	v_mov_b32_dpp v27, v26 quad_perm:[2,3,0,1] row_mask:0xf bank_mask:0xf
	v_cmp_gt_f32_e32 vcc, v26, v27
	v_cndmask_b32_e32 v26, v27, v26, vcc
.LBB81_30:
	s_cbranch_execnz .LBB81_33
.LBB81_31:
	s_cmp_lg_u32 s14, 2
	s_waitcnt lgkmcnt(0)
	v_mov_b32_e32 v26, v28
	s_cbranch_scc1 .LBB81_33
; %bb.32:
	s_nop 0
	v_mov_b32_dpp v26, v28 quad_perm:[1,0,3,2] row_mask:0xf bank_mask:0xf
	v_cmp_gt_f32_e32 vcc, v28, v26
	v_cndmask_b32_e32 v26, v26, v28, vcc
.LBB81_33:
	v_cvt_f32_u32_e32 v27, s14
	s_waitcnt lgkmcnt(0)
	v_mul_f32_e32 v29, 0x3b124925, v26
	s_sub_i32 s2, 0, s14
	v_rcp_iflag_f32_e32 v27, v27
	v_mul_f32_e32 v26, 0x4f7ffffe, v27
	v_cvt_u32_f32_e32 v26, v26
	v_mul_u32_u24_e32 v27, 24, v0
	v_cmp_gt_u32_e32 vcc, s9, v27
	v_mul_lo_u32 v27, s2, v26
	v_mul_hi_u32 v27, v26, v27
	v_add_u32_e32 v26, v26, v27
	v_mul_hi_u32 v26, v0, v26
	v_mul_lo_u32 v27, v26, s14
	v_sub_u32_e32 v27, v0, v27
	v_add_u32_e32 v30, 1, v26
	v_cmp_le_u32_e64 s[2:3], s14, v27
	v_cndmask_b32_e64 v26, v26, v30, s[2:3]
	v_subrev_u32_e32 v30, s14, v27
	v_cndmask_b32_e64 v27, v27, v30, s[2:3]
	v_add_u32_e32 v30, 1, v26
	v_cmp_le_u32_e64 s[2:3], s14, v27
	v_cndmask_b32_e64 v30, v26, v30, s[2:3]
	v_mul_lo_u32 v26, v30, s14
	v_sub_u32_e32 v26, v0, v26
	v_cmp_eq_u32_e64 s[2:3], 0, v26
	s_and_b64 s[16:17], s[2:3], vcc
	s_mov_b64 s[14:15], 0
	s_mov_b64 s[2:3], 0
                                        ; implicit-def: $vgpr26_vgpr27
	s_and_saveexec_b64 s[20:21], s[16:17]
	s_xor_b64 s[16:17], exec, s[20:21]
	s_cbranch_execz .LBB81_42
; %bb.34:
	s_bitcmp0_b32 s18, 0
	s_cbranch_scc0 .LBB81_39
; %bb.35:
	s_ashr_i32 s2, s9, 31
	s_mul_hi_u32 s3, s9, s6
	s_mul_i32 s2, s2, s6
	s_add_i32 s21, s3, s2
	s_mul_i32 s20, s9, s6
	s_ashr_i32 s19, s11, 31
	s_mov_b32 s18, s11
	s_or_b64 s[2:3], s[20:21], s[18:19]
	s_mov_b32 s2, 0
	s_cmp_lg_u64 s[2:3], 0
	s_cbranch_scc0 .LBB81_50
; %bb.36:
	s_add_u32 s2, s18, s19
	s_mov_b32 s24, s19
	s_mov_b32 s25, s19
	s_addc_u32 s3, s19, s19
	s_xor_b64 s[26:27], s[2:3], s[24:25]
	v_cvt_f32_u32_e32 v26, s26
	v_cvt_f32_u32_e32 v27, s27
	s_sub_u32 s2, 0, s26
	s_subb_u32 s3, 0, s27
	v_madmk_f32 v26, v27, 0x4f800000, v26
	v_rcp_f32_e32 v26, v26
	v_mul_f32_e32 v26, 0x5f7ffffc, v26
	v_mul_f32_e32 v27, 0x2f800000, v26
	v_trunc_f32_e32 v27, v27
	v_madmk_f32 v26, v27, 0xcf800000, v26
	v_cvt_u32_f32_e32 v27, v27
	v_cvt_u32_f32_e32 v26, v26
	v_readfirstlane_b32 s11, v27
	v_readfirstlane_b32 s19, v26
	s_mul_i32 s28, s2, s11
	s_mul_hi_u32 s30, s2, s19
	s_mul_i32 s29, s3, s19
	s_add_i32 s28, s30, s28
	s_add_i32 s28, s28, s29
	s_mul_i32 s31, s2, s19
	s_mul_hi_u32 s29, s19, s28
	s_mul_i32 s30, s19, s28
	s_mul_hi_u32 s19, s19, s31
	s_add_u32 s19, s19, s30
	s_addc_u32 s29, 0, s29
	s_mul_hi_u32 s33, s11, s31
	s_mul_i32 s31, s11, s31
	s_add_u32 s19, s19, s31
	s_mul_hi_u32 s30, s11, s28
	s_addc_u32 s19, s29, s33
	s_addc_u32 s29, s30, 0
	s_mul_i32 s28, s11, s28
	s_add_u32 s19, s19, s28
	s_addc_u32 s28, 0, s29
	v_add_co_u32_e32 v26, vcc, s19, v26
	s_cmp_lg_u64 vcc, 0
	s_addc_u32 s11, s11, s28
	v_readfirstlane_b32 s28, v26
	s_mul_i32 s19, s2, s11
	s_mul_hi_u32 s29, s2, s28
	s_add_i32 s19, s29, s19
	s_mul_i32 s3, s3, s28
	s_add_i32 s19, s19, s3
	s_mul_i32 s2, s2, s28
	s_mul_hi_u32 s29, s11, s2
	s_mul_i32 s30, s11, s2
	s_mul_i32 s33, s28, s19
	s_mul_hi_u32 s2, s28, s2
	s_mul_hi_u32 s31, s28, s19
	s_add_u32 s2, s2, s33
	s_addc_u32 s28, 0, s31
	s_add_u32 s2, s2, s30
	s_mul_hi_u32 s3, s11, s19
	s_addc_u32 s2, s28, s29
	s_addc_u32 s3, s3, 0
	s_mul_i32 s19, s11, s19
	s_add_u32 s2, s2, s19
	s_addc_u32 s3, 0, s3
	v_add_co_u32_e32 v26, vcc, s2, v26
	s_cmp_lg_u64 vcc, 0
	s_addc_u32 s11, s11, s3
	s_ashr_i32 s28, s21, 31
	s_add_u32 s2, s20, s28
	s_mov_b32 s29, s28
	s_addc_u32 s3, s21, s28
	s_xor_b64 s[30:31], s[2:3], s[28:29]
	v_readfirstlane_b32 s19, v26
	s_mul_i32 s3, s30, s11
	s_mul_hi_u32 s21, s30, s19
	s_mul_hi_u32 s2, s30, s11
	s_add_u32 s3, s21, s3
	s_addc_u32 s2, 0, s2
	s_mul_hi_u32 s33, s31, s19
	s_mul_i32 s19, s31, s19
	s_add_u32 s3, s3, s19
	s_mul_hi_u32 s21, s31, s11
	s_addc_u32 s2, s2, s33
	s_addc_u32 s3, s21, 0
	s_mul_i32 s11, s31, s11
	s_add_u32 s11, s2, s11
	s_addc_u32 s19, 0, s3
	s_mul_i32 s2, s26, s19
	s_mul_hi_u32 s3, s26, s11
	s_add_i32 s2, s3, s2
	s_mul_i32 s3, s27, s11
	s_add_i32 s21, s2, s3
	s_mul_i32 s3, s26, s11
	v_mov_b32_e32 v26, s3
	s_sub_i32 s2, s31, s21
	v_sub_co_u32_e32 v26, vcc, s30, v26
	s_cmp_lg_u64 vcc, 0
	s_subb_u32 s30, s2, s27
	v_subrev_co_u32_e64 v27, s[2:3], s26, v26
	s_cmp_lg_u64 s[2:3], 0
	s_subb_u32 s30, s30, 0
	s_cmp_ge_u32 s30, s27
	s_cselect_b32 s33, -1, 0
	v_cmp_le_u32_e64 s[2:3], s26, v27
	s_cmp_eq_u32 s30, s27
	v_cndmask_b32_e64 v27, 0, -1, s[2:3]
	v_mov_b32_e32 v31, s33
	s_cselect_b64 s[2:3], -1, 0
	v_cndmask_b32_e64 v27, v31, v27, s[2:3]
	s_add_u32 s2, s11, 1
	s_addc_u32 s30, s19, 0
	s_add_u32 s3, s11, 2
	s_addc_u32 s33, s19, 0
	v_mov_b32_e32 v31, s2
	v_mov_b32_e32 v32, s3
	v_cmp_ne_u32_e64 s[2:3], 0, v27
	v_cndmask_b32_e64 v27, v31, v32, s[2:3]
	v_mov_b32_e32 v31, s30
	v_mov_b32_e32 v32, s33
	s_cmp_lg_u64 vcc, 0
	v_cndmask_b32_e64 v31, v31, v32, s[2:3]
	s_subb_u32 s2, s31, s21
	s_cmp_ge_u32 s2, s27
	s_cselect_b32 s3, -1, 0
	v_cmp_le_u32_e32 vcc, s26, v26
	s_cmp_eq_u32 s2, s27
	v_cndmask_b32_e64 v26, 0, -1, vcc
	v_mov_b32_e32 v32, s3
	s_cselect_b64 vcc, -1, 0
	v_cndmask_b32_e32 v26, v32, v26, vcc
	v_mov_b32_e32 v32, s19
	v_cmp_ne_u32_e32 vcc, 0, v26
	v_cndmask_b32_e32 v26, v32, v31, vcc
	v_mov_b32_e32 v31, s11
	v_cndmask_b32_e32 v27, v31, v27, vcc
	s_xor_b64 s[2:3], s[28:29], s[24:25]
	v_xor_b32_e32 v27, s2, v27
	v_xor_b32_e32 v31, s3, v26
	v_mov_b32_e32 v32, s3
	v_subrev_co_u32_e32 v26, vcc, s2, v27
	v_subb_co_u32_e32 v27, vcc, v31, v32, vcc
	s_cbranch_execnz .LBB81_38
.LBB81_37:
	v_cvt_f32_u32_e32 v26, s18
	s_sub_i32 s2, 0, s18
	s_mov_b32 s3, 0
	v_rcp_iflag_f32_e32 v26, v26
	v_mul_f32_e32 v26, 0x4f7ffffe, v26
	v_cvt_u32_f32_e32 v26, v26
	v_readfirstlane_b32 s11, v26
	s_mul_i32 s2, s2, s11
	s_mul_hi_u32 s2, s11, s2
	s_add_i32 s11, s11, s2
	s_mul_hi_u32 s2, s20, s11
	s_mul_i32 s19, s2, s18
	s_sub_i32 s19, s20, s19
	s_add_i32 s11, s2, 1
	s_sub_i32 s20, s19, s18
	s_cmp_ge_u32 s19, s18
	s_cselect_b32 s2, s11, s2
	s_cselect_b32 s19, s20, s19
	s_add_i32 s11, s2, 1
	s_cmp_ge_u32 s19, s18
	s_cselect_b32 s2, s11, s2
	v_pk_mov_b32 v[26:27], s[2:3], s[2:3] op_sel:[0,1]
.LBB81_38:
	v_add_co_u32_e32 v26, vcc, v26, v30
	v_addc_co_u32_e32 v27, vcc, 0, v27, vcc
	s_branch .LBB81_41
.LBB81_39:
                                        ; implicit-def: $vgpr26_vgpr27
	s_cbranch_execz .LBB81_41
; %bb.40:
	v_mul_lo_u32 v26, v30, s8
	v_ashrrev_i32_e32 v27, 31, v26
	v_mov_b32_e32 v30, s7
	v_add_co_u32_e32 v26, vcc, s6, v26
	v_addc_co_u32_e32 v27, vcc, v27, v30, vcc
.LBB81_41:
	s_mov_b64 s[2:3], exec
.LBB81_42:
	s_or_b64 exec, exec, s[16:17]
	s_and_b64 vcc, exec, s[14:15]
	s_cbranch_vccz .LBB81_46
.LBB81_43:
	v_mov_b32_dpp v26, v28 quad_perm:[1,0,3,2] row_mask:0xf bank_mask:0xf
	v_cmp_gt_f32_e32 vcc, v28, v26
	v_cndmask_b32_e32 v26, v26, v28, vcc
	s_nop 1
	v_mov_b32_dpp v27, v26 quad_perm:[2,3,0,1] row_mask:0xf bank_mask:0xf
	v_cmp_gt_f32_e32 vcc, v26, v27
	v_cndmask_b32_e32 v26, v27, v26, vcc
	s_nop 1
	v_mov_b32_dpp v27, v26 row_half_mirror row_mask:0xf bank_mask:0xf
	v_cmp_gt_f32_e32 vcc, v26, v27
	v_cndmask_b32_e32 v26, v27, v26, vcc
	s_nop 1
	v_mov_b32_dpp v27, v26 row_mirror row_mask:0xf bank_mask:0xf
	v_cmp_gt_f32_e32 vcc, v26, v27
	v_cndmask_b32_e32 v26, v27, v26, vcc
	s_nop 1
	v_mov_b32_dpp v27, v26 row_bcast:15 row_mask:0xf bank_mask:0xf
	v_cmp_gt_f32_e32 vcc, v26, v27
	v_cndmask_b32_e32 v26, v27, v26, vcc
	s_nop 1
	v_mov_b32_dpp v27, v26 row_bcast:31 row_mask:0xf bank_mask:0xf
	s_and_saveexec_b64 s[2:3], s[0:1]
	s_cbranch_execz .LBB81_45
; %bb.44:
	v_lshrrev_b32_e32 v28, 4, v0
	v_cmp_gt_f32_e32 vcc, v26, v27
	v_and_b32_e32 v28, 60, v28
	v_cndmask_b32_e32 v26, v27, v26, vcc
	ds_write_b32 v28, v26
.LBB81_45:
	s_or_b64 exec, exec, s[2:3]
	s_waitcnt lgkmcnt(0)
	s_barrier
	ds_read_b32 v1, v1
	v_cmp_eq_u32_e64 s[2:3], 0, v0
	s_waitcnt lgkmcnt(0)
	v_mov_b32_dpp v26, v1 quad_perm:[1,0,3,2] row_mask:0xf bank_mask:0xf
	v_cmp_gt_f32_e32 vcc, v1, v26
	v_cndmask_b32_e32 v1, v26, v1, vcc
	s_nop 1
	v_mov_b32_dpp v26, v1 quad_perm:[2,3,0,1] row_mask:0xf bank_mask:0xf
	v_cmp_gt_f32_e32 vcc, v1, v26
	v_cndmask_b32_e32 v1, v26, v1, vcc
	v_mul_f32_e32 v29, 0x3b124925, v1
	v_pk_mov_b32 v[26:27], s[6:7], s[6:7] op_sel:[0,1]
.LBB81_46:
	s_and_saveexec_b64 s[0:1], s[2:3]
	s_cbranch_execz .LBB81_48
; %bb.47:
	v_lshlrev_b64 v[0:1], 2, v[26:27]
	v_mov_b32_e32 v26, s13
	v_add_co_u32_e32 v0, vcc, s12, v0
	v_addc_co_u32_e32 v1, vcc, v26, v1, vcc
	global_store_dword v[0:1], v29, off
.LBB81_48:
	s_or_b64 exec, exec, s[0:1]
	s_add_i32 s2, s9, 3
	s_load_dwordx2 s[0:1], s[4:5], 0x0
	s_ashr_i32 s3, s2, 31
	s_lshr_b32 s3, s3, 30
	;;#ASMSTART
	v_rcp_f32 v0, v29
	;;#ASMEND
	v_mov_b32_e32 v1, v0
	;;#ASMSTART
	v_pk_mul_f32 v[24:25], v[24:25], v[0:1]
	;;#ASMEND
	s_add_i32 s2, s2, s3
	s_ashr_i32 s3, s10, 31
	v_mov_b32_e32 v26, 0xc3e00000
	v_mov_b32_e32 v27, 0x43e00000
	;;#ASMSTART
	v_med3_f32 v24, v24, v26, v27
v_med3_f32 v25, v25, v26, v27
v_cvt_pk_fp8_f32 v28, v24, v25
	;;#ASMEND
	;;#ASMSTART
	v_pk_mul_f32 v[22:23], v[22:23], v[0:1]
	;;#ASMEND
	s_mul_hi_u32 s4, s10, s6
	s_mul_i32 s3, s3, s6
	;;#ASMSTART
	v_med3_f32 v22, v22, v26, v27
v_med3_f32 v23, v23, v26, v27
v_cvt_pk_fp8_f32 v24, v22, v23
	;;#ASMEND
	s_mov_b32 s5, 0x5040100
	s_and_b32 s2, s2, -4
	s_add_i32 s4, s4, s3
	s_mul_i32 s3, s10, s6
	v_perm_b32 v23, v24, v28, s5
	s_movk_i32 s6, 0xff
	s_waitcnt lgkmcnt(0)
	s_add_u32 s0, s0, s3
	v_and_b32_e32 v22, 0xffffff00, v24
	v_and_b32_sdwa v24, v23, s6 dst_sel:DWORD dst_unused:UNUSED_PAD src0_sel:WORD_1 src1_sel:DWORD
	s_addc_u32 s1, s1, s4
	s_mov_b32 s4, 0xffff
	v_or_b32_sdwa v22, v24, v22 dst_sel:WORD_1 dst_unused:UNUSED_PAD src0_sel:DWORD src1_sel:DWORD
	;;#ASMSTART
	v_pk_mul_f32 v[20:21], v[20:21], v[0:1]
	;;#ASMEND
	v_and_or_b32 v22, v23, s4, v22
	;;#ASMSTART
	v_med3_f32 v20, v20, v26, v27
v_med3_f32 v21, v21, v26, v27
v_cvt_pk_fp8_f32 v23, v20, v21
	;;#ASMEND
	;;#ASMSTART
	v_pk_mul_f32 v[16:17], v[16:17], v[0:1]
	;;#ASMEND
	;;#ASMSTART
	v_med3_f32 v16, v16, v26, v27
v_med3_f32 v17, v17, v26, v27
v_cvt_pk_fp8_f32 v20, v16, v17
	;;#ASMEND
	v_lshlrev_b32_e32 v16, 16, v20
	s_and_b32 s1, s1, 0xffff
	s_mov_b32 s3, 0x20000
	v_and_or_b32 v23, v23, s4, v16
	buffer_store_dwordx2 v[22:23], v38, s[0:3], 0 offen
	;;#ASMSTART
	s_nop 0
	;;#ASMEND
	;;#ASMSTART
	v_pk_mul_f32 v[16:17], v[18:19], v[0:1]
	;;#ASMEND
	;;#ASMSTART
	v_med3_f32 v16, v16, v26, v27
v_med3_f32 v17, v17, v26, v27
v_cvt_pk_fp8_f32 v18, v16, v17
	;;#ASMEND
	;;#ASMSTART
	v_pk_mul_f32 v[14:15], v[14:15], v[0:1]
	;;#ASMEND
	;;#ASMSTART
	v_med3_f32 v14, v14, v26, v27
v_med3_f32 v15, v15, v26, v27
v_cvt_pk_fp8_f32 v16, v14, v15
	;;#ASMEND
	v_perm_b32 v15, v16, v18, s5
	v_and_b32_e32 v14, 0xffffff00, v16
	v_and_b32_sdwa v16, v15, s6 dst_sel:DWORD dst_unused:UNUSED_PAD src0_sel:WORD_1 src1_sel:DWORD
	v_or_b32_sdwa v14, v16, v14 dst_sel:WORD_1 dst_unused:UNUSED_PAD src0_sel:DWORD src1_sel:DWORD
	;;#ASMSTART
	v_pk_mul_f32 v[12:13], v[12:13], v[0:1]
	;;#ASMEND
	v_and_or_b32 v14, v15, s4, v14
	;;#ASMSTART
	v_med3_f32 v12, v12, v26, v27
v_med3_f32 v13, v13, v26, v27
v_cvt_pk_fp8_f32 v15, v12, v13
	;;#ASMEND
	;;#ASMSTART
	v_pk_mul_f32 v[8:9], v[8:9], v[0:1]
	;;#ASMEND
	;;#ASMSTART
	v_med3_f32 v8, v8, v26, v27
v_med3_f32 v9, v9, v26, v27
v_cvt_pk_fp8_f32 v12, v8, v9
	;;#ASMEND
	v_lshlrev_b32_e32 v8, 16, v12
	v_and_or_b32 v15, v15, s4, v8
	s_movk_i32 s7, 0x200
	buffer_store_dwordx2 v[14:15], v38, s[0:3], s7 offen
	;;#ASMSTART
	s_nop 0
	;;#ASMEND
	;;#ASMSTART
	v_pk_mul_f32 v[8:9], v[10:11], v[0:1]
	;;#ASMEND
	;;#ASMSTART
	v_med3_f32 v8, v8, v26, v27
v_med3_f32 v9, v9, v26, v27
v_cvt_pk_fp8_f32 v10, v8, v9
	;;#ASMEND
	;;#ASMSTART
	v_pk_mul_f32 v[6:7], v[6:7], v[0:1]
	;;#ASMEND
	;;#ASMSTART
	v_med3_f32 v6, v6, v26, v27
v_med3_f32 v7, v7, v26, v27
v_cvt_pk_fp8_f32 v8, v6, v7
	;;#ASMEND
	v_perm_b32 v7, v8, v10, s5
	v_and_b32_e32 v6, 0xffffff00, v8
	v_and_b32_sdwa v8, v7, s6 dst_sel:DWORD dst_unused:UNUSED_PAD src0_sel:WORD_1 src1_sel:DWORD
	v_or_b32_sdwa v6, v8, v6 dst_sel:WORD_1 dst_unused:UNUSED_PAD src0_sel:DWORD src1_sel:DWORD
	;;#ASMSTART
	v_pk_mul_f32 v[4:5], v[4:5], v[0:1]
	;;#ASMEND
	v_and_or_b32 v6, v7, s4, v6
	;;#ASMSTART
	v_med3_f32 v4, v4, v26, v27
v_med3_f32 v5, v5, v26, v27
v_cvt_pk_fp8_f32 v7, v4, v5
	;;#ASMEND
	;;#ASMSTART
	v_pk_mul_f32 v[0:1], v[2:3], v[0:1]
	;;#ASMEND
	;;#ASMSTART
	v_med3_f32 v0, v0, v26, v27
v_med3_f32 v1, v1, v26, v27
v_cvt_pk_fp8_f32 v2, v0, v1
	;;#ASMEND
	v_lshlrev_b32_e32 v0, 16, v2
	v_and_or_b32 v7, v7, s4, v0
	s_movk_i32 s4, 0x400
	buffer_store_dwordx2 v[6:7], v38, s[0:3], s4 offen
	;;#ASMSTART
	s_nop 0
	;;#ASMEND
.LBB81_49:
	s_endpgm
.LBB81_50:
                                        ; implicit-def: $vgpr26_vgpr27
	s_branch .LBB81_37
	.section	.rodata,"a",@progbits
	.p2align	6, 0x0
	.amdhsa_kernel _ZN5aiter24add_rmsnorm_quant_kernelIDF16_DB8_Li256ELi24ELb0ELb1ELb1ELi1EEEvPT0_PT_PfS5_S5_S5_diiiiiiib
		.amdhsa_group_segment_fixed_size 32
		.amdhsa_private_segment_fixed_size 0
		.amdhsa_kernarg_size 88
		.amdhsa_user_sgpr_count 6
		.amdhsa_user_sgpr_private_segment_buffer 1
		.amdhsa_user_sgpr_dispatch_ptr 0
		.amdhsa_user_sgpr_queue_ptr 0
		.amdhsa_user_sgpr_kernarg_segment_ptr 1
		.amdhsa_user_sgpr_dispatch_id 0
		.amdhsa_user_sgpr_flat_scratch_init 0
		.amdhsa_user_sgpr_kernarg_preload_length 0
		.amdhsa_user_sgpr_kernarg_preload_offset 0
		.amdhsa_user_sgpr_private_segment_size 0
		.amdhsa_uses_dynamic_stack 0
		.amdhsa_system_sgpr_private_segment_wavefront_offset 0
		.amdhsa_system_sgpr_workgroup_id_x 1
		.amdhsa_system_sgpr_workgroup_id_y 0
		.amdhsa_system_sgpr_workgroup_id_z 0
		.amdhsa_system_sgpr_workgroup_info 0
		.amdhsa_system_vgpr_workitem_id 0
		.amdhsa_next_free_vgpr 61
		.amdhsa_next_free_sgpr 34
		.amdhsa_accum_offset 64
		.amdhsa_reserve_vcc 1
		.amdhsa_reserve_flat_scratch 0
		.amdhsa_float_round_mode_32 0
		.amdhsa_float_round_mode_16_64 0
		.amdhsa_float_denorm_mode_32 3
		.amdhsa_float_denorm_mode_16_64 3
		.amdhsa_dx10_clamp 1
		.amdhsa_ieee_mode 1
		.amdhsa_fp16_overflow 0
		.amdhsa_tg_split 0
		.amdhsa_exception_fp_ieee_invalid_op 0
		.amdhsa_exception_fp_denorm_src 0
		.amdhsa_exception_fp_ieee_div_zero 0
		.amdhsa_exception_fp_ieee_overflow 0
		.amdhsa_exception_fp_ieee_underflow 0
		.amdhsa_exception_fp_ieee_inexact 0
		.amdhsa_exception_int_div_zero 0
	.end_amdhsa_kernel
	.section	.text._ZN5aiter24add_rmsnorm_quant_kernelIDF16_DB8_Li256ELi24ELb0ELb1ELb1ELi1EEEvPT0_PT_PfS5_S5_S5_diiiiiiib,"axG",@progbits,_ZN5aiter24add_rmsnorm_quant_kernelIDF16_DB8_Li256ELi24ELb0ELb1ELb1ELi1EEEvPT0_PT_PfS5_S5_S5_diiiiiiib,comdat
.Lfunc_end81:
	.size	_ZN5aiter24add_rmsnorm_quant_kernelIDF16_DB8_Li256ELi24ELb0ELb1ELb1ELi1EEEvPT0_PT_PfS5_S5_S5_diiiiiiib, .Lfunc_end81-_ZN5aiter24add_rmsnorm_quant_kernelIDF16_DB8_Li256ELi24ELb0ELb1ELb1ELi1EEEvPT0_PT_PfS5_S5_S5_diiiiiiib
                                        ; -- End function
	.section	.AMDGPU.csdata,"",@progbits
; Kernel info:
; codeLenInByte = 4284
; NumSgprs: 38
; NumVgprs: 61
; NumAgprs: 0
; TotalNumVgprs: 61
; ScratchSize: 0
; MemoryBound: 0
; FloatMode: 240
; IeeeMode: 1
; LDSByteSize: 32 bytes/workgroup (compile time only)
; SGPRBlocks: 4
; VGPRBlocks: 7
; NumSGPRsForWavesPerEU: 38
; NumVGPRsForWavesPerEU: 61
; AccumOffset: 64
; Occupancy: 8
; WaveLimiterHint : 0
; COMPUTE_PGM_RSRC2:SCRATCH_EN: 0
; COMPUTE_PGM_RSRC2:USER_SGPR: 6
; COMPUTE_PGM_RSRC2:TRAP_HANDLER: 0
; COMPUTE_PGM_RSRC2:TGID_X_EN: 1
; COMPUTE_PGM_RSRC2:TGID_Y_EN: 0
; COMPUTE_PGM_RSRC2:TGID_Z_EN: 0
; COMPUTE_PGM_RSRC2:TIDIG_COMP_CNT: 0
; COMPUTE_PGM_RSRC3_GFX90A:ACCUM_OFFSET: 15
; COMPUTE_PGM_RSRC3_GFX90A:TG_SPLIT: 0
	.section	.text._ZN5aiter24add_rmsnorm_quant_kernelItDB8_Li256ELi24ELb0ELb1ELb1ELi1EEEvPT0_PT_PfS5_S5_S5_diiiiiiib,"axG",@progbits,_ZN5aiter24add_rmsnorm_quant_kernelItDB8_Li256ELi24ELb0ELb1ELb1ELi1EEEvPT0_PT_PfS5_S5_S5_diiiiiiib,comdat
	.protected	_ZN5aiter24add_rmsnorm_quant_kernelItDB8_Li256ELi24ELb0ELb1ELb1ELi1EEEvPT0_PT_PfS5_S5_S5_diiiiiiib ; -- Begin function _ZN5aiter24add_rmsnorm_quant_kernelItDB8_Li256ELi24ELb0ELb1ELb1ELi1EEEvPT0_PT_PfS5_S5_S5_diiiiiiib
	.globl	_ZN5aiter24add_rmsnorm_quant_kernelItDB8_Li256ELi24ELb0ELb1ELb1ELi1EEEvPT0_PT_PfS5_S5_S5_diiiiiiib
	.p2align	8
	.type	_ZN5aiter24add_rmsnorm_quant_kernelItDB8_Li256ELi24ELb0ELb1ELb1ELi1EEEvPT0_PT_PfS5_S5_S5_diiiiiiib,@function
_ZN5aiter24add_rmsnorm_quant_kernelItDB8_Li256ELi24ELb0ELb1ELb1ELi1EEEvPT0_PT_PfS5_S5_S5_diiiiiiib: ; @_ZN5aiter24add_rmsnorm_quant_kernelItDB8_Li256ELi24ELb0ELb1ELb1ELi1EEEvPT0_PT_PfS5_S5_S5_diiiiiiib
; %bb.0:
	s_load_dwordx4 s[8:11], s[4:5], 0x38
	s_mov_b32 s7, 0
	s_waitcnt lgkmcnt(0)
	s_ashr_i32 s0, s8, 31
	v_mov_b32_e32 v2, s8
	v_mov_b32_e32 v3, s0
	v_cmp_ge_i64_e32 vcc, s[6:7], v[2:3]
	s_cbranch_vccnz .LBB82_49
; %bb.1:
	s_load_dwordx4 s[12:15], s[4:5], 0x10
	s_load_dwordx4 s[0:3], s[4:5], 0x28
	s_ashr_i32 s11, s10, 31
	s_mul_hi_u32 s16, s10, s6
	s_mul_i32 s11, s11, s6
	s_add_i32 s11, s16, s11
	s_mul_i32 s10, s10, s6
	s_lshl_b64 s[10:11], s[10:11], 1
	s_waitcnt lgkmcnt(0)
	s_add_u32 s16, s14, s10
	s_addc_u32 s10, s15, s11
	s_add_i32 s11, s9, 1
	s_lshr_b32 s14, s11, 31
	v_and_b32_e32 v2, 0x3c0, v0
	s_add_i32 s11, s11, s14
	s_and_b32 s17, s10, 0xffff
	v_lshlrev_b32_e32 v1, 3, v0
	v_mul_u32_u24_e32 v2, 24, v2
	s_movk_i32 s10, 0x1f8
	s_lshl_b32 s11, s11, 1
	v_and_or_b32 v38, v1, s10, v2
	s_and_b32 s18, s11, -4
	s_mov_b32 s19, 0x20000
	v_lshlrev_b32_e32 v1, 1, v38
	buffer_load_dwordx4 v[14:17], v1, s[16:19], 0 offen glc slc
	s_movk_i32 s10, 0x400
	buffer_load_dwordx4 v[18:21], v1, s[16:19], s10 offen glc slc
	s_movk_i32 s11, 0x800
	buffer_load_dwordx4 v[40:43], v1, s[16:19], s11 offen glc slc
	s_mov_b32 s16, s0
	s_and_b32 s17, s1, 0xffff
	buffer_load_dwordx4 v[10:13], v1, s[16:19], 0 offen
	buffer_load_dwordx4 v[6:9], v1, s[16:19], s10 offen
	;; [unrolled: 1-line block ×3, first 2 shown]
	v_and_b32_e32 v60, 63, v0
	v_cmp_eq_u32_e64 s[0:1], 63, v60
	s_waitcnt vmcnt(5)
	v_cvt_f32_u32_sdwa v37, v14 dst_sel:DWORD dst_unused:UNUSED_PAD src0_sel:WORD_1
	v_cvt_f32_u32_sdwa v36, v14 dst_sel:DWORD dst_unused:UNUSED_PAD src0_sel:WORD_0
	v_cvt_f32_u32_sdwa v35, v15 dst_sel:DWORD dst_unused:UNUSED_PAD src0_sel:WORD_1
	v_cvt_f32_u32_sdwa v34, v15 dst_sel:DWORD dst_unused:UNUSED_PAD src0_sel:WORD_0
	;; [unrolled: 2-line block ×3, first 2 shown]
	s_waitcnt vmcnt(4)
	v_cvt_f32_u32_sdwa v29, v18 dst_sel:DWORD dst_unused:UNUSED_PAD src0_sel:WORD_1
	v_cvt_f32_u32_sdwa v28, v18 dst_sel:DWORD dst_unused:UNUSED_PAD src0_sel:WORD_0
	v_cvt_f32_u32_sdwa v27, v19 dst_sel:DWORD dst_unused:UNUSED_PAD src0_sel:WORD_1
	v_cvt_f32_u32_sdwa v26, v19 dst_sel:DWORD dst_unused:UNUSED_PAD src0_sel:WORD_0
	;; [unrolled: 2-line block ×4, first 2 shown]
	s_waitcnt vmcnt(3)
	v_cvt_f32_u32_sdwa v21, v40 dst_sel:DWORD dst_unused:UNUSED_PAD src0_sel:WORD_1
	v_cvt_f32_u32_sdwa v20, v40 dst_sel:DWORD dst_unused:UNUSED_PAD src0_sel:WORD_0
	v_cvt_f32_u32_sdwa v19, v41 dst_sel:DWORD dst_unused:UNUSED_PAD src0_sel:WORD_1
	v_cvt_f32_u32_sdwa v18, v41 dst_sel:DWORD dst_unused:UNUSED_PAD src0_sel:WORD_0
	v_pk_mul_f32 v[40:41], v[36:37], v[36:37]
	v_cvt_f32_u32_sdwa v31, v17 dst_sel:DWORD dst_unused:UNUSED_PAD src0_sel:WORD_1
	v_cvt_f32_u32_sdwa v30, v17 dst_sel:DWORD dst_unused:UNUSED_PAD src0_sel:WORD_0
	v_cvt_f32_u32_sdwa v17, v42 dst_sel:DWORD dst_unused:UNUSED_PAD src0_sel:WORD_1
	v_cvt_f32_u32_sdwa v16, v42 dst_sel:DWORD dst_unused:UNUSED_PAD src0_sel:WORD_0
	;; [unrolled: 2-line block ×3, first 2 shown]
	v_pk_mul_f32 v[42:43], v[34:35], v[34:35]
	v_add_f32_e32 v1, v40, v41
	v_add_f32_e32 v1, v42, v1
	v_pk_mul_f32 v[44:45], v[32:33], v[32:33]
	v_add_f32_e32 v1, v43, v1
	v_add_f32_e32 v1, v44, v1
	;; [unrolled: 3-line block ×11, first 2 shown]
	v_add_f32_e32 v1, v43, v1
	s_nop 1
	v_mov_b32_dpp v39, v1 quad_perm:[1,0,3,2] row_mask:0xf bank_mask:0xf
	v_add_f32_e32 v1, v1, v39
	s_nop 1
	v_mov_b32_dpp v39, v1 quad_perm:[2,3,0,1] row_mask:0xf bank_mask:0xf
	v_add_f32_e32 v1, v1, v39
	s_nop 1
	v_mov_b32_dpp v39, v1 row_half_mirror row_mask:0xf bank_mask:0xf
	v_add_f32_e32 v1, v1, v39
	s_nop 1
	v_mov_b32_dpp v39, v1 row_mirror row_mask:0xf bank_mask:0xf
	v_add_f32_e32 v1, v1, v39
	s_nop 1
	v_mov_b32_dpp v39, v1 row_bcast:15 row_mask:0xf bank_mask:0xf
	v_add_f32_e32 v1, v1, v39
	s_nop 1
	v_mov_b32_dpp v39, v1 row_bcast:31 row_mask:0xf bank_mask:0xf
	s_and_saveexec_b64 s[10:11], s[0:1]
	s_cbranch_execz .LBB82_3
; %bb.2:
	v_lshrrev_b32_e32 v40, 4, v0
	v_and_b32_e32 v40, 60, v40
	v_add_f32_e32 v1, v1, v39
	ds_write_b32 v40, v1 offset:16
.LBB82_3:
	s_or_b64 exec, exec, s[10:11]
	v_and_b32_e32 v1, 3, v0
	v_lshlrev_b32_e32 v1, 2, v1
	s_waitcnt lgkmcnt(0)
	s_barrier
	ds_read_b32 v39, v1 offset:16
	v_cvt_f32_i32_e32 v40, s9
	s_waitcnt lgkmcnt(0)
	v_mov_b32_dpp v41, v39 quad_perm:[1,0,3,2] row_mask:0xf bank_mask:0xf
	v_add_f32_e32 v39, v39, v41
	s_nop 1
	v_mov_b32_dpp v41, v39 quad_perm:[2,3,0,1] row_mask:0xf bank_mask:0xf
	v_add_f32_e32 v39, v39, v41
	v_div_scale_f32 v41, s[10:11], v40, v40, v39
	v_rcp_f32_e32 v42, v41
	v_div_scale_f32 v43, vcc, v39, v40, v39
	s_load_dwordx2 s[10:11], s[4:5], 0x4c
	s_load_dword s18, s[4:5], 0x54
	v_fma_f32 v44, -v41, v42, 1.0
	v_fmac_f32_e32 v42, v44, v42
	v_mul_f32_e32 v44, v43, v42
	v_fma_f32 v45, -v41, v44, v43
	v_fmac_f32_e32 v44, v45, v42
	v_fma_f32 v41, -v41, v44, v43
	v_div_fmas_f32 v41, v41, v42, v44
	v_div_fixup_f32 v39, v41, v40, v39
	v_cvt_f64_f32_e32 v[40:41], v39
	v_add_f64 v[40:41], v[40:41], s[2:3]
	v_cvt_f32_f64_e32 v39, v[40:41]
	s_mov_b32 s2, 0x800000
	v_mul_f32_e32 v40, 0x4b800000, v39
	v_cmp_gt_f32_e32 vcc, s2, v39
	v_cndmask_b32_e32 v39, v39, v40, vcc
	v_rsq_f32_e32 v39, v39
	s_waitcnt lgkmcnt(0)
	s_cmp_lg_u32 s11, 0
	v_mul_f32_e32 v40, 0x45800000, v39
	v_cndmask_b32_e32 v40, v39, v40, vcc
	v_mov_b32_e32 v41, v40
	;;#ASMSTART
	v_pk_mul_f32 v[36:37], v[36:37], v[40:41]
	;;#ASMEND
	;;#ASMSTART
	v_pk_mul_f32 v[34:35], v[34:35], v[40:41]
	;;#ASMEND
	;; [unrolled: 3-line block ×12, first 2 shown]
	s_waitcnt vmcnt(2)
	v_cvt_f32_u32_sdwa v15, v10 dst_sel:DWORD dst_unused:UNUSED_PAD src0_sel:WORD_1
	v_cvt_f32_u32_sdwa v14, v10 dst_sel:DWORD dst_unused:UNUSED_PAD src0_sel:WORD_0
	v_cvt_f32_u32_sdwa v17, v11 dst_sel:DWORD dst_unused:UNUSED_PAD src0_sel:WORD_1
	v_cvt_f32_u32_sdwa v16, v11 dst_sel:DWORD dst_unused:UNUSED_PAD src0_sel:WORD_0
	;; [unrolled: 2-line block ×4, first 2 shown]
	;;#ASMSTART
	v_pk_mul_f32 v[24:25], v[36:37], v[14:15]
	;;#ASMEND
	;;#ASMSTART
	v_pk_mul_f32 v[22:23], v[34:35], v[16:17]
	;;#ASMEND
	;; [unrolled: 3-line block ×3, first 2 shown]
	s_waitcnt vmcnt(1)
	v_cvt_f32_u32_sdwa v11, v6 dst_sel:DWORD dst_unused:UNUSED_PAD src0_sel:WORD_1
	v_cvt_f32_u32_sdwa v10, v6 dst_sel:DWORD dst_unused:UNUSED_PAD src0_sel:WORD_0
	v_cvt_f32_u32_sdwa v13, v7 dst_sel:DWORD dst_unused:UNUSED_PAD src0_sel:WORD_1
	v_cvt_f32_u32_sdwa v12, v7 dst_sel:DWORD dst_unused:UNUSED_PAD src0_sel:WORD_0
	;; [unrolled: 2-line block ×3, first 2 shown]
	;;#ASMSTART
	v_pk_mul_f32 v[16:17], v[30:31], v[18:19]
	;;#ASMEND
	;;#ASMSTART
	v_pk_mul_f32 v[18:19], v[28:29], v[10:11]
	;;#ASMEND
	;; [unrolled: 3-line block ×4, first 2 shown]
	s_waitcnt vmcnt(0)
	v_cvt_f32_u32_sdwa v7, v2 dst_sel:DWORD dst_unused:UNUSED_PAD src0_sel:WORD_1
	v_cvt_f32_u32_sdwa v6, v2 dst_sel:DWORD dst_unused:UNUSED_PAD src0_sel:WORD_0
	v_cvt_f32_u32_sdwa v27, v3 dst_sel:DWORD dst_unused:UNUSED_PAD src0_sel:WORD_1
	v_cvt_f32_u32_sdwa v26, v3 dst_sel:DWORD dst_unused:UNUSED_PAD src0_sel:WORD_0
	;; [unrolled: 2-line block ×3, first 2 shown]
	v_cvt_f32_u32_sdwa v28, v5 dst_sel:DWORD dst_unused:UNUSED_PAD src0_sel:WORD_0
	v_cvt_f32_u32_sdwa v31, v9 dst_sel:DWORD dst_unused:UNUSED_PAD src0_sel:WORD_1
	v_cvt_f32_u32_sdwa v30, v9 dst_sel:DWORD dst_unused:UNUSED_PAD src0_sel:WORD_0
	;;#ASMSTART
	v_pk_mul_f32 v[8:9], v[44:45], v[30:31]
	;;#ASMEND
	v_cvt_f32_u32_sdwa v29, v5 dst_sel:DWORD dst_unused:UNUSED_PAD src0_sel:WORD_1
	;;#ASMSTART
	v_pk_mul_f32 v[10:11], v[46:47], v[6:7]
	;;#ASMEND
	;;#ASMSTART
	v_pk_mul_f32 v[6:7], v[48:49], v[26:27]
	;;#ASMEND
	;; [unrolled: 3-line block ×4, first 2 shown]
	v_and_b32_e32 v26, 0x7fffffff, v24
	v_mov_b32_e32 v28, 0x2edbe6ff
	v_and_b32_e32 v27, 0x7fffffff, v25
	;;#ASMSTART
	v_max3_f32 v26, v28, v26, v27

	;;#ASMEND
	v_and_b32_e32 v28, 0x7fffffff, v23
	v_and_b32_e32 v27, 0x7fffffff, v22
	;;#ASMSTART
	v_max3_f32 v26, v26, v27, v28

	;;#ASMEND
	v_and_b32_e32 v28, 0x7fffffff, v21
	;; [unrolled: 6-line block ×11, first 2 shown]
	v_and_b32_e32 v27, 0x7fffffff, v2
	;;#ASMSTART
	v_max3_f32 v28, v26, v27, v28

	;;#ASMEND
	s_cbranch_scc0 .LBB82_10
; %bb.4:
	s_mul_hi_i32 s2, s11, 0x2aaaaaab
	s_lshr_b32 s3, s2, 31
	s_ashr_i32 s14, s2, 2
	s_add_i32 s14, s14, s3
	s_cmp_lt_i32 s14, 16
	s_cbranch_scc1 .LBB82_11
; %bb.5:
	s_cmp_lt_i32 s14, 32
	s_cbranch_scc1 .LBB82_12
; %bb.6:
	;; [unrolled: 3-line block ×3, first 2 shown]
	s_cmp_eq_u32 s14, 64
	v_mov_b32_e32 v26, v28
	s_cbranch_scc0 .LBB82_9
; %bb.8:
	s_nop 0
	v_mov_b32_dpp v26, v28 quad_perm:[1,0,3,2] row_mask:0xf bank_mask:0xf
	v_cmp_gt_f32_e32 vcc, v28, v26
	v_cndmask_b32_e32 v26, v26, v28, vcc
	v_bfrev_b32_e32 v29, 0.5
	s_nop 0
	v_mov_b32_dpp v27, v26 quad_perm:[2,3,0,1] row_mask:0xf bank_mask:0xf
	v_cmp_gt_f32_e32 vcc, v26, v27
	v_cndmask_b32_e32 v26, v27, v26, vcc
	s_nop 1
	v_mov_b32_dpp v27, v26 row_ror:4 row_mask:0xf bank_mask:0xf
	v_cmp_gt_f32_e32 vcc, v26, v27
	v_cndmask_b32_e32 v26, v27, v26, vcc
	s_nop 1
	v_mov_b32_dpp v27, v26 row_ror:8 row_mask:0xf bank_mask:0xf
	v_cmp_gt_f32_e32 vcc, v26, v27
	v_cndmask_b32_e32 v26, v27, v26, vcc
	s_nop 1
	v_mov_b32_dpp v27, v26 row_bcast:15 row_mask:0xf bank_mask:0xf
	v_cmp_gt_f32_e32 vcc, v26, v27
	v_cndmask_b32_e32 v26, v27, v26, vcc
	s_nop 1
	v_mov_b32_dpp v27, v26 row_bcast:31 row_mask:0xf bank_mask:0xf
	v_cmp_gt_f32_e32 vcc, v26, v27
	v_cndmask_b32_e32 v26, v27, v26, vcc
	v_mbcnt_lo_u32_b32 v27, -1, 0
	v_mbcnt_hi_u32_b32 v27, -1, v27
	v_lshl_or_b32 v27, v27, 2, v29
	ds_bpermute_b32 v26, v27, v26
.LBB82_9:
	s_mov_b64 s[2:3], 0
	s_branch .LBB82_14
.LBB82_10:
	s_mov_b64 s[2:3], 0
                                        ; implicit-def: $vgpr29
                                        ; implicit-def: $vgpr26_vgpr27
	s_cbranch_execnz .LBB82_43
	s_branch .LBB82_46
.LBB82_11:
                                        ; implicit-def: $vgpr26
	s_branch .LBB82_21
.LBB82_12:
                                        ; implicit-def: $vgpr26
	s_branch .LBB82_18
.LBB82_13:
	s_mov_b64 s[2:3], -1
                                        ; implicit-def: $vgpr26
.LBB82_14:
	s_andn2_b64 vcc, exec, s[2:3]
	s_cbranch_vccnz .LBB82_17
; %bb.15:
	s_cmp_eq_u32 s14, 32
	s_waitcnt lgkmcnt(0)
	v_mov_b32_e32 v26, v28
	s_cbranch_scc0 .LBB82_17
; %bb.16:
	s_nop 0
	v_mov_b32_dpp v26, v28 quad_perm:[1,0,3,2] row_mask:0xf bank_mask:0xf
	v_cmp_gt_f32_e32 vcc, v28, v26
	v_cndmask_b32_e32 v26, v26, v28, vcc
	v_mov_b32_e32 v29, 0x7c
	s_nop 0
	v_mov_b32_dpp v27, v26 quad_perm:[2,3,0,1] row_mask:0xf bank_mask:0xf
	v_cmp_gt_f32_e32 vcc, v26, v27
	v_cndmask_b32_e32 v26, v27, v26, vcc
	s_nop 1
	v_mov_b32_dpp v27, v26 row_half_mirror row_mask:0xf bank_mask:0xf
	v_cmp_gt_f32_e32 vcc, v26, v27
	v_cndmask_b32_e32 v26, v27, v26, vcc
	s_nop 1
	v_mov_b32_dpp v27, v26 row_mirror row_mask:0xf bank_mask:0xf
	v_cmp_gt_f32_e32 vcc, v26, v27
	v_cndmask_b32_e32 v26, v27, v26, vcc
	s_nop 1
	v_mov_b32_dpp v27, v26 row_bcast:15 row_mask:0xa bank_mask:0xf
	v_cmp_gt_f32_e32 vcc, v26, v27
	v_cndmask_b32_e32 v26, v27, v26, vcc
	v_mbcnt_lo_u32_b32 v27, -1, 0
	v_mbcnt_hi_u32_b32 v27, -1, v27
	v_lshl_or_b32 v27, v27, 2, v29
	ds_bpermute_b32 v26, v27, v26
.LBB82_17:
	s_cbranch_execnz .LBB82_20
.LBB82_18:
	s_cmp_eq_u32 s14, 16
	s_waitcnt lgkmcnt(0)
	v_mov_b32_e32 v26, v28
	s_cbranch_scc0 .LBB82_20
; %bb.19:
	s_nop 0
	v_mov_b32_dpp v26, v28 quad_perm:[1,0,3,2] row_mask:0xf bank_mask:0xf
	v_cmp_gt_f32_e32 vcc, v28, v26
	v_cndmask_b32_e32 v26, v26, v28, vcc
	s_nop 1
	v_mov_b32_dpp v27, v26 quad_perm:[2,3,0,1] row_mask:0xf bank_mask:0xf
	v_cmp_gt_f32_e32 vcc, v26, v27
	v_cndmask_b32_e32 v26, v27, v26, vcc
	s_nop 1
	v_mov_b32_dpp v27, v26 row_half_mirror row_mask:0xf bank_mask:0xf
	v_cmp_gt_f32_e32 vcc, v26, v27
	v_cndmask_b32_e32 v26, v27, v26, vcc
	s_nop 1
	v_mov_b32_dpp v27, v26 row_mirror row_mask:0xf bank_mask:0xf
	v_cmp_gt_f32_e32 vcc, v26, v27
	v_cndmask_b32_e32 v26, v27, v26, vcc
.LBB82_20:
	s_cbranch_execnz .LBB82_33
.LBB82_21:
	s_cmp_lt_i32 s14, 4
	s_cbranch_scc1 .LBB82_25
; %bb.22:
	s_cmp_lt_i32 s14, 8
	s_cbranch_scc1 .LBB82_26
; %bb.23:
	s_cmp_eq_u32 s14, 8
	s_waitcnt lgkmcnt(0)
	v_mov_b32_e32 v26, v28
	s_cbranch_scc0 .LBB82_27
; %bb.24:
	s_nop 0
	v_mov_b32_dpp v26, v28 quad_perm:[1,0,3,2] row_mask:0xf bank_mask:0xf
	v_cmp_gt_f32_e32 vcc, v28, v26
	v_cndmask_b32_e32 v26, v26, v28, vcc
	s_nop 1
	v_mov_b32_dpp v27, v26 quad_perm:[2,3,0,1] row_mask:0xf bank_mask:0xf
	v_cmp_gt_f32_e32 vcc, v26, v27
	v_cndmask_b32_e32 v26, v27, v26, vcc
	s_nop 1
	v_mov_b32_dpp v27, v26 row_half_mirror row_mask:0xf bank_mask:0xf
	v_cmp_gt_f32_e32 vcc, v26, v27
	v_cndmask_b32_e32 v26, v27, v26, vcc
	s_cbranch_execz .LBB82_28
	s_branch .LBB82_30
.LBB82_25:
                                        ; implicit-def: $vgpr26
	s_branch .LBB82_31
.LBB82_26:
                                        ; implicit-def: $vgpr26
	s_branch .LBB82_28
.LBB82_27:
	s_cbranch_execnz .LBB82_30
.LBB82_28:
	s_cmp_eq_u32 s14, 4
	s_waitcnt lgkmcnt(0)
	v_mov_b32_e32 v26, v28
	s_cbranch_scc0 .LBB82_30
; %bb.29:
	s_nop 0
	v_mov_b32_dpp v26, v28 quad_perm:[1,0,3,2] row_mask:0xf bank_mask:0xf
	v_cmp_gt_f32_e32 vcc, v28, v26
	v_cndmask_b32_e32 v26, v26, v28, vcc
	s_nop 1
	v_mov_b32_dpp v27, v26 quad_perm:[2,3,0,1] row_mask:0xf bank_mask:0xf
	v_cmp_gt_f32_e32 vcc, v26, v27
	v_cndmask_b32_e32 v26, v27, v26, vcc
.LBB82_30:
	s_cbranch_execnz .LBB82_33
.LBB82_31:
	s_cmp_lg_u32 s14, 2
	s_waitcnt lgkmcnt(0)
	v_mov_b32_e32 v26, v28
	s_cbranch_scc1 .LBB82_33
; %bb.32:
	s_nop 0
	v_mov_b32_dpp v26, v28 quad_perm:[1,0,3,2] row_mask:0xf bank_mask:0xf
	v_cmp_gt_f32_e32 vcc, v28, v26
	v_cndmask_b32_e32 v26, v26, v28, vcc
.LBB82_33:
	v_cvt_f32_u32_e32 v27, s14
	s_waitcnt lgkmcnt(0)
	v_mul_f32_e32 v29, 0x3b124925, v26
	s_sub_i32 s2, 0, s14
	v_rcp_iflag_f32_e32 v27, v27
	v_mul_f32_e32 v26, 0x4f7ffffe, v27
	v_cvt_u32_f32_e32 v26, v26
	v_mul_u32_u24_e32 v27, 24, v0
	v_cmp_gt_u32_e32 vcc, s9, v27
	v_mul_lo_u32 v27, s2, v26
	v_mul_hi_u32 v27, v26, v27
	v_add_u32_e32 v26, v26, v27
	v_mul_hi_u32 v26, v0, v26
	v_mul_lo_u32 v27, v26, s14
	v_sub_u32_e32 v27, v0, v27
	v_add_u32_e32 v30, 1, v26
	v_cmp_le_u32_e64 s[2:3], s14, v27
	v_cndmask_b32_e64 v26, v26, v30, s[2:3]
	v_subrev_u32_e32 v30, s14, v27
	v_cndmask_b32_e64 v27, v27, v30, s[2:3]
	v_add_u32_e32 v30, 1, v26
	v_cmp_le_u32_e64 s[2:3], s14, v27
	v_cndmask_b32_e64 v30, v26, v30, s[2:3]
	v_mul_lo_u32 v26, v30, s14
	v_sub_u32_e32 v26, v0, v26
	v_cmp_eq_u32_e64 s[2:3], 0, v26
	s_and_b64 s[16:17], s[2:3], vcc
	s_mov_b64 s[14:15], 0
	s_mov_b64 s[2:3], 0
                                        ; implicit-def: $vgpr26_vgpr27
	s_and_saveexec_b64 s[20:21], s[16:17]
	s_xor_b64 s[16:17], exec, s[20:21]
	s_cbranch_execz .LBB82_42
; %bb.34:
	s_bitcmp0_b32 s18, 0
	s_cbranch_scc0 .LBB82_39
; %bb.35:
	s_ashr_i32 s2, s9, 31
	s_mul_hi_u32 s3, s9, s6
	s_mul_i32 s2, s2, s6
	s_add_i32 s21, s3, s2
	s_mul_i32 s20, s9, s6
	s_ashr_i32 s19, s11, 31
	s_mov_b32 s18, s11
	s_or_b64 s[2:3], s[20:21], s[18:19]
	s_mov_b32 s2, 0
	s_cmp_lg_u64 s[2:3], 0
	s_cbranch_scc0 .LBB82_50
; %bb.36:
	s_add_u32 s2, s18, s19
	s_mov_b32 s24, s19
	s_mov_b32 s25, s19
	s_addc_u32 s3, s19, s19
	s_xor_b64 s[26:27], s[2:3], s[24:25]
	v_cvt_f32_u32_e32 v26, s26
	v_cvt_f32_u32_e32 v27, s27
	s_sub_u32 s2, 0, s26
	s_subb_u32 s3, 0, s27
	v_madmk_f32 v26, v27, 0x4f800000, v26
	v_rcp_f32_e32 v26, v26
	v_mul_f32_e32 v26, 0x5f7ffffc, v26
	v_mul_f32_e32 v27, 0x2f800000, v26
	v_trunc_f32_e32 v27, v27
	v_madmk_f32 v26, v27, 0xcf800000, v26
	v_cvt_u32_f32_e32 v27, v27
	v_cvt_u32_f32_e32 v26, v26
	v_readfirstlane_b32 s11, v27
	v_readfirstlane_b32 s19, v26
	s_mul_i32 s28, s2, s11
	s_mul_hi_u32 s30, s2, s19
	s_mul_i32 s29, s3, s19
	s_add_i32 s28, s30, s28
	s_add_i32 s28, s28, s29
	s_mul_i32 s31, s2, s19
	s_mul_hi_u32 s29, s19, s28
	s_mul_i32 s30, s19, s28
	s_mul_hi_u32 s19, s19, s31
	s_add_u32 s19, s19, s30
	s_addc_u32 s29, 0, s29
	s_mul_hi_u32 s33, s11, s31
	s_mul_i32 s31, s11, s31
	s_add_u32 s19, s19, s31
	s_mul_hi_u32 s30, s11, s28
	s_addc_u32 s19, s29, s33
	s_addc_u32 s29, s30, 0
	s_mul_i32 s28, s11, s28
	s_add_u32 s19, s19, s28
	s_addc_u32 s28, 0, s29
	v_add_co_u32_e32 v26, vcc, s19, v26
	s_cmp_lg_u64 vcc, 0
	s_addc_u32 s11, s11, s28
	v_readfirstlane_b32 s28, v26
	s_mul_i32 s19, s2, s11
	s_mul_hi_u32 s29, s2, s28
	s_add_i32 s19, s29, s19
	s_mul_i32 s3, s3, s28
	s_add_i32 s19, s19, s3
	s_mul_i32 s2, s2, s28
	s_mul_hi_u32 s29, s11, s2
	s_mul_i32 s30, s11, s2
	s_mul_i32 s33, s28, s19
	s_mul_hi_u32 s2, s28, s2
	s_mul_hi_u32 s31, s28, s19
	s_add_u32 s2, s2, s33
	s_addc_u32 s28, 0, s31
	s_add_u32 s2, s2, s30
	s_mul_hi_u32 s3, s11, s19
	s_addc_u32 s2, s28, s29
	s_addc_u32 s3, s3, 0
	s_mul_i32 s19, s11, s19
	s_add_u32 s2, s2, s19
	s_addc_u32 s3, 0, s3
	v_add_co_u32_e32 v26, vcc, s2, v26
	s_cmp_lg_u64 vcc, 0
	s_addc_u32 s11, s11, s3
	s_ashr_i32 s28, s21, 31
	s_add_u32 s2, s20, s28
	s_mov_b32 s29, s28
	s_addc_u32 s3, s21, s28
	s_xor_b64 s[30:31], s[2:3], s[28:29]
	v_readfirstlane_b32 s19, v26
	s_mul_i32 s3, s30, s11
	s_mul_hi_u32 s21, s30, s19
	s_mul_hi_u32 s2, s30, s11
	s_add_u32 s3, s21, s3
	s_addc_u32 s2, 0, s2
	s_mul_hi_u32 s33, s31, s19
	s_mul_i32 s19, s31, s19
	s_add_u32 s3, s3, s19
	s_mul_hi_u32 s21, s31, s11
	s_addc_u32 s2, s2, s33
	s_addc_u32 s3, s21, 0
	s_mul_i32 s11, s31, s11
	s_add_u32 s11, s2, s11
	s_addc_u32 s19, 0, s3
	s_mul_i32 s2, s26, s19
	s_mul_hi_u32 s3, s26, s11
	s_add_i32 s2, s3, s2
	s_mul_i32 s3, s27, s11
	s_add_i32 s21, s2, s3
	s_mul_i32 s3, s26, s11
	v_mov_b32_e32 v26, s3
	s_sub_i32 s2, s31, s21
	v_sub_co_u32_e32 v26, vcc, s30, v26
	s_cmp_lg_u64 vcc, 0
	s_subb_u32 s30, s2, s27
	v_subrev_co_u32_e64 v27, s[2:3], s26, v26
	s_cmp_lg_u64 s[2:3], 0
	s_subb_u32 s30, s30, 0
	s_cmp_ge_u32 s30, s27
	s_cselect_b32 s33, -1, 0
	v_cmp_le_u32_e64 s[2:3], s26, v27
	s_cmp_eq_u32 s30, s27
	v_cndmask_b32_e64 v27, 0, -1, s[2:3]
	v_mov_b32_e32 v31, s33
	s_cselect_b64 s[2:3], -1, 0
	v_cndmask_b32_e64 v27, v31, v27, s[2:3]
	s_add_u32 s2, s11, 1
	s_addc_u32 s30, s19, 0
	s_add_u32 s3, s11, 2
	s_addc_u32 s33, s19, 0
	v_mov_b32_e32 v31, s2
	v_mov_b32_e32 v32, s3
	v_cmp_ne_u32_e64 s[2:3], 0, v27
	v_cndmask_b32_e64 v27, v31, v32, s[2:3]
	v_mov_b32_e32 v31, s30
	v_mov_b32_e32 v32, s33
	s_cmp_lg_u64 vcc, 0
	v_cndmask_b32_e64 v31, v31, v32, s[2:3]
	s_subb_u32 s2, s31, s21
	s_cmp_ge_u32 s2, s27
	s_cselect_b32 s3, -1, 0
	v_cmp_le_u32_e32 vcc, s26, v26
	s_cmp_eq_u32 s2, s27
	v_cndmask_b32_e64 v26, 0, -1, vcc
	v_mov_b32_e32 v32, s3
	s_cselect_b64 vcc, -1, 0
	v_cndmask_b32_e32 v26, v32, v26, vcc
	v_mov_b32_e32 v32, s19
	v_cmp_ne_u32_e32 vcc, 0, v26
	v_cndmask_b32_e32 v26, v32, v31, vcc
	v_mov_b32_e32 v31, s11
	v_cndmask_b32_e32 v27, v31, v27, vcc
	s_xor_b64 s[2:3], s[28:29], s[24:25]
	v_xor_b32_e32 v27, s2, v27
	v_xor_b32_e32 v31, s3, v26
	v_mov_b32_e32 v32, s3
	v_subrev_co_u32_e32 v26, vcc, s2, v27
	v_subb_co_u32_e32 v27, vcc, v31, v32, vcc
	s_cbranch_execnz .LBB82_38
.LBB82_37:
	v_cvt_f32_u32_e32 v26, s18
	s_sub_i32 s2, 0, s18
	s_mov_b32 s3, 0
	v_rcp_iflag_f32_e32 v26, v26
	v_mul_f32_e32 v26, 0x4f7ffffe, v26
	v_cvt_u32_f32_e32 v26, v26
	v_readfirstlane_b32 s11, v26
	s_mul_i32 s2, s2, s11
	s_mul_hi_u32 s2, s11, s2
	s_add_i32 s11, s11, s2
	s_mul_hi_u32 s2, s20, s11
	s_mul_i32 s19, s2, s18
	s_sub_i32 s19, s20, s19
	s_add_i32 s11, s2, 1
	s_sub_i32 s20, s19, s18
	s_cmp_ge_u32 s19, s18
	s_cselect_b32 s2, s11, s2
	s_cselect_b32 s19, s20, s19
	s_add_i32 s11, s2, 1
	s_cmp_ge_u32 s19, s18
	s_cselect_b32 s2, s11, s2
	v_pk_mov_b32 v[26:27], s[2:3], s[2:3] op_sel:[0,1]
.LBB82_38:
	v_add_co_u32_e32 v26, vcc, v26, v30
	v_addc_co_u32_e32 v27, vcc, 0, v27, vcc
	s_branch .LBB82_41
.LBB82_39:
                                        ; implicit-def: $vgpr26_vgpr27
	s_cbranch_execz .LBB82_41
; %bb.40:
	v_mul_lo_u32 v26, v30, s8
	v_ashrrev_i32_e32 v27, 31, v26
	v_mov_b32_e32 v30, s7
	v_add_co_u32_e32 v26, vcc, s6, v26
	v_addc_co_u32_e32 v27, vcc, v27, v30, vcc
.LBB82_41:
	s_mov_b64 s[2:3], exec
.LBB82_42:
	s_or_b64 exec, exec, s[16:17]
	s_and_b64 vcc, exec, s[14:15]
	s_cbranch_vccz .LBB82_46
.LBB82_43:
	v_mov_b32_dpp v26, v28 quad_perm:[1,0,3,2] row_mask:0xf bank_mask:0xf
	v_cmp_gt_f32_e32 vcc, v28, v26
	v_cndmask_b32_e32 v26, v26, v28, vcc
	s_nop 1
	v_mov_b32_dpp v27, v26 quad_perm:[2,3,0,1] row_mask:0xf bank_mask:0xf
	v_cmp_gt_f32_e32 vcc, v26, v27
	v_cndmask_b32_e32 v26, v27, v26, vcc
	s_nop 1
	v_mov_b32_dpp v27, v26 row_half_mirror row_mask:0xf bank_mask:0xf
	v_cmp_gt_f32_e32 vcc, v26, v27
	v_cndmask_b32_e32 v26, v27, v26, vcc
	s_nop 1
	v_mov_b32_dpp v27, v26 row_mirror row_mask:0xf bank_mask:0xf
	v_cmp_gt_f32_e32 vcc, v26, v27
	v_cndmask_b32_e32 v26, v27, v26, vcc
	s_nop 1
	v_mov_b32_dpp v27, v26 row_bcast:15 row_mask:0xf bank_mask:0xf
	v_cmp_gt_f32_e32 vcc, v26, v27
	v_cndmask_b32_e32 v26, v27, v26, vcc
	s_nop 1
	v_mov_b32_dpp v27, v26 row_bcast:31 row_mask:0xf bank_mask:0xf
	s_and_saveexec_b64 s[2:3], s[0:1]
	s_cbranch_execz .LBB82_45
; %bb.44:
	v_lshrrev_b32_e32 v28, 4, v0
	v_cmp_gt_f32_e32 vcc, v26, v27
	v_and_b32_e32 v28, 60, v28
	v_cndmask_b32_e32 v26, v27, v26, vcc
	ds_write_b32 v28, v26
.LBB82_45:
	s_or_b64 exec, exec, s[2:3]
	s_waitcnt lgkmcnt(0)
	s_barrier
	ds_read_b32 v1, v1
	v_cmp_eq_u32_e64 s[2:3], 0, v0
	s_waitcnt lgkmcnt(0)
	v_mov_b32_dpp v26, v1 quad_perm:[1,0,3,2] row_mask:0xf bank_mask:0xf
	v_cmp_gt_f32_e32 vcc, v1, v26
	v_cndmask_b32_e32 v1, v26, v1, vcc
	s_nop 1
	v_mov_b32_dpp v26, v1 quad_perm:[2,3,0,1] row_mask:0xf bank_mask:0xf
	v_cmp_gt_f32_e32 vcc, v1, v26
	v_cndmask_b32_e32 v1, v26, v1, vcc
	v_mul_f32_e32 v29, 0x3b124925, v1
	v_pk_mov_b32 v[26:27], s[6:7], s[6:7] op_sel:[0,1]
.LBB82_46:
	s_and_saveexec_b64 s[0:1], s[2:3]
	s_cbranch_execz .LBB82_48
; %bb.47:
	v_lshlrev_b64 v[0:1], 2, v[26:27]
	v_mov_b32_e32 v26, s13
	v_add_co_u32_e32 v0, vcc, s12, v0
	v_addc_co_u32_e32 v1, vcc, v26, v1, vcc
	global_store_dword v[0:1], v29, off
.LBB82_48:
	s_or_b64 exec, exec, s[0:1]
	s_add_i32 s2, s9, 3
	s_load_dwordx2 s[0:1], s[4:5], 0x0
	s_ashr_i32 s3, s2, 31
	s_lshr_b32 s3, s3, 30
	;;#ASMSTART
	v_rcp_f32 v0, v29
	;;#ASMEND
	v_mov_b32_e32 v1, v0
	;;#ASMSTART
	v_pk_mul_f32 v[24:25], v[24:25], v[0:1]
	;;#ASMEND
	s_add_i32 s2, s2, s3
	s_ashr_i32 s3, s10, 31
	v_mov_b32_e32 v26, 0xc3e00000
	v_mov_b32_e32 v27, 0x43e00000
	;;#ASMSTART
	v_med3_f32 v24, v24, v26, v27
v_med3_f32 v25, v25, v26, v27
v_cvt_pk_fp8_f32 v28, v24, v25
	;;#ASMEND
	;;#ASMSTART
	v_pk_mul_f32 v[22:23], v[22:23], v[0:1]
	;;#ASMEND
	s_mul_hi_u32 s4, s10, s6
	s_mul_i32 s3, s3, s6
	;;#ASMSTART
	v_med3_f32 v22, v22, v26, v27
v_med3_f32 v23, v23, v26, v27
v_cvt_pk_fp8_f32 v24, v22, v23
	;;#ASMEND
	s_mov_b32 s5, 0x5040100
	s_and_b32 s2, s2, -4
	s_add_i32 s4, s4, s3
	s_mul_i32 s3, s10, s6
	v_perm_b32 v23, v24, v28, s5
	s_movk_i32 s6, 0xff
	s_waitcnt lgkmcnt(0)
	s_add_u32 s0, s0, s3
	v_and_b32_e32 v22, 0xffffff00, v24
	v_and_b32_sdwa v24, v23, s6 dst_sel:DWORD dst_unused:UNUSED_PAD src0_sel:WORD_1 src1_sel:DWORD
	s_addc_u32 s1, s1, s4
	s_mov_b32 s4, 0xffff
	v_or_b32_sdwa v22, v24, v22 dst_sel:WORD_1 dst_unused:UNUSED_PAD src0_sel:DWORD src1_sel:DWORD
	;;#ASMSTART
	v_pk_mul_f32 v[20:21], v[20:21], v[0:1]
	;;#ASMEND
	v_and_or_b32 v22, v23, s4, v22
	;;#ASMSTART
	v_med3_f32 v20, v20, v26, v27
v_med3_f32 v21, v21, v26, v27
v_cvt_pk_fp8_f32 v23, v20, v21
	;;#ASMEND
	;;#ASMSTART
	v_pk_mul_f32 v[16:17], v[16:17], v[0:1]
	;;#ASMEND
	;;#ASMSTART
	v_med3_f32 v16, v16, v26, v27
v_med3_f32 v17, v17, v26, v27
v_cvt_pk_fp8_f32 v20, v16, v17
	;;#ASMEND
	v_lshlrev_b32_e32 v16, 16, v20
	s_and_b32 s1, s1, 0xffff
	s_mov_b32 s3, 0x20000
	v_and_or_b32 v23, v23, s4, v16
	buffer_store_dwordx2 v[22:23], v38, s[0:3], 0 offen
	;;#ASMSTART
	s_nop 0
	;;#ASMEND
	;;#ASMSTART
	v_pk_mul_f32 v[16:17], v[18:19], v[0:1]
	;;#ASMEND
	;;#ASMSTART
	v_med3_f32 v16, v16, v26, v27
v_med3_f32 v17, v17, v26, v27
v_cvt_pk_fp8_f32 v18, v16, v17
	;;#ASMEND
	;;#ASMSTART
	v_pk_mul_f32 v[14:15], v[14:15], v[0:1]
	;;#ASMEND
	;;#ASMSTART
	v_med3_f32 v14, v14, v26, v27
v_med3_f32 v15, v15, v26, v27
v_cvt_pk_fp8_f32 v16, v14, v15
	;;#ASMEND
	v_perm_b32 v15, v16, v18, s5
	v_and_b32_e32 v14, 0xffffff00, v16
	v_and_b32_sdwa v16, v15, s6 dst_sel:DWORD dst_unused:UNUSED_PAD src0_sel:WORD_1 src1_sel:DWORD
	v_or_b32_sdwa v14, v16, v14 dst_sel:WORD_1 dst_unused:UNUSED_PAD src0_sel:DWORD src1_sel:DWORD
	;;#ASMSTART
	v_pk_mul_f32 v[12:13], v[12:13], v[0:1]
	;;#ASMEND
	v_and_or_b32 v14, v15, s4, v14
	;;#ASMSTART
	v_med3_f32 v12, v12, v26, v27
v_med3_f32 v13, v13, v26, v27
v_cvt_pk_fp8_f32 v15, v12, v13
	;;#ASMEND
	;;#ASMSTART
	v_pk_mul_f32 v[8:9], v[8:9], v[0:1]
	;;#ASMEND
	;;#ASMSTART
	v_med3_f32 v8, v8, v26, v27
v_med3_f32 v9, v9, v26, v27
v_cvt_pk_fp8_f32 v12, v8, v9
	;;#ASMEND
	v_lshlrev_b32_e32 v8, 16, v12
	v_and_or_b32 v15, v15, s4, v8
	s_movk_i32 s7, 0x200
	buffer_store_dwordx2 v[14:15], v38, s[0:3], s7 offen
	;;#ASMSTART
	s_nop 0
	;;#ASMEND
	;;#ASMSTART
	v_pk_mul_f32 v[8:9], v[10:11], v[0:1]
	;;#ASMEND
	;;#ASMSTART
	v_med3_f32 v8, v8, v26, v27
v_med3_f32 v9, v9, v26, v27
v_cvt_pk_fp8_f32 v10, v8, v9
	;;#ASMEND
	;;#ASMSTART
	v_pk_mul_f32 v[6:7], v[6:7], v[0:1]
	;;#ASMEND
	;;#ASMSTART
	v_med3_f32 v6, v6, v26, v27
v_med3_f32 v7, v7, v26, v27
v_cvt_pk_fp8_f32 v8, v6, v7
	;;#ASMEND
	v_perm_b32 v7, v8, v10, s5
	v_and_b32_e32 v6, 0xffffff00, v8
	v_and_b32_sdwa v8, v7, s6 dst_sel:DWORD dst_unused:UNUSED_PAD src0_sel:WORD_1 src1_sel:DWORD
	v_or_b32_sdwa v6, v8, v6 dst_sel:WORD_1 dst_unused:UNUSED_PAD src0_sel:DWORD src1_sel:DWORD
	;;#ASMSTART
	v_pk_mul_f32 v[4:5], v[4:5], v[0:1]
	;;#ASMEND
	v_and_or_b32 v6, v7, s4, v6
	;;#ASMSTART
	v_med3_f32 v4, v4, v26, v27
v_med3_f32 v5, v5, v26, v27
v_cvt_pk_fp8_f32 v7, v4, v5
	;;#ASMEND
	;;#ASMSTART
	v_pk_mul_f32 v[0:1], v[2:3], v[0:1]
	;;#ASMEND
	;;#ASMSTART
	v_med3_f32 v0, v0, v26, v27
v_med3_f32 v1, v1, v26, v27
v_cvt_pk_fp8_f32 v2, v0, v1
	;;#ASMEND
	v_lshlrev_b32_e32 v0, 16, v2
	v_and_or_b32 v7, v7, s4, v0
	s_movk_i32 s4, 0x400
	buffer_store_dwordx2 v[6:7], v38, s[0:3], s4 offen
	;;#ASMSTART
	s_nop 0
	;;#ASMEND
.LBB82_49:
	s_endpgm
.LBB82_50:
                                        ; implicit-def: $vgpr26_vgpr27
	s_branch .LBB82_37
	.section	.rodata,"a",@progbits
	.p2align	6, 0x0
	.amdhsa_kernel _ZN5aiter24add_rmsnorm_quant_kernelItDB8_Li256ELi24ELb0ELb1ELb1ELi1EEEvPT0_PT_PfS5_S5_S5_diiiiiiib
		.amdhsa_group_segment_fixed_size 32
		.amdhsa_private_segment_fixed_size 0
		.amdhsa_kernarg_size 88
		.amdhsa_user_sgpr_count 6
		.amdhsa_user_sgpr_private_segment_buffer 1
		.amdhsa_user_sgpr_dispatch_ptr 0
		.amdhsa_user_sgpr_queue_ptr 0
		.amdhsa_user_sgpr_kernarg_segment_ptr 1
		.amdhsa_user_sgpr_dispatch_id 0
		.amdhsa_user_sgpr_flat_scratch_init 0
		.amdhsa_user_sgpr_kernarg_preload_length 0
		.amdhsa_user_sgpr_kernarg_preload_offset 0
		.amdhsa_user_sgpr_private_segment_size 0
		.amdhsa_uses_dynamic_stack 0
		.amdhsa_system_sgpr_private_segment_wavefront_offset 0
		.amdhsa_system_sgpr_workgroup_id_x 1
		.amdhsa_system_sgpr_workgroup_id_y 0
		.amdhsa_system_sgpr_workgroup_id_z 0
		.amdhsa_system_sgpr_workgroup_info 0
		.amdhsa_system_vgpr_workitem_id 0
		.amdhsa_next_free_vgpr 61
		.amdhsa_next_free_sgpr 34
		.amdhsa_accum_offset 64
		.amdhsa_reserve_vcc 1
		.amdhsa_reserve_flat_scratch 0
		.amdhsa_float_round_mode_32 0
		.amdhsa_float_round_mode_16_64 0
		.amdhsa_float_denorm_mode_32 3
		.amdhsa_float_denorm_mode_16_64 3
		.amdhsa_dx10_clamp 1
		.amdhsa_ieee_mode 1
		.amdhsa_fp16_overflow 0
		.amdhsa_tg_split 0
		.amdhsa_exception_fp_ieee_invalid_op 0
		.amdhsa_exception_fp_denorm_src 0
		.amdhsa_exception_fp_ieee_div_zero 0
		.amdhsa_exception_fp_ieee_overflow 0
		.amdhsa_exception_fp_ieee_underflow 0
		.amdhsa_exception_fp_ieee_inexact 0
		.amdhsa_exception_int_div_zero 0
	.end_amdhsa_kernel
	.section	.text._ZN5aiter24add_rmsnorm_quant_kernelItDB8_Li256ELi24ELb0ELb1ELb1ELi1EEEvPT0_PT_PfS5_S5_S5_diiiiiiib,"axG",@progbits,_ZN5aiter24add_rmsnorm_quant_kernelItDB8_Li256ELi24ELb0ELb1ELb1ELi1EEEvPT0_PT_PfS5_S5_S5_diiiiiiib,comdat
.Lfunc_end82:
	.size	_ZN5aiter24add_rmsnorm_quant_kernelItDB8_Li256ELi24ELb0ELb1ELb1ELi1EEEvPT0_PT_PfS5_S5_S5_diiiiiiib, .Lfunc_end82-_ZN5aiter24add_rmsnorm_quant_kernelItDB8_Li256ELi24ELb0ELb1ELb1ELi1EEEvPT0_PT_PfS5_S5_S5_diiiiiiib
                                        ; -- End function
	.section	.AMDGPU.csdata,"",@progbits
; Kernel info:
; codeLenInByte = 4380
; NumSgprs: 38
; NumVgprs: 61
; NumAgprs: 0
; TotalNumVgprs: 61
; ScratchSize: 0
; MemoryBound: 0
; FloatMode: 240
; IeeeMode: 1
; LDSByteSize: 32 bytes/workgroup (compile time only)
; SGPRBlocks: 4
; VGPRBlocks: 7
; NumSGPRsForWavesPerEU: 38
; NumVGPRsForWavesPerEU: 61
; AccumOffset: 64
; Occupancy: 8
; WaveLimiterHint : 0
; COMPUTE_PGM_RSRC2:SCRATCH_EN: 0
; COMPUTE_PGM_RSRC2:USER_SGPR: 6
; COMPUTE_PGM_RSRC2:TRAP_HANDLER: 0
; COMPUTE_PGM_RSRC2:TGID_X_EN: 1
; COMPUTE_PGM_RSRC2:TGID_Y_EN: 0
; COMPUTE_PGM_RSRC2:TGID_Z_EN: 0
; COMPUTE_PGM_RSRC2:TIDIG_COMP_CNT: 0
; COMPUTE_PGM_RSRC3_GFX90A:ACCUM_OFFSET: 15
; COMPUTE_PGM_RSRC3_GFX90A:TG_SPLIT: 0
	.section	.text._ZN5aiter24add_rmsnorm_quant_kernelIDF16_DB8_Li256ELi24ELb0ELb1ELb0ELi1EEEvPT0_PT_PfS5_S5_S5_diiiiiiib,"axG",@progbits,_ZN5aiter24add_rmsnorm_quant_kernelIDF16_DB8_Li256ELi24ELb0ELb1ELb0ELi1EEEvPT0_PT_PfS5_S5_S5_diiiiiiib,comdat
	.protected	_ZN5aiter24add_rmsnorm_quant_kernelIDF16_DB8_Li256ELi24ELb0ELb1ELb0ELi1EEEvPT0_PT_PfS5_S5_S5_diiiiiiib ; -- Begin function _ZN5aiter24add_rmsnorm_quant_kernelIDF16_DB8_Li256ELi24ELb0ELb1ELb0ELi1EEEvPT0_PT_PfS5_S5_S5_diiiiiiib
	.globl	_ZN5aiter24add_rmsnorm_quant_kernelIDF16_DB8_Li256ELi24ELb0ELb1ELb0ELi1EEEvPT0_PT_PfS5_S5_S5_diiiiiiib
	.p2align	8
	.type	_ZN5aiter24add_rmsnorm_quant_kernelIDF16_DB8_Li256ELi24ELb0ELb1ELb0ELi1EEEvPT0_PT_PfS5_S5_S5_diiiiiiib,@function
_ZN5aiter24add_rmsnorm_quant_kernelIDF16_DB8_Li256ELi24ELb0ELb1ELb0ELi1EEEvPT0_PT_PfS5_S5_S5_diiiiiiib: ; @_ZN5aiter24add_rmsnorm_quant_kernelIDF16_DB8_Li256ELi24ELb0ELb1ELb0ELi1EEEvPT0_PT_PfS5_S5_S5_diiiiiiib
; %bb.0:
	s_load_dwordx4 s[8:11], s[4:5], 0x38
	s_mov_b32 s7, 0
	s_waitcnt lgkmcnt(0)
	s_ashr_i32 s0, s8, 31
	v_mov_b32_e32 v2, s8
	v_mov_b32_e32 v3, s0
	v_cmp_ge_i64_e32 vcc, s[6:7], v[2:3]
	s_cbranch_vccnz .LBB83_49
; %bb.1:
	s_load_dwordx4 s[12:15], s[4:5], 0x10
	s_load_dwordx4 s[0:3], s[4:5], 0x28
	s_ashr_i32 s11, s10, 31
	s_mul_hi_u32 s16, s10, s6
	s_mul_i32 s11, s11, s6
	s_add_i32 s11, s16, s11
	s_mul_i32 s10, s10, s6
	s_lshl_b64 s[10:11], s[10:11], 1
	s_waitcnt lgkmcnt(0)
	s_add_u32 s16, s14, s10
	s_addc_u32 s10, s15, s11
	s_add_i32 s11, s9, 1
	s_lshr_b32 s14, s11, 31
	s_add_i32 s11, s11, s14
	s_lshl_b32 s11, s11, 1
	s_and_b32 s18, s11, -4
	s_and_b32 s17, s10, 0xffff
	s_mov_b32 s19, 0x20000
	v_mul_u32_u24_e32 v1, 48, v0
	buffer_load_dwordx4 v[14:17], v1, s[16:19], 0 offen
	buffer_load_dwordx4 v[18:21], v1, s[16:19], 16 offen
	;; [unrolled: 1-line block ×3, first 2 shown]
	s_mov_b32 s16, s0
	s_and_b32 s17, s1, 0xffff
	buffer_load_dwordx4 v[10:13], v1, s[16:19], 0 offen
	buffer_load_dwordx4 v[6:9], v1, s[16:19], 16 offen
	buffer_load_dwordx4 v[2:5], v1, s[16:19], 32 offen
	v_and_b32_e32 v60, 63, v0
	v_cmp_eq_u32_e64 s[0:1], 63, v60
	s_waitcnt vmcnt(5)
	v_cvt_f32_f16_e32 v36, v14
	v_cvt_f32_f16_sdwa v37, v14 dst_sel:DWORD dst_unused:UNUSED_PAD src0_sel:WORD_1
	v_cvt_f32_f16_e32 v34, v15
	v_cvt_f32_f16_sdwa v35, v15 dst_sel:DWORD dst_unused:UNUSED_PAD src0_sel:WORD_1
	;; [unrolled: 2-line block ×3, first 2 shown]
	s_waitcnt vmcnt(4)
	v_cvt_f32_f16_e32 v28, v18
	v_cvt_f32_f16_sdwa v29, v18 dst_sel:DWORD dst_unused:UNUSED_PAD src0_sel:WORD_1
	v_cvt_f32_f16_e32 v26, v19
	v_cvt_f32_f16_sdwa v27, v19 dst_sel:DWORD dst_unused:UNUSED_PAD src0_sel:WORD_1
	;; [unrolled: 2-line block ×4, first 2 shown]
	s_waitcnt vmcnt(3)
	v_cvt_f32_f16_e32 v20, v38
	v_cvt_f32_f16_sdwa v21, v38 dst_sel:DWORD dst_unused:UNUSED_PAD src0_sel:WORD_1
	v_cvt_f32_f16_e32 v18, v39
	v_cvt_f32_f16_sdwa v19, v39 dst_sel:DWORD dst_unused:UNUSED_PAD src0_sel:WORD_1
	v_pk_mul_f32 v[38:39], v[36:37], v[36:37]
	v_cvt_f32_f16_e32 v30, v17
	v_cvt_f32_f16_sdwa v31, v17 dst_sel:DWORD dst_unused:UNUSED_PAD src0_sel:WORD_1
	v_cvt_f32_f16_e32 v16, v40
	v_cvt_f32_f16_sdwa v17, v40 dst_sel:DWORD dst_unused:UNUSED_PAD src0_sel:WORD_1
	v_cvt_f32_f16_e32 v14, v41
	v_cvt_f32_f16_sdwa v15, v41 dst_sel:DWORD dst_unused:UNUSED_PAD src0_sel:WORD_1
	v_pk_mul_f32 v[40:41], v[34:35], v[34:35]
	v_add_f32_e32 v1, v38, v39
	v_add_f32_e32 v1, v40, v1
	v_pk_mul_f32 v[42:43], v[32:33], v[32:33]
	v_add_f32_e32 v1, v41, v1
	v_add_f32_e32 v1, v42, v1
	;; [unrolled: 3-line block ×11, first 2 shown]
	v_add_f32_e32 v1, v39, v1
	s_nop 1
	v_mov_b32_dpp v38, v1 quad_perm:[1,0,3,2] row_mask:0xf bank_mask:0xf
	v_add_f32_e32 v1, v1, v38
	s_nop 1
	v_mov_b32_dpp v38, v1 quad_perm:[2,3,0,1] row_mask:0xf bank_mask:0xf
	v_add_f32_e32 v1, v1, v38
	s_nop 1
	v_mov_b32_dpp v38, v1 row_half_mirror row_mask:0xf bank_mask:0xf
	v_add_f32_e32 v1, v1, v38
	s_nop 1
	v_mov_b32_dpp v38, v1 row_mirror row_mask:0xf bank_mask:0xf
	v_add_f32_e32 v1, v1, v38
	s_nop 1
	v_mov_b32_dpp v38, v1 row_bcast:15 row_mask:0xf bank_mask:0xf
	v_add_f32_e32 v1, v1, v38
	s_nop 1
	v_mov_b32_dpp v38, v1 row_bcast:31 row_mask:0xf bank_mask:0xf
	s_and_saveexec_b64 s[10:11], s[0:1]
	s_cbranch_execz .LBB83_3
; %bb.2:
	v_lshrrev_b32_e32 v39, 4, v0
	v_and_b32_e32 v39, 60, v39
	v_add_f32_e32 v1, v1, v38
	ds_write_b32 v39, v1 offset:16
.LBB83_3:
	s_or_b64 exec, exec, s[10:11]
	v_and_b32_e32 v1, 3, v0
	v_lshlrev_b32_e32 v1, 2, v1
	s_waitcnt lgkmcnt(0)
	s_barrier
	ds_read_b32 v38, v1 offset:16
	v_cvt_f32_i32_e32 v39, s9
	s_waitcnt lgkmcnt(0)
	v_mov_b32_dpp v40, v38 quad_perm:[1,0,3,2] row_mask:0xf bank_mask:0xf
	v_add_f32_e32 v38, v38, v40
	s_nop 1
	v_mov_b32_dpp v40, v38 quad_perm:[2,3,0,1] row_mask:0xf bank_mask:0xf
	v_add_f32_e32 v38, v38, v40
	v_div_scale_f32 v40, s[10:11], v39, v39, v38
	v_rcp_f32_e32 v41, v40
	v_div_scale_f32 v42, vcc, v38, v39, v38
	s_load_dwordx2 s[10:11], s[4:5], 0x4c
	s_load_dword s18, s[4:5], 0x54
	v_fma_f32 v43, -v40, v41, 1.0
	v_fmac_f32_e32 v41, v43, v41
	v_mul_f32_e32 v43, v42, v41
	v_fma_f32 v44, -v40, v43, v42
	v_fmac_f32_e32 v43, v44, v41
	v_fma_f32 v40, -v40, v43, v42
	v_div_fmas_f32 v40, v40, v41, v43
	v_div_fixup_f32 v38, v40, v39, v38
	v_cvt_f64_f32_e32 v[38:39], v38
	v_add_f64 v[38:39], v[38:39], s[2:3]
	v_cvt_f32_f64_e32 v38, v[38:39]
	s_mov_b32 s2, 0x800000
	v_mul_f32_e32 v39, 0x4b800000, v38
	v_cmp_gt_f32_e32 vcc, s2, v38
	v_cndmask_b32_e32 v38, v38, v39, vcc
	v_rsq_f32_e32 v39, v38
	v_mul_u32_u24_e32 v38, 24, v0
	s_waitcnt lgkmcnt(0)
	s_cmp_lg_u32 s11, 0
	v_mul_f32_e32 v40, 0x45800000, v39
	v_cndmask_b32_e32 v40, v39, v40, vcc
	v_mov_b32_e32 v41, v40
	;;#ASMSTART
	v_pk_mul_f32 v[36:37], v[36:37], v[40:41]
	;;#ASMEND
	;;#ASMSTART
	v_pk_mul_f32 v[34:35], v[34:35], v[40:41]
	;;#ASMEND
	;; [unrolled: 3-line block ×12, first 2 shown]
	s_waitcnt vmcnt(2)
	v_cvt_f32_f16_sdwa v15, v10 dst_sel:DWORD dst_unused:UNUSED_PAD src0_sel:WORD_1
	v_cvt_f32_f16_e32 v14, v10
	v_cvt_f32_f16_sdwa v17, v11 dst_sel:DWORD dst_unused:UNUSED_PAD src0_sel:WORD_1
	v_cvt_f32_f16_e32 v16, v11
	;; [unrolled: 2-line block ×4, first 2 shown]
	;;#ASMSTART
	v_pk_mul_f32 v[24:25], v[36:37], v[14:15]
	;;#ASMEND
	;;#ASMSTART
	v_pk_mul_f32 v[22:23], v[34:35], v[16:17]
	;;#ASMEND
	;; [unrolled: 3-line block ×3, first 2 shown]
	s_waitcnt vmcnt(1)
	v_cvt_f32_f16_sdwa v11, v6 dst_sel:DWORD dst_unused:UNUSED_PAD src0_sel:WORD_1
	v_cvt_f32_f16_e32 v10, v6
	v_cvt_f32_f16_sdwa v13, v7 dst_sel:DWORD dst_unused:UNUSED_PAD src0_sel:WORD_1
	v_cvt_f32_f16_e32 v12, v7
	;; [unrolled: 2-line block ×3, first 2 shown]
	;;#ASMSTART
	v_pk_mul_f32 v[16:17], v[30:31], v[18:19]
	;;#ASMEND
	;;#ASMSTART
	v_pk_mul_f32 v[18:19], v[28:29], v[10:11]
	;;#ASMEND
	;; [unrolled: 3-line block ×4, first 2 shown]
	s_waitcnt vmcnt(0)
	v_cvt_f32_f16_sdwa v7, v2 dst_sel:DWORD dst_unused:UNUSED_PAD src0_sel:WORD_1
	v_cvt_f32_f16_e32 v6, v2
	v_cvt_f32_f16_sdwa v27, v3 dst_sel:DWORD dst_unused:UNUSED_PAD src0_sel:WORD_1
	v_cvt_f32_f16_e32 v26, v3
	;; [unrolled: 2-line block ×3, first 2 shown]
	v_cvt_f32_f16_e32 v28, v5
	v_cvt_f32_f16_sdwa v31, v9 dst_sel:DWORD dst_unused:UNUSED_PAD src0_sel:WORD_1
	v_cvt_f32_f16_e32 v30, v9
	;;#ASMSTART
	v_pk_mul_f32 v[8:9], v[44:45], v[30:31]
	;;#ASMEND
	v_cvt_f32_f16_sdwa v29, v5 dst_sel:DWORD dst_unused:UNUSED_PAD src0_sel:WORD_1
	;;#ASMSTART
	v_pk_mul_f32 v[10:11], v[46:47], v[6:7]
	;;#ASMEND
	;;#ASMSTART
	v_pk_mul_f32 v[6:7], v[48:49], v[26:27]
	;;#ASMEND
	;; [unrolled: 3-line block ×4, first 2 shown]
	v_and_b32_e32 v26, 0x7fffffff, v24
	v_mov_b32_e32 v28, 0x2edbe6ff
	v_and_b32_e32 v27, 0x7fffffff, v25
	;;#ASMSTART
	v_max3_f32 v26, v28, v26, v27

	;;#ASMEND
	v_and_b32_e32 v28, 0x7fffffff, v23
	v_and_b32_e32 v27, 0x7fffffff, v22
	;;#ASMSTART
	v_max3_f32 v26, v26, v27, v28

	;;#ASMEND
	v_and_b32_e32 v28, 0x7fffffff, v21
	;; [unrolled: 6-line block ×11, first 2 shown]
	v_and_b32_e32 v27, 0x7fffffff, v2
	;;#ASMSTART
	v_max3_f32 v28, v26, v27, v28

	;;#ASMEND
	s_cbranch_scc0 .LBB83_10
; %bb.4:
	s_mul_hi_i32 s2, s11, 0x2aaaaaab
	s_lshr_b32 s3, s2, 31
	s_ashr_i32 s16, s2, 2
	s_add_i32 s16, s16, s3
	s_cmp_lt_i32 s16, 16
	s_cbranch_scc1 .LBB83_11
; %bb.5:
	s_cmp_lt_i32 s16, 32
	s_cbranch_scc1 .LBB83_12
; %bb.6:
	;; [unrolled: 3-line block ×3, first 2 shown]
	s_cmp_eq_u32 s16, 64
	v_mov_b32_e32 v26, v28
	s_cbranch_scc0 .LBB83_9
; %bb.8:
	s_nop 0
	v_mov_b32_dpp v26, v28 quad_perm:[1,0,3,2] row_mask:0xf bank_mask:0xf
	v_cmp_gt_f32_e32 vcc, v28, v26
	v_cndmask_b32_e32 v26, v26, v28, vcc
	v_bfrev_b32_e32 v29, 0.5
	s_nop 0
	v_mov_b32_dpp v27, v26 quad_perm:[2,3,0,1] row_mask:0xf bank_mask:0xf
	v_cmp_gt_f32_e32 vcc, v26, v27
	v_cndmask_b32_e32 v26, v27, v26, vcc
	s_nop 1
	v_mov_b32_dpp v27, v26 row_ror:4 row_mask:0xf bank_mask:0xf
	v_cmp_gt_f32_e32 vcc, v26, v27
	v_cndmask_b32_e32 v26, v27, v26, vcc
	s_nop 1
	v_mov_b32_dpp v27, v26 row_ror:8 row_mask:0xf bank_mask:0xf
	v_cmp_gt_f32_e32 vcc, v26, v27
	v_cndmask_b32_e32 v26, v27, v26, vcc
	s_nop 1
	v_mov_b32_dpp v27, v26 row_bcast:15 row_mask:0xf bank_mask:0xf
	v_cmp_gt_f32_e32 vcc, v26, v27
	v_cndmask_b32_e32 v26, v27, v26, vcc
	s_nop 1
	v_mov_b32_dpp v27, v26 row_bcast:31 row_mask:0xf bank_mask:0xf
	v_cmp_gt_f32_e32 vcc, v26, v27
	v_cndmask_b32_e32 v26, v27, v26, vcc
	v_mbcnt_lo_u32_b32 v27, -1, 0
	v_mbcnt_hi_u32_b32 v27, -1, v27
	v_lshl_or_b32 v27, v27, 2, v29
	ds_bpermute_b32 v26, v27, v26
.LBB83_9:
	s_mov_b64 s[2:3], 0
	s_branch .LBB83_14
.LBB83_10:
	s_mov_b64 s[2:3], 0
                                        ; implicit-def: $vgpr29
                                        ; implicit-def: $vgpr26_vgpr27
	s_cbranch_execnz .LBB83_43
	s_branch .LBB83_46
.LBB83_11:
                                        ; implicit-def: $vgpr26
	s_branch .LBB83_21
.LBB83_12:
                                        ; implicit-def: $vgpr26
	s_branch .LBB83_18
.LBB83_13:
	s_mov_b64 s[2:3], -1
                                        ; implicit-def: $vgpr26
.LBB83_14:
	s_andn2_b64 vcc, exec, s[2:3]
	s_cbranch_vccnz .LBB83_17
; %bb.15:
	s_cmp_eq_u32 s16, 32
	s_waitcnt lgkmcnt(0)
	v_mov_b32_e32 v26, v28
	s_cbranch_scc0 .LBB83_17
; %bb.16:
	s_nop 0
	v_mov_b32_dpp v26, v28 quad_perm:[1,0,3,2] row_mask:0xf bank_mask:0xf
	v_cmp_gt_f32_e32 vcc, v28, v26
	v_cndmask_b32_e32 v26, v26, v28, vcc
	v_mov_b32_e32 v29, 0x7c
	s_nop 0
	v_mov_b32_dpp v27, v26 quad_perm:[2,3,0,1] row_mask:0xf bank_mask:0xf
	v_cmp_gt_f32_e32 vcc, v26, v27
	v_cndmask_b32_e32 v26, v27, v26, vcc
	s_nop 1
	v_mov_b32_dpp v27, v26 row_half_mirror row_mask:0xf bank_mask:0xf
	v_cmp_gt_f32_e32 vcc, v26, v27
	v_cndmask_b32_e32 v26, v27, v26, vcc
	s_nop 1
	v_mov_b32_dpp v27, v26 row_mirror row_mask:0xf bank_mask:0xf
	v_cmp_gt_f32_e32 vcc, v26, v27
	v_cndmask_b32_e32 v26, v27, v26, vcc
	s_nop 1
	v_mov_b32_dpp v27, v26 row_bcast:15 row_mask:0xa bank_mask:0xf
	v_cmp_gt_f32_e32 vcc, v26, v27
	v_cndmask_b32_e32 v26, v27, v26, vcc
	v_mbcnt_lo_u32_b32 v27, -1, 0
	v_mbcnt_hi_u32_b32 v27, -1, v27
	v_lshl_or_b32 v27, v27, 2, v29
	ds_bpermute_b32 v26, v27, v26
.LBB83_17:
	s_cbranch_execnz .LBB83_20
.LBB83_18:
	s_cmp_eq_u32 s16, 16
	s_waitcnt lgkmcnt(0)
	v_mov_b32_e32 v26, v28
	s_cbranch_scc0 .LBB83_20
; %bb.19:
	s_nop 0
	v_mov_b32_dpp v26, v28 quad_perm:[1,0,3,2] row_mask:0xf bank_mask:0xf
	v_cmp_gt_f32_e32 vcc, v28, v26
	v_cndmask_b32_e32 v26, v26, v28, vcc
	s_nop 1
	v_mov_b32_dpp v27, v26 quad_perm:[2,3,0,1] row_mask:0xf bank_mask:0xf
	v_cmp_gt_f32_e32 vcc, v26, v27
	v_cndmask_b32_e32 v26, v27, v26, vcc
	s_nop 1
	v_mov_b32_dpp v27, v26 row_half_mirror row_mask:0xf bank_mask:0xf
	v_cmp_gt_f32_e32 vcc, v26, v27
	v_cndmask_b32_e32 v26, v27, v26, vcc
	s_nop 1
	v_mov_b32_dpp v27, v26 row_mirror row_mask:0xf bank_mask:0xf
	v_cmp_gt_f32_e32 vcc, v26, v27
	v_cndmask_b32_e32 v26, v27, v26, vcc
.LBB83_20:
	s_cbranch_execnz .LBB83_33
.LBB83_21:
	s_cmp_lt_i32 s16, 4
	s_cbranch_scc1 .LBB83_25
; %bb.22:
	s_cmp_lt_i32 s16, 8
	s_cbranch_scc1 .LBB83_26
; %bb.23:
	s_cmp_eq_u32 s16, 8
	s_waitcnt lgkmcnt(0)
	v_mov_b32_e32 v26, v28
	s_cbranch_scc0 .LBB83_27
; %bb.24:
	s_nop 0
	v_mov_b32_dpp v26, v28 quad_perm:[1,0,3,2] row_mask:0xf bank_mask:0xf
	v_cmp_gt_f32_e32 vcc, v28, v26
	v_cndmask_b32_e32 v26, v26, v28, vcc
	s_nop 1
	v_mov_b32_dpp v27, v26 quad_perm:[2,3,0,1] row_mask:0xf bank_mask:0xf
	v_cmp_gt_f32_e32 vcc, v26, v27
	v_cndmask_b32_e32 v26, v27, v26, vcc
	s_nop 1
	v_mov_b32_dpp v27, v26 row_half_mirror row_mask:0xf bank_mask:0xf
	v_cmp_gt_f32_e32 vcc, v26, v27
	v_cndmask_b32_e32 v26, v27, v26, vcc
	s_cbranch_execz .LBB83_28
	s_branch .LBB83_30
.LBB83_25:
                                        ; implicit-def: $vgpr26
	s_branch .LBB83_31
.LBB83_26:
                                        ; implicit-def: $vgpr26
	s_branch .LBB83_28
.LBB83_27:
	s_cbranch_execnz .LBB83_30
.LBB83_28:
	s_cmp_eq_u32 s16, 4
	s_waitcnt lgkmcnt(0)
	v_mov_b32_e32 v26, v28
	s_cbranch_scc0 .LBB83_30
; %bb.29:
	s_nop 0
	v_mov_b32_dpp v26, v28 quad_perm:[1,0,3,2] row_mask:0xf bank_mask:0xf
	v_cmp_gt_f32_e32 vcc, v28, v26
	v_cndmask_b32_e32 v26, v26, v28, vcc
	s_nop 1
	v_mov_b32_dpp v27, v26 quad_perm:[2,3,0,1] row_mask:0xf bank_mask:0xf
	v_cmp_gt_f32_e32 vcc, v26, v27
	v_cndmask_b32_e32 v26, v27, v26, vcc
.LBB83_30:
	s_cbranch_execnz .LBB83_33
.LBB83_31:
	s_cmp_lg_u32 s16, 2
	s_waitcnt lgkmcnt(0)
	v_mov_b32_e32 v26, v28
	s_cbranch_scc1 .LBB83_33
; %bb.32:
	s_nop 0
	v_mov_b32_dpp v26, v28 quad_perm:[1,0,3,2] row_mask:0xf bank_mask:0xf
	v_cmp_gt_f32_e32 vcc, v28, v26
	v_cndmask_b32_e32 v26, v26, v28, vcc
.LBB83_33:
	v_cvt_f32_u32_e32 v27, s16
	s_waitcnt lgkmcnt(0)
	v_mul_f32_e32 v29, 0x3b124925, v26
	s_sub_i32 s2, 0, s16
	v_cmp_gt_u32_e32 vcc, s9, v38
	v_rcp_iflag_f32_e32 v27, v27
	s_mov_b64 s[14:15], 0
	v_mul_f32_e32 v26, 0x4f7ffffe, v27
	v_cvt_u32_f32_e32 v26, v26
	v_mul_lo_u32 v27, s2, v26
	v_mul_hi_u32 v27, v26, v27
	v_add_u32_e32 v26, v26, v27
	v_mul_hi_u32 v26, v0, v26
	v_mul_lo_u32 v27, v26, s16
	v_sub_u32_e32 v27, v0, v27
	v_add_u32_e32 v30, 1, v26
	v_cmp_le_u32_e64 s[2:3], s16, v27
	v_cndmask_b32_e64 v26, v26, v30, s[2:3]
	v_subrev_u32_e32 v30, s16, v27
	v_cndmask_b32_e64 v27, v27, v30, s[2:3]
	v_add_u32_e32 v30, 1, v26
	v_cmp_le_u32_e64 s[2:3], s16, v27
	v_cndmask_b32_e64 v30, v26, v30, s[2:3]
	v_mul_lo_u32 v26, v30, s16
	v_sub_u32_e32 v26, v0, v26
	v_cmp_eq_u32_e64 s[2:3], 0, v26
	s_and_b64 s[16:17], s[2:3], vcc
	s_mov_b64 s[2:3], 0
                                        ; implicit-def: $vgpr26_vgpr27
	s_and_saveexec_b64 s[20:21], s[16:17]
	s_xor_b64 s[16:17], exec, s[20:21]
	s_cbranch_execz .LBB83_42
; %bb.34:
	s_bitcmp0_b32 s18, 0
	s_cbranch_scc0 .LBB83_39
; %bb.35:
	s_ashr_i32 s2, s9, 31
	s_mul_hi_u32 s3, s9, s6
	s_mul_i32 s2, s2, s6
	s_add_i32 s21, s3, s2
	s_mul_i32 s20, s9, s6
	s_ashr_i32 s19, s11, 31
	s_mov_b32 s18, s11
	s_or_b64 s[2:3], s[20:21], s[18:19]
	s_mov_b32 s2, 0
	s_cmp_lg_u64 s[2:3], 0
	s_cbranch_scc0 .LBB83_50
; %bb.36:
	s_add_u32 s2, s18, s19
	s_mov_b32 s24, s19
	s_mov_b32 s25, s19
	s_addc_u32 s3, s19, s19
	s_xor_b64 s[26:27], s[2:3], s[24:25]
	v_cvt_f32_u32_e32 v26, s26
	v_cvt_f32_u32_e32 v27, s27
	s_sub_u32 s2, 0, s26
	s_subb_u32 s3, 0, s27
	v_madmk_f32 v26, v27, 0x4f800000, v26
	v_rcp_f32_e32 v26, v26
	v_mul_f32_e32 v26, 0x5f7ffffc, v26
	v_mul_f32_e32 v27, 0x2f800000, v26
	v_trunc_f32_e32 v27, v27
	v_madmk_f32 v26, v27, 0xcf800000, v26
	v_cvt_u32_f32_e32 v27, v27
	v_cvt_u32_f32_e32 v26, v26
	v_readfirstlane_b32 s11, v27
	v_readfirstlane_b32 s19, v26
	s_mul_i32 s28, s2, s11
	s_mul_hi_u32 s30, s2, s19
	s_mul_i32 s29, s3, s19
	s_add_i32 s28, s30, s28
	s_add_i32 s28, s28, s29
	s_mul_i32 s31, s2, s19
	s_mul_hi_u32 s29, s19, s28
	s_mul_i32 s30, s19, s28
	s_mul_hi_u32 s19, s19, s31
	s_add_u32 s19, s19, s30
	s_addc_u32 s29, 0, s29
	s_mul_hi_u32 s33, s11, s31
	s_mul_i32 s31, s11, s31
	s_add_u32 s19, s19, s31
	s_mul_hi_u32 s30, s11, s28
	s_addc_u32 s19, s29, s33
	s_addc_u32 s29, s30, 0
	s_mul_i32 s28, s11, s28
	s_add_u32 s19, s19, s28
	s_addc_u32 s28, 0, s29
	v_add_co_u32_e32 v26, vcc, s19, v26
	s_cmp_lg_u64 vcc, 0
	s_addc_u32 s11, s11, s28
	v_readfirstlane_b32 s28, v26
	s_mul_i32 s19, s2, s11
	s_mul_hi_u32 s29, s2, s28
	s_add_i32 s19, s29, s19
	s_mul_i32 s3, s3, s28
	s_add_i32 s19, s19, s3
	s_mul_i32 s2, s2, s28
	s_mul_hi_u32 s29, s11, s2
	s_mul_i32 s30, s11, s2
	s_mul_i32 s33, s28, s19
	s_mul_hi_u32 s2, s28, s2
	s_mul_hi_u32 s31, s28, s19
	s_add_u32 s2, s2, s33
	s_addc_u32 s28, 0, s31
	s_add_u32 s2, s2, s30
	s_mul_hi_u32 s3, s11, s19
	s_addc_u32 s2, s28, s29
	s_addc_u32 s3, s3, 0
	s_mul_i32 s19, s11, s19
	s_add_u32 s2, s2, s19
	s_addc_u32 s3, 0, s3
	v_add_co_u32_e32 v26, vcc, s2, v26
	s_cmp_lg_u64 vcc, 0
	s_addc_u32 s11, s11, s3
	s_ashr_i32 s28, s21, 31
	s_add_u32 s2, s20, s28
	s_mov_b32 s29, s28
	s_addc_u32 s3, s21, s28
	s_xor_b64 s[30:31], s[2:3], s[28:29]
	v_readfirstlane_b32 s19, v26
	s_mul_i32 s3, s30, s11
	s_mul_hi_u32 s21, s30, s19
	s_mul_hi_u32 s2, s30, s11
	s_add_u32 s3, s21, s3
	s_addc_u32 s2, 0, s2
	s_mul_hi_u32 s33, s31, s19
	s_mul_i32 s19, s31, s19
	s_add_u32 s3, s3, s19
	s_mul_hi_u32 s21, s31, s11
	s_addc_u32 s2, s2, s33
	s_addc_u32 s3, s21, 0
	s_mul_i32 s11, s31, s11
	s_add_u32 s11, s2, s11
	s_addc_u32 s19, 0, s3
	s_mul_i32 s2, s26, s19
	s_mul_hi_u32 s3, s26, s11
	s_add_i32 s2, s3, s2
	s_mul_i32 s3, s27, s11
	s_add_i32 s21, s2, s3
	s_mul_i32 s3, s26, s11
	v_mov_b32_e32 v26, s3
	s_sub_i32 s2, s31, s21
	v_sub_co_u32_e32 v26, vcc, s30, v26
	s_cmp_lg_u64 vcc, 0
	s_subb_u32 s30, s2, s27
	v_subrev_co_u32_e64 v27, s[2:3], s26, v26
	s_cmp_lg_u64 s[2:3], 0
	s_subb_u32 s30, s30, 0
	s_cmp_ge_u32 s30, s27
	s_cselect_b32 s33, -1, 0
	v_cmp_le_u32_e64 s[2:3], s26, v27
	s_cmp_eq_u32 s30, s27
	v_cndmask_b32_e64 v27, 0, -1, s[2:3]
	v_mov_b32_e32 v31, s33
	s_cselect_b64 s[2:3], -1, 0
	v_cndmask_b32_e64 v27, v31, v27, s[2:3]
	s_add_u32 s2, s11, 1
	s_addc_u32 s30, s19, 0
	s_add_u32 s3, s11, 2
	s_addc_u32 s33, s19, 0
	v_mov_b32_e32 v31, s2
	v_mov_b32_e32 v32, s3
	v_cmp_ne_u32_e64 s[2:3], 0, v27
	v_cndmask_b32_e64 v27, v31, v32, s[2:3]
	v_mov_b32_e32 v31, s30
	v_mov_b32_e32 v32, s33
	s_cmp_lg_u64 vcc, 0
	v_cndmask_b32_e64 v31, v31, v32, s[2:3]
	s_subb_u32 s2, s31, s21
	s_cmp_ge_u32 s2, s27
	s_cselect_b32 s3, -1, 0
	v_cmp_le_u32_e32 vcc, s26, v26
	s_cmp_eq_u32 s2, s27
	v_cndmask_b32_e64 v26, 0, -1, vcc
	v_mov_b32_e32 v32, s3
	s_cselect_b64 vcc, -1, 0
	v_cndmask_b32_e32 v26, v32, v26, vcc
	v_mov_b32_e32 v32, s19
	v_cmp_ne_u32_e32 vcc, 0, v26
	v_cndmask_b32_e32 v26, v32, v31, vcc
	v_mov_b32_e32 v31, s11
	v_cndmask_b32_e32 v27, v31, v27, vcc
	s_xor_b64 s[2:3], s[28:29], s[24:25]
	v_xor_b32_e32 v27, s2, v27
	v_xor_b32_e32 v31, s3, v26
	v_mov_b32_e32 v32, s3
	v_subrev_co_u32_e32 v26, vcc, s2, v27
	v_subb_co_u32_e32 v27, vcc, v31, v32, vcc
	s_cbranch_execnz .LBB83_38
.LBB83_37:
	v_cvt_f32_u32_e32 v26, s18
	s_sub_i32 s2, 0, s18
	s_mov_b32 s3, 0
	v_rcp_iflag_f32_e32 v26, v26
	v_mul_f32_e32 v26, 0x4f7ffffe, v26
	v_cvt_u32_f32_e32 v26, v26
	v_readfirstlane_b32 s11, v26
	s_mul_i32 s2, s2, s11
	s_mul_hi_u32 s2, s11, s2
	s_add_i32 s11, s11, s2
	s_mul_hi_u32 s2, s20, s11
	s_mul_i32 s19, s2, s18
	s_sub_i32 s19, s20, s19
	s_add_i32 s11, s2, 1
	s_sub_i32 s20, s19, s18
	s_cmp_ge_u32 s19, s18
	s_cselect_b32 s2, s11, s2
	s_cselect_b32 s19, s20, s19
	s_add_i32 s11, s2, 1
	s_cmp_ge_u32 s19, s18
	s_cselect_b32 s2, s11, s2
	v_pk_mov_b32 v[26:27], s[2:3], s[2:3] op_sel:[0,1]
.LBB83_38:
	v_add_co_u32_e32 v26, vcc, v26, v30
	v_addc_co_u32_e32 v27, vcc, 0, v27, vcc
	s_branch .LBB83_41
.LBB83_39:
                                        ; implicit-def: $vgpr26_vgpr27
	s_cbranch_execz .LBB83_41
; %bb.40:
	v_mul_lo_u32 v26, v30, s8
	v_ashrrev_i32_e32 v27, 31, v26
	v_mov_b32_e32 v30, s7
	v_add_co_u32_e32 v26, vcc, s6, v26
	v_addc_co_u32_e32 v27, vcc, v27, v30, vcc
.LBB83_41:
	s_mov_b64 s[2:3], exec
.LBB83_42:
	s_or_b64 exec, exec, s[16:17]
	s_and_b64 vcc, exec, s[14:15]
	s_cbranch_vccz .LBB83_46
.LBB83_43:
	v_mov_b32_dpp v26, v28 quad_perm:[1,0,3,2] row_mask:0xf bank_mask:0xf
	v_cmp_gt_f32_e32 vcc, v28, v26
	v_cndmask_b32_e32 v26, v26, v28, vcc
	s_nop 1
	v_mov_b32_dpp v27, v26 quad_perm:[2,3,0,1] row_mask:0xf bank_mask:0xf
	v_cmp_gt_f32_e32 vcc, v26, v27
	v_cndmask_b32_e32 v26, v27, v26, vcc
	s_nop 1
	v_mov_b32_dpp v27, v26 row_half_mirror row_mask:0xf bank_mask:0xf
	v_cmp_gt_f32_e32 vcc, v26, v27
	v_cndmask_b32_e32 v26, v27, v26, vcc
	s_nop 1
	v_mov_b32_dpp v27, v26 row_mirror row_mask:0xf bank_mask:0xf
	v_cmp_gt_f32_e32 vcc, v26, v27
	v_cndmask_b32_e32 v26, v27, v26, vcc
	s_nop 1
	v_mov_b32_dpp v27, v26 row_bcast:15 row_mask:0xf bank_mask:0xf
	v_cmp_gt_f32_e32 vcc, v26, v27
	v_cndmask_b32_e32 v26, v27, v26, vcc
	s_nop 1
	v_mov_b32_dpp v27, v26 row_bcast:31 row_mask:0xf bank_mask:0xf
	s_and_saveexec_b64 s[2:3], s[0:1]
	s_cbranch_execz .LBB83_45
; %bb.44:
	v_lshrrev_b32_e32 v28, 4, v0
	v_cmp_gt_f32_e32 vcc, v26, v27
	v_and_b32_e32 v28, 60, v28
	v_cndmask_b32_e32 v26, v27, v26, vcc
	ds_write_b32 v28, v26
.LBB83_45:
	s_or_b64 exec, exec, s[2:3]
	s_waitcnt lgkmcnt(0)
	s_barrier
	ds_read_b32 v1, v1
	v_cmp_eq_u32_e64 s[2:3], 0, v0
	s_waitcnt lgkmcnt(0)
	v_mov_b32_dpp v26, v1 quad_perm:[1,0,3,2] row_mask:0xf bank_mask:0xf
	v_cmp_gt_f32_e32 vcc, v1, v26
	v_cndmask_b32_e32 v1, v26, v1, vcc
	s_nop 1
	v_mov_b32_dpp v26, v1 quad_perm:[2,3,0,1] row_mask:0xf bank_mask:0xf
	v_cmp_gt_f32_e32 vcc, v1, v26
	v_cndmask_b32_e32 v1, v26, v1, vcc
	v_mul_f32_e32 v29, 0x3b124925, v1
	v_pk_mov_b32 v[26:27], s[6:7], s[6:7] op_sel:[0,1]
.LBB83_46:
	s_and_saveexec_b64 s[0:1], s[2:3]
	s_cbranch_execz .LBB83_48
; %bb.47:
	v_lshlrev_b64 v[0:1], 2, v[26:27]
	v_mov_b32_e32 v26, s13
	v_add_co_u32_e32 v0, vcc, s12, v0
	v_addc_co_u32_e32 v1, vcc, v26, v1, vcc
	global_store_dword v[0:1], v29, off
.LBB83_48:
	s_or_b64 exec, exec, s[0:1]
	s_add_i32 s2, s9, 3
	s_load_dwordx2 s[0:1], s[4:5], 0x0
	s_ashr_i32 s3, s2, 31
	s_lshr_b32 s3, s3, 30
	;;#ASMSTART
	v_rcp_f32 v0, v29
	;;#ASMEND
	v_mov_b32_e32 v1, v0
	;;#ASMSTART
	v_pk_mul_f32 v[24:25], v[24:25], v[0:1]
	;;#ASMEND
	s_add_i32 s2, s2, s3
	s_ashr_i32 s3, s10, 31
	v_mov_b32_e32 v26, 0xc3e00000
	v_mov_b32_e32 v27, 0x43e00000
	;;#ASMSTART
	v_med3_f32 v24, v24, v26, v27
v_med3_f32 v25, v25, v26, v27
v_cvt_pk_fp8_f32 v28, v24, v25
	;;#ASMEND
	;;#ASMSTART
	v_pk_mul_f32 v[22:23], v[22:23], v[0:1]
	;;#ASMEND
	s_mul_hi_u32 s4, s10, s6
	s_mul_i32 s3, s3, s6
	;;#ASMSTART
	v_med3_f32 v22, v22, v26, v27
v_med3_f32 v23, v23, v26, v27
v_cvt_pk_fp8_f32 v24, v22, v23
	;;#ASMEND
	s_mov_b32 s5, 0x5040100
	s_and_b32 s2, s2, -4
	s_add_i32 s4, s4, s3
	s_mul_i32 s3, s10, s6
	v_perm_b32 v23, v24, v28, s5
	s_movk_i32 s6, 0xff
	s_waitcnt lgkmcnt(0)
	s_add_u32 s0, s0, s3
	v_and_b32_e32 v22, 0xffffff00, v24
	v_and_b32_sdwa v24, v23, s6 dst_sel:DWORD dst_unused:UNUSED_PAD src0_sel:WORD_1 src1_sel:DWORD
	s_addc_u32 s1, s1, s4
	s_mov_b32 s4, 0xffff
	v_or_b32_sdwa v22, v24, v22 dst_sel:WORD_1 dst_unused:UNUSED_PAD src0_sel:DWORD src1_sel:DWORD
	;;#ASMSTART
	v_pk_mul_f32 v[20:21], v[20:21], v[0:1]
	;;#ASMEND
	v_and_or_b32 v22, v23, s4, v22
	;;#ASMSTART
	v_med3_f32 v20, v20, v26, v27
v_med3_f32 v21, v21, v26, v27
v_cvt_pk_fp8_f32 v23, v20, v21
	;;#ASMEND
	;;#ASMSTART
	v_pk_mul_f32 v[16:17], v[16:17], v[0:1]
	;;#ASMEND
	;;#ASMSTART
	v_med3_f32 v16, v16, v26, v27
v_med3_f32 v17, v17, v26, v27
v_cvt_pk_fp8_f32 v20, v16, v17
	;;#ASMEND
	v_lshlrev_b32_e32 v16, 16, v20
	s_and_b32 s1, s1, 0xffff
	s_mov_b32 s3, 0x20000
	v_and_or_b32 v23, v23, s4, v16
	buffer_store_dwordx2 v[22:23], v38, s[0:3], 0 offen
	;;#ASMSTART
	s_nop 0
	;;#ASMEND
	;;#ASMSTART
	v_pk_mul_f32 v[16:17], v[18:19], v[0:1]
	;;#ASMEND
	;;#ASMSTART
	v_med3_f32 v16, v16, v26, v27
v_med3_f32 v17, v17, v26, v27
v_cvt_pk_fp8_f32 v18, v16, v17
	;;#ASMEND
	;;#ASMSTART
	v_pk_mul_f32 v[14:15], v[14:15], v[0:1]
	;;#ASMEND
	;;#ASMSTART
	v_med3_f32 v14, v14, v26, v27
v_med3_f32 v15, v15, v26, v27
v_cvt_pk_fp8_f32 v16, v14, v15
	;;#ASMEND
	v_perm_b32 v15, v16, v18, s5
	v_and_b32_e32 v14, 0xffffff00, v16
	v_and_b32_sdwa v16, v15, s6 dst_sel:DWORD dst_unused:UNUSED_PAD src0_sel:WORD_1 src1_sel:DWORD
	v_or_b32_sdwa v14, v16, v14 dst_sel:WORD_1 dst_unused:UNUSED_PAD src0_sel:DWORD src1_sel:DWORD
	;;#ASMSTART
	v_pk_mul_f32 v[12:13], v[12:13], v[0:1]
	;;#ASMEND
	v_and_or_b32 v14, v15, s4, v14
	;;#ASMSTART
	v_med3_f32 v12, v12, v26, v27
v_med3_f32 v13, v13, v26, v27
v_cvt_pk_fp8_f32 v15, v12, v13
	;;#ASMEND
	;;#ASMSTART
	v_pk_mul_f32 v[8:9], v[8:9], v[0:1]
	;;#ASMEND
	;;#ASMSTART
	v_med3_f32 v8, v8, v26, v27
v_med3_f32 v9, v9, v26, v27
v_cvt_pk_fp8_f32 v12, v8, v9
	;;#ASMEND
	v_lshlrev_b32_e32 v8, 16, v12
	v_and_or_b32 v15, v15, s4, v8
	buffer_store_dwordx2 v[14:15], v38, s[0:3], 8 offen
	;;#ASMSTART
	s_nop 0
	;;#ASMEND
	;;#ASMSTART
	v_pk_mul_f32 v[8:9], v[10:11], v[0:1]
	;;#ASMEND
	;;#ASMSTART
	v_med3_f32 v8, v8, v26, v27
v_med3_f32 v9, v9, v26, v27
v_cvt_pk_fp8_f32 v10, v8, v9
	;;#ASMEND
	;;#ASMSTART
	v_pk_mul_f32 v[6:7], v[6:7], v[0:1]
	;;#ASMEND
	;;#ASMSTART
	v_med3_f32 v6, v6, v26, v27
v_med3_f32 v7, v7, v26, v27
v_cvt_pk_fp8_f32 v8, v6, v7
	;;#ASMEND
	v_perm_b32 v7, v8, v10, s5
	v_and_b32_e32 v6, 0xffffff00, v8
	v_and_b32_sdwa v8, v7, s6 dst_sel:DWORD dst_unused:UNUSED_PAD src0_sel:WORD_1 src1_sel:DWORD
	v_or_b32_sdwa v6, v8, v6 dst_sel:WORD_1 dst_unused:UNUSED_PAD src0_sel:DWORD src1_sel:DWORD
	;;#ASMSTART
	v_pk_mul_f32 v[4:5], v[4:5], v[0:1]
	;;#ASMEND
	v_and_or_b32 v6, v7, s4, v6
	;;#ASMSTART
	v_med3_f32 v4, v4, v26, v27
v_med3_f32 v5, v5, v26, v27
v_cvt_pk_fp8_f32 v7, v4, v5
	;;#ASMEND
	;;#ASMSTART
	v_pk_mul_f32 v[0:1], v[2:3], v[0:1]
	;;#ASMEND
	;;#ASMSTART
	v_med3_f32 v0, v0, v26, v27
v_med3_f32 v1, v1, v26, v27
v_cvt_pk_fp8_f32 v2, v0, v1
	;;#ASMEND
	v_lshlrev_b32_e32 v0, 16, v2
	v_and_or_b32 v7, v7, s4, v0
	buffer_store_dwordx2 v[6:7], v38, s[0:3], 16 offen
	;;#ASMSTART
	s_nop 0
	;;#ASMEND
.LBB83_49:
	s_endpgm
.LBB83_50:
                                        ; implicit-def: $vgpr26_vgpr27
	s_branch .LBB83_37
	.section	.rodata,"a",@progbits
	.p2align	6, 0x0
	.amdhsa_kernel _ZN5aiter24add_rmsnorm_quant_kernelIDF16_DB8_Li256ELi24ELb0ELb1ELb0ELi1EEEvPT0_PT_PfS5_S5_S5_diiiiiiib
		.amdhsa_group_segment_fixed_size 32
		.amdhsa_private_segment_fixed_size 0
		.amdhsa_kernarg_size 88
		.amdhsa_user_sgpr_count 6
		.amdhsa_user_sgpr_private_segment_buffer 1
		.amdhsa_user_sgpr_dispatch_ptr 0
		.amdhsa_user_sgpr_queue_ptr 0
		.amdhsa_user_sgpr_kernarg_segment_ptr 1
		.amdhsa_user_sgpr_dispatch_id 0
		.amdhsa_user_sgpr_flat_scratch_init 0
		.amdhsa_user_sgpr_kernarg_preload_length 0
		.amdhsa_user_sgpr_kernarg_preload_offset 0
		.amdhsa_user_sgpr_private_segment_size 0
		.amdhsa_uses_dynamic_stack 0
		.amdhsa_system_sgpr_private_segment_wavefront_offset 0
		.amdhsa_system_sgpr_workgroup_id_x 1
		.amdhsa_system_sgpr_workgroup_id_y 0
		.amdhsa_system_sgpr_workgroup_id_z 0
		.amdhsa_system_sgpr_workgroup_info 0
		.amdhsa_system_vgpr_workitem_id 0
		.amdhsa_next_free_vgpr 61
		.amdhsa_next_free_sgpr 34
		.amdhsa_accum_offset 64
		.amdhsa_reserve_vcc 1
		.amdhsa_reserve_flat_scratch 0
		.amdhsa_float_round_mode_32 0
		.amdhsa_float_round_mode_16_64 0
		.amdhsa_float_denorm_mode_32 3
		.amdhsa_float_denorm_mode_16_64 3
		.amdhsa_dx10_clamp 1
		.amdhsa_ieee_mode 1
		.amdhsa_fp16_overflow 0
		.amdhsa_tg_split 0
		.amdhsa_exception_fp_ieee_invalid_op 0
		.amdhsa_exception_fp_denorm_src 0
		.amdhsa_exception_fp_ieee_div_zero 0
		.amdhsa_exception_fp_ieee_overflow 0
		.amdhsa_exception_fp_ieee_underflow 0
		.amdhsa_exception_fp_ieee_inexact 0
		.amdhsa_exception_int_div_zero 0
	.end_amdhsa_kernel
	.section	.text._ZN5aiter24add_rmsnorm_quant_kernelIDF16_DB8_Li256ELi24ELb0ELb1ELb0ELi1EEEvPT0_PT_PfS5_S5_S5_diiiiiiib,"axG",@progbits,_ZN5aiter24add_rmsnorm_quant_kernelIDF16_DB8_Li256ELi24ELb0ELb1ELb0ELi1EEEvPT0_PT_PfS5_S5_S5_diiiiiiib,comdat
.Lfunc_end83:
	.size	_ZN5aiter24add_rmsnorm_quant_kernelIDF16_DB8_Li256ELi24ELb0ELb1ELb0ELi1EEEvPT0_PT_PfS5_S5_S5_diiiiiiib, .Lfunc_end83-_ZN5aiter24add_rmsnorm_quant_kernelIDF16_DB8_Li256ELi24ELb0ELb1ELb0ELi1EEEvPT0_PT_PfS5_S5_S5_diiiiiiib
                                        ; -- End function
	.section	.AMDGPU.csdata,"",@progbits
; Kernel info:
; codeLenInByte = 4240
; NumSgprs: 38
; NumVgprs: 61
; NumAgprs: 0
; TotalNumVgprs: 61
; ScratchSize: 0
; MemoryBound: 0
; FloatMode: 240
; IeeeMode: 1
; LDSByteSize: 32 bytes/workgroup (compile time only)
; SGPRBlocks: 4
; VGPRBlocks: 7
; NumSGPRsForWavesPerEU: 38
; NumVGPRsForWavesPerEU: 61
; AccumOffset: 64
; Occupancy: 8
; WaveLimiterHint : 0
; COMPUTE_PGM_RSRC2:SCRATCH_EN: 0
; COMPUTE_PGM_RSRC2:USER_SGPR: 6
; COMPUTE_PGM_RSRC2:TRAP_HANDLER: 0
; COMPUTE_PGM_RSRC2:TGID_X_EN: 1
; COMPUTE_PGM_RSRC2:TGID_Y_EN: 0
; COMPUTE_PGM_RSRC2:TGID_Z_EN: 0
; COMPUTE_PGM_RSRC2:TIDIG_COMP_CNT: 0
; COMPUTE_PGM_RSRC3_GFX90A:ACCUM_OFFSET: 15
; COMPUTE_PGM_RSRC3_GFX90A:TG_SPLIT: 0
	.section	.text._ZN5aiter24add_rmsnorm_quant_kernelItDB8_Li256ELi24ELb0ELb1ELb0ELi1EEEvPT0_PT_PfS5_S5_S5_diiiiiiib,"axG",@progbits,_ZN5aiter24add_rmsnorm_quant_kernelItDB8_Li256ELi24ELb0ELb1ELb0ELi1EEEvPT0_PT_PfS5_S5_S5_diiiiiiib,comdat
	.protected	_ZN5aiter24add_rmsnorm_quant_kernelItDB8_Li256ELi24ELb0ELb1ELb0ELi1EEEvPT0_PT_PfS5_S5_S5_diiiiiiib ; -- Begin function _ZN5aiter24add_rmsnorm_quant_kernelItDB8_Li256ELi24ELb0ELb1ELb0ELi1EEEvPT0_PT_PfS5_S5_S5_diiiiiiib
	.globl	_ZN5aiter24add_rmsnorm_quant_kernelItDB8_Li256ELi24ELb0ELb1ELb0ELi1EEEvPT0_PT_PfS5_S5_S5_diiiiiiib
	.p2align	8
	.type	_ZN5aiter24add_rmsnorm_quant_kernelItDB8_Li256ELi24ELb0ELb1ELb0ELi1EEEvPT0_PT_PfS5_S5_S5_diiiiiiib,@function
_ZN5aiter24add_rmsnorm_quant_kernelItDB8_Li256ELi24ELb0ELb1ELb0ELi1EEEvPT0_PT_PfS5_S5_S5_diiiiiiib: ; @_ZN5aiter24add_rmsnorm_quant_kernelItDB8_Li256ELi24ELb0ELb1ELb0ELi1EEEvPT0_PT_PfS5_S5_S5_diiiiiiib
; %bb.0:
	s_load_dwordx4 s[8:11], s[4:5], 0x38
	s_mov_b32 s7, 0
	s_waitcnt lgkmcnt(0)
	s_ashr_i32 s0, s8, 31
	v_mov_b32_e32 v2, s8
	v_mov_b32_e32 v3, s0
	v_cmp_ge_i64_e32 vcc, s[6:7], v[2:3]
	s_cbranch_vccnz .LBB84_49
; %bb.1:
	s_load_dwordx4 s[12:15], s[4:5], 0x10
	s_load_dwordx4 s[0:3], s[4:5], 0x28
	s_ashr_i32 s11, s10, 31
	s_mul_hi_u32 s16, s10, s6
	s_mul_i32 s11, s11, s6
	s_add_i32 s11, s16, s11
	s_mul_i32 s10, s10, s6
	s_lshl_b64 s[10:11], s[10:11], 1
	s_waitcnt lgkmcnt(0)
	s_add_u32 s16, s14, s10
	s_addc_u32 s10, s15, s11
	s_add_i32 s11, s9, 1
	s_lshr_b32 s14, s11, 31
	s_add_i32 s11, s11, s14
	s_lshl_b32 s11, s11, 1
	s_and_b32 s18, s11, -4
	s_and_b32 s17, s10, 0xffff
	s_mov_b32 s19, 0x20000
	v_mul_u32_u24_e32 v1, 48, v0
	buffer_load_dwordx4 v[14:17], v1, s[16:19], 0 offen
	buffer_load_dwordx4 v[18:21], v1, s[16:19], 16 offen
	;; [unrolled: 1-line block ×3, first 2 shown]
	s_mov_b32 s16, s0
	s_and_b32 s17, s1, 0xffff
	buffer_load_dwordx4 v[10:13], v1, s[16:19], 0 offen
	buffer_load_dwordx4 v[6:9], v1, s[16:19], 16 offen
	;; [unrolled: 1-line block ×3, first 2 shown]
	v_and_b32_e32 v60, 63, v0
	v_cmp_eq_u32_e64 s[0:1], 63, v60
	s_waitcnt vmcnt(5)
	v_cvt_f32_u32_sdwa v37, v14 dst_sel:DWORD dst_unused:UNUSED_PAD src0_sel:WORD_1
	v_cvt_f32_u32_sdwa v36, v14 dst_sel:DWORD dst_unused:UNUSED_PAD src0_sel:WORD_0
	v_cvt_f32_u32_sdwa v35, v15 dst_sel:DWORD dst_unused:UNUSED_PAD src0_sel:WORD_1
	v_cvt_f32_u32_sdwa v34, v15 dst_sel:DWORD dst_unused:UNUSED_PAD src0_sel:WORD_0
	;; [unrolled: 2-line block ×3, first 2 shown]
	s_waitcnt vmcnt(4)
	v_cvt_f32_u32_sdwa v29, v18 dst_sel:DWORD dst_unused:UNUSED_PAD src0_sel:WORD_1
	v_cvt_f32_u32_sdwa v28, v18 dst_sel:DWORD dst_unused:UNUSED_PAD src0_sel:WORD_0
	v_cvt_f32_u32_sdwa v27, v19 dst_sel:DWORD dst_unused:UNUSED_PAD src0_sel:WORD_1
	v_cvt_f32_u32_sdwa v26, v19 dst_sel:DWORD dst_unused:UNUSED_PAD src0_sel:WORD_0
	v_cvt_f32_u32_sdwa v25, v20 dst_sel:DWORD dst_unused:UNUSED_PAD src0_sel:WORD_1
	v_cvt_f32_u32_sdwa v24, v20 dst_sel:DWORD dst_unused:UNUSED_PAD src0_sel:WORD_0
	v_cvt_f32_u32_sdwa v23, v21 dst_sel:DWORD dst_unused:UNUSED_PAD src0_sel:WORD_1
	v_cvt_f32_u32_sdwa v22, v21 dst_sel:DWORD dst_unused:UNUSED_PAD src0_sel:WORD_0
	s_waitcnt vmcnt(3)
	v_cvt_f32_u32_sdwa v21, v38 dst_sel:DWORD dst_unused:UNUSED_PAD src0_sel:WORD_1
	v_cvt_f32_u32_sdwa v20, v38 dst_sel:DWORD dst_unused:UNUSED_PAD src0_sel:WORD_0
	v_cvt_f32_u32_sdwa v19, v39 dst_sel:DWORD dst_unused:UNUSED_PAD src0_sel:WORD_1
	v_cvt_f32_u32_sdwa v18, v39 dst_sel:DWORD dst_unused:UNUSED_PAD src0_sel:WORD_0
	v_pk_mul_f32 v[38:39], v[36:37], v[36:37]
	v_cvt_f32_u32_sdwa v31, v17 dst_sel:DWORD dst_unused:UNUSED_PAD src0_sel:WORD_1
	v_cvt_f32_u32_sdwa v30, v17 dst_sel:DWORD dst_unused:UNUSED_PAD src0_sel:WORD_0
	v_cvt_f32_u32_sdwa v17, v40 dst_sel:DWORD dst_unused:UNUSED_PAD src0_sel:WORD_1
	v_cvt_f32_u32_sdwa v16, v40 dst_sel:DWORD dst_unused:UNUSED_PAD src0_sel:WORD_0
	v_cvt_f32_u32_sdwa v15, v41 dst_sel:DWORD dst_unused:UNUSED_PAD src0_sel:WORD_1
	v_cvt_f32_u32_sdwa v14, v41 dst_sel:DWORD dst_unused:UNUSED_PAD src0_sel:WORD_0
	v_pk_mul_f32 v[40:41], v[34:35], v[34:35]
	v_add_f32_e32 v1, v38, v39
	v_add_f32_e32 v1, v40, v1
	v_pk_mul_f32 v[42:43], v[32:33], v[32:33]
	v_add_f32_e32 v1, v41, v1
	v_add_f32_e32 v1, v42, v1
	;; [unrolled: 3-line block ×11, first 2 shown]
	v_add_f32_e32 v1, v39, v1
	s_nop 1
	v_mov_b32_dpp v38, v1 quad_perm:[1,0,3,2] row_mask:0xf bank_mask:0xf
	v_add_f32_e32 v1, v1, v38
	s_nop 1
	v_mov_b32_dpp v38, v1 quad_perm:[2,3,0,1] row_mask:0xf bank_mask:0xf
	v_add_f32_e32 v1, v1, v38
	s_nop 1
	v_mov_b32_dpp v38, v1 row_half_mirror row_mask:0xf bank_mask:0xf
	v_add_f32_e32 v1, v1, v38
	s_nop 1
	v_mov_b32_dpp v38, v1 row_mirror row_mask:0xf bank_mask:0xf
	v_add_f32_e32 v1, v1, v38
	s_nop 1
	v_mov_b32_dpp v38, v1 row_bcast:15 row_mask:0xf bank_mask:0xf
	v_add_f32_e32 v1, v1, v38
	s_nop 1
	v_mov_b32_dpp v38, v1 row_bcast:31 row_mask:0xf bank_mask:0xf
	s_and_saveexec_b64 s[10:11], s[0:1]
	s_cbranch_execz .LBB84_3
; %bb.2:
	v_lshrrev_b32_e32 v39, 4, v0
	v_and_b32_e32 v39, 60, v39
	v_add_f32_e32 v1, v1, v38
	ds_write_b32 v39, v1 offset:16
.LBB84_3:
	s_or_b64 exec, exec, s[10:11]
	v_and_b32_e32 v1, 3, v0
	v_lshlrev_b32_e32 v1, 2, v1
	s_waitcnt lgkmcnt(0)
	s_barrier
	ds_read_b32 v38, v1 offset:16
	v_cvt_f32_i32_e32 v39, s9
	s_waitcnt lgkmcnt(0)
	v_mov_b32_dpp v40, v38 quad_perm:[1,0,3,2] row_mask:0xf bank_mask:0xf
	v_add_f32_e32 v38, v38, v40
	s_nop 1
	v_mov_b32_dpp v40, v38 quad_perm:[2,3,0,1] row_mask:0xf bank_mask:0xf
	v_add_f32_e32 v38, v38, v40
	v_div_scale_f32 v40, s[10:11], v39, v39, v38
	v_rcp_f32_e32 v41, v40
	v_div_scale_f32 v42, vcc, v38, v39, v38
	s_load_dwordx2 s[10:11], s[4:5], 0x4c
	s_load_dword s18, s[4:5], 0x54
	v_fma_f32 v43, -v40, v41, 1.0
	v_fmac_f32_e32 v41, v43, v41
	v_mul_f32_e32 v43, v42, v41
	v_fma_f32 v44, -v40, v43, v42
	v_fmac_f32_e32 v43, v44, v41
	v_fma_f32 v40, -v40, v43, v42
	v_div_fmas_f32 v40, v40, v41, v43
	v_div_fixup_f32 v38, v40, v39, v38
	v_cvt_f64_f32_e32 v[38:39], v38
	v_add_f64 v[38:39], v[38:39], s[2:3]
	v_cvt_f32_f64_e32 v38, v[38:39]
	s_mov_b32 s2, 0x800000
	v_mul_f32_e32 v39, 0x4b800000, v38
	v_cmp_gt_f32_e32 vcc, s2, v38
	v_cndmask_b32_e32 v38, v38, v39, vcc
	v_rsq_f32_e32 v39, v38
	v_mul_u32_u24_e32 v38, 24, v0
	s_waitcnt lgkmcnt(0)
	s_cmp_lg_u32 s11, 0
	v_mul_f32_e32 v40, 0x45800000, v39
	v_cndmask_b32_e32 v40, v39, v40, vcc
	v_mov_b32_e32 v41, v40
	;;#ASMSTART
	v_pk_mul_f32 v[36:37], v[36:37], v[40:41]
	;;#ASMEND
	;;#ASMSTART
	v_pk_mul_f32 v[34:35], v[34:35], v[40:41]
	;;#ASMEND
	;;#ASMSTART
	v_pk_mul_f32 v[32:33], v[32:33], v[40:41]
	;;#ASMEND
	;;#ASMSTART
	v_pk_mul_f32 v[30:31], v[30:31], v[40:41]
	;;#ASMEND
	;;#ASMSTART
	v_pk_mul_f32 v[28:29], v[28:29], v[40:41]
	;;#ASMEND
	;;#ASMSTART
	v_pk_mul_f32 v[26:27], v[26:27], v[40:41]
	;;#ASMEND
	;;#ASMSTART
	v_pk_mul_f32 v[42:43], v[24:25], v[40:41]
	;;#ASMEND
	;;#ASMSTART
	v_pk_mul_f32 v[44:45], v[22:23], v[40:41]
	;;#ASMEND
	;;#ASMSTART
	v_pk_mul_f32 v[46:47], v[20:21], v[40:41]
	;;#ASMEND
	;;#ASMSTART
	v_pk_mul_f32 v[48:49], v[18:19], v[40:41]
	;;#ASMEND
	;;#ASMSTART
	v_pk_mul_f32 v[50:51], v[16:17], v[40:41]
	;;#ASMEND
	;;#ASMSTART
	v_pk_mul_f32 v[40:41], v[14:15], v[40:41]
	;;#ASMEND
	s_waitcnt vmcnt(2)
	v_cvt_f32_u32_sdwa v15, v10 dst_sel:DWORD dst_unused:UNUSED_PAD src0_sel:WORD_1
	v_cvt_f32_u32_sdwa v14, v10 dst_sel:DWORD dst_unused:UNUSED_PAD src0_sel:WORD_0
	v_cvt_f32_u32_sdwa v17, v11 dst_sel:DWORD dst_unused:UNUSED_PAD src0_sel:WORD_1
	v_cvt_f32_u32_sdwa v16, v11 dst_sel:DWORD dst_unused:UNUSED_PAD src0_sel:WORD_0
	;; [unrolled: 2-line block ×4, first 2 shown]
	;;#ASMSTART
	v_pk_mul_f32 v[24:25], v[36:37], v[14:15]
	;;#ASMEND
	;;#ASMSTART
	v_pk_mul_f32 v[22:23], v[34:35], v[16:17]
	;;#ASMEND
	;; [unrolled: 3-line block ×3, first 2 shown]
	s_waitcnt vmcnt(1)
	v_cvt_f32_u32_sdwa v11, v6 dst_sel:DWORD dst_unused:UNUSED_PAD src0_sel:WORD_1
	v_cvt_f32_u32_sdwa v10, v6 dst_sel:DWORD dst_unused:UNUSED_PAD src0_sel:WORD_0
	v_cvt_f32_u32_sdwa v13, v7 dst_sel:DWORD dst_unused:UNUSED_PAD src0_sel:WORD_1
	v_cvt_f32_u32_sdwa v12, v7 dst_sel:DWORD dst_unused:UNUSED_PAD src0_sel:WORD_0
	;; [unrolled: 2-line block ×3, first 2 shown]
	;;#ASMSTART
	v_pk_mul_f32 v[16:17], v[30:31], v[18:19]
	;;#ASMEND
	;;#ASMSTART
	v_pk_mul_f32 v[18:19], v[28:29], v[10:11]
	;;#ASMEND
	;; [unrolled: 3-line block ×4, first 2 shown]
	s_waitcnt vmcnt(0)
	v_cvt_f32_u32_sdwa v7, v2 dst_sel:DWORD dst_unused:UNUSED_PAD src0_sel:WORD_1
	v_cvt_f32_u32_sdwa v6, v2 dst_sel:DWORD dst_unused:UNUSED_PAD src0_sel:WORD_0
	v_cvt_f32_u32_sdwa v27, v3 dst_sel:DWORD dst_unused:UNUSED_PAD src0_sel:WORD_1
	v_cvt_f32_u32_sdwa v26, v3 dst_sel:DWORD dst_unused:UNUSED_PAD src0_sel:WORD_0
	;; [unrolled: 2-line block ×3, first 2 shown]
	v_cvt_f32_u32_sdwa v28, v5 dst_sel:DWORD dst_unused:UNUSED_PAD src0_sel:WORD_0
	v_cvt_f32_u32_sdwa v31, v9 dst_sel:DWORD dst_unused:UNUSED_PAD src0_sel:WORD_1
	v_cvt_f32_u32_sdwa v30, v9 dst_sel:DWORD dst_unused:UNUSED_PAD src0_sel:WORD_0
	;;#ASMSTART
	v_pk_mul_f32 v[8:9], v[44:45], v[30:31]
	;;#ASMEND
	v_cvt_f32_u32_sdwa v29, v5 dst_sel:DWORD dst_unused:UNUSED_PAD src0_sel:WORD_1
	;;#ASMSTART
	v_pk_mul_f32 v[10:11], v[46:47], v[6:7]
	;;#ASMEND
	;;#ASMSTART
	v_pk_mul_f32 v[6:7], v[48:49], v[26:27]
	;;#ASMEND
	;; [unrolled: 3-line block ×4, first 2 shown]
	v_and_b32_e32 v26, 0x7fffffff, v24
	v_mov_b32_e32 v28, 0x2edbe6ff
	v_and_b32_e32 v27, 0x7fffffff, v25
	;;#ASMSTART
	v_max3_f32 v26, v28, v26, v27

	;;#ASMEND
	v_and_b32_e32 v28, 0x7fffffff, v23
	v_and_b32_e32 v27, 0x7fffffff, v22
	;;#ASMSTART
	v_max3_f32 v26, v26, v27, v28

	;;#ASMEND
	v_and_b32_e32 v28, 0x7fffffff, v21
	;; [unrolled: 6-line block ×11, first 2 shown]
	v_and_b32_e32 v27, 0x7fffffff, v2
	;;#ASMSTART
	v_max3_f32 v28, v26, v27, v28

	;;#ASMEND
	s_cbranch_scc0 .LBB84_10
; %bb.4:
	s_mul_hi_i32 s2, s11, 0x2aaaaaab
	s_lshr_b32 s3, s2, 31
	s_ashr_i32 s16, s2, 2
	s_add_i32 s16, s16, s3
	s_cmp_lt_i32 s16, 16
	s_cbranch_scc1 .LBB84_11
; %bb.5:
	s_cmp_lt_i32 s16, 32
	s_cbranch_scc1 .LBB84_12
; %bb.6:
	;; [unrolled: 3-line block ×3, first 2 shown]
	s_cmp_eq_u32 s16, 64
	v_mov_b32_e32 v26, v28
	s_cbranch_scc0 .LBB84_9
; %bb.8:
	s_nop 0
	v_mov_b32_dpp v26, v28 quad_perm:[1,0,3,2] row_mask:0xf bank_mask:0xf
	v_cmp_gt_f32_e32 vcc, v28, v26
	v_cndmask_b32_e32 v26, v26, v28, vcc
	v_bfrev_b32_e32 v29, 0.5
	s_nop 0
	v_mov_b32_dpp v27, v26 quad_perm:[2,3,0,1] row_mask:0xf bank_mask:0xf
	v_cmp_gt_f32_e32 vcc, v26, v27
	v_cndmask_b32_e32 v26, v27, v26, vcc
	s_nop 1
	v_mov_b32_dpp v27, v26 row_ror:4 row_mask:0xf bank_mask:0xf
	v_cmp_gt_f32_e32 vcc, v26, v27
	v_cndmask_b32_e32 v26, v27, v26, vcc
	s_nop 1
	v_mov_b32_dpp v27, v26 row_ror:8 row_mask:0xf bank_mask:0xf
	v_cmp_gt_f32_e32 vcc, v26, v27
	v_cndmask_b32_e32 v26, v27, v26, vcc
	s_nop 1
	v_mov_b32_dpp v27, v26 row_bcast:15 row_mask:0xf bank_mask:0xf
	v_cmp_gt_f32_e32 vcc, v26, v27
	v_cndmask_b32_e32 v26, v27, v26, vcc
	s_nop 1
	v_mov_b32_dpp v27, v26 row_bcast:31 row_mask:0xf bank_mask:0xf
	v_cmp_gt_f32_e32 vcc, v26, v27
	v_cndmask_b32_e32 v26, v27, v26, vcc
	v_mbcnt_lo_u32_b32 v27, -1, 0
	v_mbcnt_hi_u32_b32 v27, -1, v27
	v_lshl_or_b32 v27, v27, 2, v29
	ds_bpermute_b32 v26, v27, v26
.LBB84_9:
	s_mov_b64 s[2:3], 0
	s_branch .LBB84_14
.LBB84_10:
	s_mov_b64 s[2:3], 0
                                        ; implicit-def: $vgpr29
                                        ; implicit-def: $vgpr26_vgpr27
	s_cbranch_execnz .LBB84_43
	s_branch .LBB84_46
.LBB84_11:
                                        ; implicit-def: $vgpr26
	s_branch .LBB84_21
.LBB84_12:
                                        ; implicit-def: $vgpr26
	s_branch .LBB84_18
.LBB84_13:
	s_mov_b64 s[2:3], -1
                                        ; implicit-def: $vgpr26
.LBB84_14:
	s_andn2_b64 vcc, exec, s[2:3]
	s_cbranch_vccnz .LBB84_17
; %bb.15:
	s_cmp_eq_u32 s16, 32
	s_waitcnt lgkmcnt(0)
	v_mov_b32_e32 v26, v28
	s_cbranch_scc0 .LBB84_17
; %bb.16:
	s_nop 0
	v_mov_b32_dpp v26, v28 quad_perm:[1,0,3,2] row_mask:0xf bank_mask:0xf
	v_cmp_gt_f32_e32 vcc, v28, v26
	v_cndmask_b32_e32 v26, v26, v28, vcc
	v_mov_b32_e32 v29, 0x7c
	s_nop 0
	v_mov_b32_dpp v27, v26 quad_perm:[2,3,0,1] row_mask:0xf bank_mask:0xf
	v_cmp_gt_f32_e32 vcc, v26, v27
	v_cndmask_b32_e32 v26, v27, v26, vcc
	s_nop 1
	v_mov_b32_dpp v27, v26 row_half_mirror row_mask:0xf bank_mask:0xf
	v_cmp_gt_f32_e32 vcc, v26, v27
	v_cndmask_b32_e32 v26, v27, v26, vcc
	s_nop 1
	v_mov_b32_dpp v27, v26 row_mirror row_mask:0xf bank_mask:0xf
	v_cmp_gt_f32_e32 vcc, v26, v27
	v_cndmask_b32_e32 v26, v27, v26, vcc
	s_nop 1
	v_mov_b32_dpp v27, v26 row_bcast:15 row_mask:0xa bank_mask:0xf
	v_cmp_gt_f32_e32 vcc, v26, v27
	v_cndmask_b32_e32 v26, v27, v26, vcc
	v_mbcnt_lo_u32_b32 v27, -1, 0
	v_mbcnt_hi_u32_b32 v27, -1, v27
	v_lshl_or_b32 v27, v27, 2, v29
	ds_bpermute_b32 v26, v27, v26
.LBB84_17:
	s_cbranch_execnz .LBB84_20
.LBB84_18:
	s_cmp_eq_u32 s16, 16
	s_waitcnt lgkmcnt(0)
	v_mov_b32_e32 v26, v28
	s_cbranch_scc0 .LBB84_20
; %bb.19:
	s_nop 0
	v_mov_b32_dpp v26, v28 quad_perm:[1,0,3,2] row_mask:0xf bank_mask:0xf
	v_cmp_gt_f32_e32 vcc, v28, v26
	v_cndmask_b32_e32 v26, v26, v28, vcc
	s_nop 1
	v_mov_b32_dpp v27, v26 quad_perm:[2,3,0,1] row_mask:0xf bank_mask:0xf
	v_cmp_gt_f32_e32 vcc, v26, v27
	v_cndmask_b32_e32 v26, v27, v26, vcc
	s_nop 1
	v_mov_b32_dpp v27, v26 row_half_mirror row_mask:0xf bank_mask:0xf
	v_cmp_gt_f32_e32 vcc, v26, v27
	v_cndmask_b32_e32 v26, v27, v26, vcc
	s_nop 1
	v_mov_b32_dpp v27, v26 row_mirror row_mask:0xf bank_mask:0xf
	v_cmp_gt_f32_e32 vcc, v26, v27
	v_cndmask_b32_e32 v26, v27, v26, vcc
.LBB84_20:
	s_cbranch_execnz .LBB84_33
.LBB84_21:
	s_cmp_lt_i32 s16, 4
	s_cbranch_scc1 .LBB84_25
; %bb.22:
	s_cmp_lt_i32 s16, 8
	s_cbranch_scc1 .LBB84_26
; %bb.23:
	s_cmp_eq_u32 s16, 8
	s_waitcnt lgkmcnt(0)
	v_mov_b32_e32 v26, v28
	s_cbranch_scc0 .LBB84_27
; %bb.24:
	s_nop 0
	v_mov_b32_dpp v26, v28 quad_perm:[1,0,3,2] row_mask:0xf bank_mask:0xf
	v_cmp_gt_f32_e32 vcc, v28, v26
	v_cndmask_b32_e32 v26, v26, v28, vcc
	s_nop 1
	v_mov_b32_dpp v27, v26 quad_perm:[2,3,0,1] row_mask:0xf bank_mask:0xf
	v_cmp_gt_f32_e32 vcc, v26, v27
	v_cndmask_b32_e32 v26, v27, v26, vcc
	s_nop 1
	v_mov_b32_dpp v27, v26 row_half_mirror row_mask:0xf bank_mask:0xf
	v_cmp_gt_f32_e32 vcc, v26, v27
	v_cndmask_b32_e32 v26, v27, v26, vcc
	s_cbranch_execz .LBB84_28
	s_branch .LBB84_30
.LBB84_25:
                                        ; implicit-def: $vgpr26
	s_branch .LBB84_31
.LBB84_26:
                                        ; implicit-def: $vgpr26
	s_branch .LBB84_28
.LBB84_27:
	s_cbranch_execnz .LBB84_30
.LBB84_28:
	s_cmp_eq_u32 s16, 4
	s_waitcnt lgkmcnt(0)
	v_mov_b32_e32 v26, v28
	s_cbranch_scc0 .LBB84_30
; %bb.29:
	s_nop 0
	v_mov_b32_dpp v26, v28 quad_perm:[1,0,3,2] row_mask:0xf bank_mask:0xf
	v_cmp_gt_f32_e32 vcc, v28, v26
	v_cndmask_b32_e32 v26, v26, v28, vcc
	s_nop 1
	v_mov_b32_dpp v27, v26 quad_perm:[2,3,0,1] row_mask:0xf bank_mask:0xf
	v_cmp_gt_f32_e32 vcc, v26, v27
	v_cndmask_b32_e32 v26, v27, v26, vcc
.LBB84_30:
	s_cbranch_execnz .LBB84_33
.LBB84_31:
	s_cmp_lg_u32 s16, 2
	s_waitcnt lgkmcnt(0)
	v_mov_b32_e32 v26, v28
	s_cbranch_scc1 .LBB84_33
; %bb.32:
	s_nop 0
	v_mov_b32_dpp v26, v28 quad_perm:[1,0,3,2] row_mask:0xf bank_mask:0xf
	v_cmp_gt_f32_e32 vcc, v28, v26
	v_cndmask_b32_e32 v26, v26, v28, vcc
.LBB84_33:
	v_cvt_f32_u32_e32 v27, s16
	s_waitcnt lgkmcnt(0)
	v_mul_f32_e32 v29, 0x3b124925, v26
	s_sub_i32 s2, 0, s16
	v_cmp_gt_u32_e32 vcc, s9, v38
	v_rcp_iflag_f32_e32 v27, v27
	s_mov_b64 s[14:15], 0
	v_mul_f32_e32 v26, 0x4f7ffffe, v27
	v_cvt_u32_f32_e32 v26, v26
	v_mul_lo_u32 v27, s2, v26
	v_mul_hi_u32 v27, v26, v27
	v_add_u32_e32 v26, v26, v27
	v_mul_hi_u32 v26, v0, v26
	v_mul_lo_u32 v27, v26, s16
	v_sub_u32_e32 v27, v0, v27
	v_add_u32_e32 v30, 1, v26
	v_cmp_le_u32_e64 s[2:3], s16, v27
	v_cndmask_b32_e64 v26, v26, v30, s[2:3]
	v_subrev_u32_e32 v30, s16, v27
	v_cndmask_b32_e64 v27, v27, v30, s[2:3]
	v_add_u32_e32 v30, 1, v26
	v_cmp_le_u32_e64 s[2:3], s16, v27
	v_cndmask_b32_e64 v30, v26, v30, s[2:3]
	v_mul_lo_u32 v26, v30, s16
	v_sub_u32_e32 v26, v0, v26
	v_cmp_eq_u32_e64 s[2:3], 0, v26
	s_and_b64 s[16:17], s[2:3], vcc
	s_mov_b64 s[2:3], 0
                                        ; implicit-def: $vgpr26_vgpr27
	s_and_saveexec_b64 s[20:21], s[16:17]
	s_xor_b64 s[16:17], exec, s[20:21]
	s_cbranch_execz .LBB84_42
; %bb.34:
	s_bitcmp0_b32 s18, 0
	s_cbranch_scc0 .LBB84_39
; %bb.35:
	s_ashr_i32 s2, s9, 31
	s_mul_hi_u32 s3, s9, s6
	s_mul_i32 s2, s2, s6
	s_add_i32 s21, s3, s2
	s_mul_i32 s20, s9, s6
	s_ashr_i32 s19, s11, 31
	s_mov_b32 s18, s11
	s_or_b64 s[2:3], s[20:21], s[18:19]
	s_mov_b32 s2, 0
	s_cmp_lg_u64 s[2:3], 0
	s_cbranch_scc0 .LBB84_50
; %bb.36:
	s_add_u32 s2, s18, s19
	s_mov_b32 s24, s19
	s_mov_b32 s25, s19
	s_addc_u32 s3, s19, s19
	s_xor_b64 s[26:27], s[2:3], s[24:25]
	v_cvt_f32_u32_e32 v26, s26
	v_cvt_f32_u32_e32 v27, s27
	s_sub_u32 s2, 0, s26
	s_subb_u32 s3, 0, s27
	v_madmk_f32 v26, v27, 0x4f800000, v26
	v_rcp_f32_e32 v26, v26
	v_mul_f32_e32 v26, 0x5f7ffffc, v26
	v_mul_f32_e32 v27, 0x2f800000, v26
	v_trunc_f32_e32 v27, v27
	v_madmk_f32 v26, v27, 0xcf800000, v26
	v_cvt_u32_f32_e32 v27, v27
	v_cvt_u32_f32_e32 v26, v26
	v_readfirstlane_b32 s11, v27
	v_readfirstlane_b32 s19, v26
	s_mul_i32 s28, s2, s11
	s_mul_hi_u32 s30, s2, s19
	s_mul_i32 s29, s3, s19
	s_add_i32 s28, s30, s28
	s_add_i32 s28, s28, s29
	s_mul_i32 s31, s2, s19
	s_mul_hi_u32 s29, s19, s28
	s_mul_i32 s30, s19, s28
	s_mul_hi_u32 s19, s19, s31
	s_add_u32 s19, s19, s30
	s_addc_u32 s29, 0, s29
	s_mul_hi_u32 s33, s11, s31
	s_mul_i32 s31, s11, s31
	s_add_u32 s19, s19, s31
	s_mul_hi_u32 s30, s11, s28
	s_addc_u32 s19, s29, s33
	s_addc_u32 s29, s30, 0
	s_mul_i32 s28, s11, s28
	s_add_u32 s19, s19, s28
	s_addc_u32 s28, 0, s29
	v_add_co_u32_e32 v26, vcc, s19, v26
	s_cmp_lg_u64 vcc, 0
	s_addc_u32 s11, s11, s28
	v_readfirstlane_b32 s28, v26
	s_mul_i32 s19, s2, s11
	s_mul_hi_u32 s29, s2, s28
	s_add_i32 s19, s29, s19
	s_mul_i32 s3, s3, s28
	s_add_i32 s19, s19, s3
	s_mul_i32 s2, s2, s28
	s_mul_hi_u32 s29, s11, s2
	s_mul_i32 s30, s11, s2
	s_mul_i32 s33, s28, s19
	s_mul_hi_u32 s2, s28, s2
	s_mul_hi_u32 s31, s28, s19
	s_add_u32 s2, s2, s33
	s_addc_u32 s28, 0, s31
	s_add_u32 s2, s2, s30
	s_mul_hi_u32 s3, s11, s19
	s_addc_u32 s2, s28, s29
	s_addc_u32 s3, s3, 0
	s_mul_i32 s19, s11, s19
	s_add_u32 s2, s2, s19
	s_addc_u32 s3, 0, s3
	v_add_co_u32_e32 v26, vcc, s2, v26
	s_cmp_lg_u64 vcc, 0
	s_addc_u32 s11, s11, s3
	s_ashr_i32 s28, s21, 31
	s_add_u32 s2, s20, s28
	s_mov_b32 s29, s28
	s_addc_u32 s3, s21, s28
	s_xor_b64 s[30:31], s[2:3], s[28:29]
	v_readfirstlane_b32 s19, v26
	s_mul_i32 s3, s30, s11
	s_mul_hi_u32 s21, s30, s19
	s_mul_hi_u32 s2, s30, s11
	s_add_u32 s3, s21, s3
	s_addc_u32 s2, 0, s2
	s_mul_hi_u32 s33, s31, s19
	s_mul_i32 s19, s31, s19
	s_add_u32 s3, s3, s19
	s_mul_hi_u32 s21, s31, s11
	s_addc_u32 s2, s2, s33
	s_addc_u32 s3, s21, 0
	s_mul_i32 s11, s31, s11
	s_add_u32 s11, s2, s11
	s_addc_u32 s19, 0, s3
	s_mul_i32 s2, s26, s19
	s_mul_hi_u32 s3, s26, s11
	s_add_i32 s2, s3, s2
	s_mul_i32 s3, s27, s11
	s_add_i32 s21, s2, s3
	s_mul_i32 s3, s26, s11
	v_mov_b32_e32 v26, s3
	s_sub_i32 s2, s31, s21
	v_sub_co_u32_e32 v26, vcc, s30, v26
	s_cmp_lg_u64 vcc, 0
	s_subb_u32 s30, s2, s27
	v_subrev_co_u32_e64 v27, s[2:3], s26, v26
	s_cmp_lg_u64 s[2:3], 0
	s_subb_u32 s30, s30, 0
	s_cmp_ge_u32 s30, s27
	s_cselect_b32 s33, -1, 0
	v_cmp_le_u32_e64 s[2:3], s26, v27
	s_cmp_eq_u32 s30, s27
	v_cndmask_b32_e64 v27, 0, -1, s[2:3]
	v_mov_b32_e32 v31, s33
	s_cselect_b64 s[2:3], -1, 0
	v_cndmask_b32_e64 v27, v31, v27, s[2:3]
	s_add_u32 s2, s11, 1
	s_addc_u32 s30, s19, 0
	s_add_u32 s3, s11, 2
	s_addc_u32 s33, s19, 0
	v_mov_b32_e32 v31, s2
	v_mov_b32_e32 v32, s3
	v_cmp_ne_u32_e64 s[2:3], 0, v27
	v_cndmask_b32_e64 v27, v31, v32, s[2:3]
	v_mov_b32_e32 v31, s30
	v_mov_b32_e32 v32, s33
	s_cmp_lg_u64 vcc, 0
	v_cndmask_b32_e64 v31, v31, v32, s[2:3]
	s_subb_u32 s2, s31, s21
	s_cmp_ge_u32 s2, s27
	s_cselect_b32 s3, -1, 0
	v_cmp_le_u32_e32 vcc, s26, v26
	s_cmp_eq_u32 s2, s27
	v_cndmask_b32_e64 v26, 0, -1, vcc
	v_mov_b32_e32 v32, s3
	s_cselect_b64 vcc, -1, 0
	v_cndmask_b32_e32 v26, v32, v26, vcc
	v_mov_b32_e32 v32, s19
	v_cmp_ne_u32_e32 vcc, 0, v26
	v_cndmask_b32_e32 v26, v32, v31, vcc
	v_mov_b32_e32 v31, s11
	v_cndmask_b32_e32 v27, v31, v27, vcc
	s_xor_b64 s[2:3], s[28:29], s[24:25]
	v_xor_b32_e32 v27, s2, v27
	v_xor_b32_e32 v31, s3, v26
	v_mov_b32_e32 v32, s3
	v_subrev_co_u32_e32 v26, vcc, s2, v27
	v_subb_co_u32_e32 v27, vcc, v31, v32, vcc
	s_cbranch_execnz .LBB84_38
.LBB84_37:
	v_cvt_f32_u32_e32 v26, s18
	s_sub_i32 s2, 0, s18
	s_mov_b32 s3, 0
	v_rcp_iflag_f32_e32 v26, v26
	v_mul_f32_e32 v26, 0x4f7ffffe, v26
	v_cvt_u32_f32_e32 v26, v26
	v_readfirstlane_b32 s11, v26
	s_mul_i32 s2, s2, s11
	s_mul_hi_u32 s2, s11, s2
	s_add_i32 s11, s11, s2
	s_mul_hi_u32 s2, s20, s11
	s_mul_i32 s19, s2, s18
	s_sub_i32 s19, s20, s19
	s_add_i32 s11, s2, 1
	s_sub_i32 s20, s19, s18
	s_cmp_ge_u32 s19, s18
	s_cselect_b32 s2, s11, s2
	s_cselect_b32 s19, s20, s19
	s_add_i32 s11, s2, 1
	s_cmp_ge_u32 s19, s18
	s_cselect_b32 s2, s11, s2
	v_pk_mov_b32 v[26:27], s[2:3], s[2:3] op_sel:[0,1]
.LBB84_38:
	v_add_co_u32_e32 v26, vcc, v26, v30
	v_addc_co_u32_e32 v27, vcc, 0, v27, vcc
	s_branch .LBB84_41
.LBB84_39:
                                        ; implicit-def: $vgpr26_vgpr27
	s_cbranch_execz .LBB84_41
; %bb.40:
	v_mul_lo_u32 v26, v30, s8
	v_ashrrev_i32_e32 v27, 31, v26
	v_mov_b32_e32 v30, s7
	v_add_co_u32_e32 v26, vcc, s6, v26
	v_addc_co_u32_e32 v27, vcc, v27, v30, vcc
.LBB84_41:
	s_mov_b64 s[2:3], exec
.LBB84_42:
	s_or_b64 exec, exec, s[16:17]
	s_and_b64 vcc, exec, s[14:15]
	s_cbranch_vccz .LBB84_46
.LBB84_43:
	v_mov_b32_dpp v26, v28 quad_perm:[1,0,3,2] row_mask:0xf bank_mask:0xf
	v_cmp_gt_f32_e32 vcc, v28, v26
	v_cndmask_b32_e32 v26, v26, v28, vcc
	s_nop 1
	v_mov_b32_dpp v27, v26 quad_perm:[2,3,0,1] row_mask:0xf bank_mask:0xf
	v_cmp_gt_f32_e32 vcc, v26, v27
	v_cndmask_b32_e32 v26, v27, v26, vcc
	s_nop 1
	v_mov_b32_dpp v27, v26 row_half_mirror row_mask:0xf bank_mask:0xf
	v_cmp_gt_f32_e32 vcc, v26, v27
	v_cndmask_b32_e32 v26, v27, v26, vcc
	s_nop 1
	v_mov_b32_dpp v27, v26 row_mirror row_mask:0xf bank_mask:0xf
	v_cmp_gt_f32_e32 vcc, v26, v27
	v_cndmask_b32_e32 v26, v27, v26, vcc
	s_nop 1
	v_mov_b32_dpp v27, v26 row_bcast:15 row_mask:0xf bank_mask:0xf
	v_cmp_gt_f32_e32 vcc, v26, v27
	v_cndmask_b32_e32 v26, v27, v26, vcc
	s_nop 1
	v_mov_b32_dpp v27, v26 row_bcast:31 row_mask:0xf bank_mask:0xf
	s_and_saveexec_b64 s[2:3], s[0:1]
	s_cbranch_execz .LBB84_45
; %bb.44:
	v_lshrrev_b32_e32 v28, 4, v0
	v_cmp_gt_f32_e32 vcc, v26, v27
	v_and_b32_e32 v28, 60, v28
	v_cndmask_b32_e32 v26, v27, v26, vcc
	ds_write_b32 v28, v26
.LBB84_45:
	s_or_b64 exec, exec, s[2:3]
	s_waitcnt lgkmcnt(0)
	s_barrier
	ds_read_b32 v1, v1
	v_cmp_eq_u32_e64 s[2:3], 0, v0
	s_waitcnt lgkmcnt(0)
	v_mov_b32_dpp v26, v1 quad_perm:[1,0,3,2] row_mask:0xf bank_mask:0xf
	v_cmp_gt_f32_e32 vcc, v1, v26
	v_cndmask_b32_e32 v1, v26, v1, vcc
	s_nop 1
	v_mov_b32_dpp v26, v1 quad_perm:[2,3,0,1] row_mask:0xf bank_mask:0xf
	v_cmp_gt_f32_e32 vcc, v1, v26
	v_cndmask_b32_e32 v1, v26, v1, vcc
	v_mul_f32_e32 v29, 0x3b124925, v1
	v_pk_mov_b32 v[26:27], s[6:7], s[6:7] op_sel:[0,1]
.LBB84_46:
	s_and_saveexec_b64 s[0:1], s[2:3]
	s_cbranch_execz .LBB84_48
; %bb.47:
	v_lshlrev_b64 v[0:1], 2, v[26:27]
	v_mov_b32_e32 v26, s13
	v_add_co_u32_e32 v0, vcc, s12, v0
	v_addc_co_u32_e32 v1, vcc, v26, v1, vcc
	global_store_dword v[0:1], v29, off
.LBB84_48:
	s_or_b64 exec, exec, s[0:1]
	s_add_i32 s2, s9, 3
	s_load_dwordx2 s[0:1], s[4:5], 0x0
	s_ashr_i32 s3, s2, 31
	s_lshr_b32 s3, s3, 30
	;;#ASMSTART
	v_rcp_f32 v0, v29
	;;#ASMEND
	v_mov_b32_e32 v1, v0
	;;#ASMSTART
	v_pk_mul_f32 v[24:25], v[24:25], v[0:1]
	;;#ASMEND
	s_add_i32 s2, s2, s3
	s_ashr_i32 s3, s10, 31
	v_mov_b32_e32 v26, 0xc3e00000
	v_mov_b32_e32 v27, 0x43e00000
	;;#ASMSTART
	v_med3_f32 v24, v24, v26, v27
v_med3_f32 v25, v25, v26, v27
v_cvt_pk_fp8_f32 v28, v24, v25
	;;#ASMEND
	;;#ASMSTART
	v_pk_mul_f32 v[22:23], v[22:23], v[0:1]
	;;#ASMEND
	s_mul_hi_u32 s4, s10, s6
	s_mul_i32 s3, s3, s6
	;;#ASMSTART
	v_med3_f32 v22, v22, v26, v27
v_med3_f32 v23, v23, v26, v27
v_cvt_pk_fp8_f32 v24, v22, v23
	;;#ASMEND
	s_mov_b32 s5, 0x5040100
	s_and_b32 s2, s2, -4
	s_add_i32 s4, s4, s3
	s_mul_i32 s3, s10, s6
	v_perm_b32 v23, v24, v28, s5
	s_movk_i32 s6, 0xff
	s_waitcnt lgkmcnt(0)
	s_add_u32 s0, s0, s3
	v_and_b32_e32 v22, 0xffffff00, v24
	v_and_b32_sdwa v24, v23, s6 dst_sel:DWORD dst_unused:UNUSED_PAD src0_sel:WORD_1 src1_sel:DWORD
	s_addc_u32 s1, s1, s4
	s_mov_b32 s4, 0xffff
	v_or_b32_sdwa v22, v24, v22 dst_sel:WORD_1 dst_unused:UNUSED_PAD src0_sel:DWORD src1_sel:DWORD
	;;#ASMSTART
	v_pk_mul_f32 v[20:21], v[20:21], v[0:1]
	;;#ASMEND
	v_and_or_b32 v22, v23, s4, v22
	;;#ASMSTART
	v_med3_f32 v20, v20, v26, v27
v_med3_f32 v21, v21, v26, v27
v_cvt_pk_fp8_f32 v23, v20, v21
	;;#ASMEND
	;;#ASMSTART
	v_pk_mul_f32 v[16:17], v[16:17], v[0:1]
	;;#ASMEND
	;;#ASMSTART
	v_med3_f32 v16, v16, v26, v27
v_med3_f32 v17, v17, v26, v27
v_cvt_pk_fp8_f32 v20, v16, v17
	;;#ASMEND
	v_lshlrev_b32_e32 v16, 16, v20
	s_and_b32 s1, s1, 0xffff
	s_mov_b32 s3, 0x20000
	v_and_or_b32 v23, v23, s4, v16
	buffer_store_dwordx2 v[22:23], v38, s[0:3], 0 offen
	;;#ASMSTART
	s_nop 0
	;;#ASMEND
	;;#ASMSTART
	v_pk_mul_f32 v[16:17], v[18:19], v[0:1]
	;;#ASMEND
	;;#ASMSTART
	v_med3_f32 v16, v16, v26, v27
v_med3_f32 v17, v17, v26, v27
v_cvt_pk_fp8_f32 v18, v16, v17
	;;#ASMEND
	;;#ASMSTART
	v_pk_mul_f32 v[14:15], v[14:15], v[0:1]
	;;#ASMEND
	;;#ASMSTART
	v_med3_f32 v14, v14, v26, v27
v_med3_f32 v15, v15, v26, v27
v_cvt_pk_fp8_f32 v16, v14, v15
	;;#ASMEND
	v_perm_b32 v15, v16, v18, s5
	v_and_b32_e32 v14, 0xffffff00, v16
	v_and_b32_sdwa v16, v15, s6 dst_sel:DWORD dst_unused:UNUSED_PAD src0_sel:WORD_1 src1_sel:DWORD
	v_or_b32_sdwa v14, v16, v14 dst_sel:WORD_1 dst_unused:UNUSED_PAD src0_sel:DWORD src1_sel:DWORD
	;;#ASMSTART
	v_pk_mul_f32 v[12:13], v[12:13], v[0:1]
	;;#ASMEND
	v_and_or_b32 v14, v15, s4, v14
	;;#ASMSTART
	v_med3_f32 v12, v12, v26, v27
v_med3_f32 v13, v13, v26, v27
v_cvt_pk_fp8_f32 v15, v12, v13
	;;#ASMEND
	;;#ASMSTART
	v_pk_mul_f32 v[8:9], v[8:9], v[0:1]
	;;#ASMEND
	;;#ASMSTART
	v_med3_f32 v8, v8, v26, v27
v_med3_f32 v9, v9, v26, v27
v_cvt_pk_fp8_f32 v12, v8, v9
	;;#ASMEND
	v_lshlrev_b32_e32 v8, 16, v12
	v_and_or_b32 v15, v15, s4, v8
	buffer_store_dwordx2 v[14:15], v38, s[0:3], 8 offen
	;;#ASMSTART
	s_nop 0
	;;#ASMEND
	;;#ASMSTART
	v_pk_mul_f32 v[8:9], v[10:11], v[0:1]
	;;#ASMEND
	;;#ASMSTART
	v_med3_f32 v8, v8, v26, v27
v_med3_f32 v9, v9, v26, v27
v_cvt_pk_fp8_f32 v10, v8, v9
	;;#ASMEND
	;;#ASMSTART
	v_pk_mul_f32 v[6:7], v[6:7], v[0:1]
	;;#ASMEND
	;;#ASMSTART
	v_med3_f32 v6, v6, v26, v27
v_med3_f32 v7, v7, v26, v27
v_cvt_pk_fp8_f32 v8, v6, v7
	;;#ASMEND
	v_perm_b32 v7, v8, v10, s5
	v_and_b32_e32 v6, 0xffffff00, v8
	v_and_b32_sdwa v8, v7, s6 dst_sel:DWORD dst_unused:UNUSED_PAD src0_sel:WORD_1 src1_sel:DWORD
	v_or_b32_sdwa v6, v8, v6 dst_sel:WORD_1 dst_unused:UNUSED_PAD src0_sel:DWORD src1_sel:DWORD
	;;#ASMSTART
	v_pk_mul_f32 v[4:5], v[4:5], v[0:1]
	;;#ASMEND
	v_and_or_b32 v6, v7, s4, v6
	;;#ASMSTART
	v_med3_f32 v4, v4, v26, v27
v_med3_f32 v5, v5, v26, v27
v_cvt_pk_fp8_f32 v7, v4, v5
	;;#ASMEND
	;;#ASMSTART
	v_pk_mul_f32 v[0:1], v[2:3], v[0:1]
	;;#ASMEND
	;;#ASMSTART
	v_med3_f32 v0, v0, v26, v27
v_med3_f32 v1, v1, v26, v27
v_cvt_pk_fp8_f32 v2, v0, v1
	;;#ASMEND
	v_lshlrev_b32_e32 v0, 16, v2
	v_and_or_b32 v7, v7, s4, v0
	buffer_store_dwordx2 v[6:7], v38, s[0:3], 16 offen
	;;#ASMSTART
	s_nop 0
	;;#ASMEND
.LBB84_49:
	s_endpgm
.LBB84_50:
                                        ; implicit-def: $vgpr26_vgpr27
	s_branch .LBB84_37
	.section	.rodata,"a",@progbits
	.p2align	6, 0x0
	.amdhsa_kernel _ZN5aiter24add_rmsnorm_quant_kernelItDB8_Li256ELi24ELb0ELb1ELb0ELi1EEEvPT0_PT_PfS5_S5_S5_diiiiiiib
		.amdhsa_group_segment_fixed_size 32
		.amdhsa_private_segment_fixed_size 0
		.amdhsa_kernarg_size 88
		.amdhsa_user_sgpr_count 6
		.amdhsa_user_sgpr_private_segment_buffer 1
		.amdhsa_user_sgpr_dispatch_ptr 0
		.amdhsa_user_sgpr_queue_ptr 0
		.amdhsa_user_sgpr_kernarg_segment_ptr 1
		.amdhsa_user_sgpr_dispatch_id 0
		.amdhsa_user_sgpr_flat_scratch_init 0
		.amdhsa_user_sgpr_kernarg_preload_length 0
		.amdhsa_user_sgpr_kernarg_preload_offset 0
		.amdhsa_user_sgpr_private_segment_size 0
		.amdhsa_uses_dynamic_stack 0
		.amdhsa_system_sgpr_private_segment_wavefront_offset 0
		.amdhsa_system_sgpr_workgroup_id_x 1
		.amdhsa_system_sgpr_workgroup_id_y 0
		.amdhsa_system_sgpr_workgroup_id_z 0
		.amdhsa_system_sgpr_workgroup_info 0
		.amdhsa_system_vgpr_workitem_id 0
		.amdhsa_next_free_vgpr 61
		.amdhsa_next_free_sgpr 34
		.amdhsa_accum_offset 64
		.amdhsa_reserve_vcc 1
		.amdhsa_reserve_flat_scratch 0
		.amdhsa_float_round_mode_32 0
		.amdhsa_float_round_mode_16_64 0
		.amdhsa_float_denorm_mode_32 3
		.amdhsa_float_denorm_mode_16_64 3
		.amdhsa_dx10_clamp 1
		.amdhsa_ieee_mode 1
		.amdhsa_fp16_overflow 0
		.amdhsa_tg_split 0
		.amdhsa_exception_fp_ieee_invalid_op 0
		.amdhsa_exception_fp_denorm_src 0
		.amdhsa_exception_fp_ieee_div_zero 0
		.amdhsa_exception_fp_ieee_overflow 0
		.amdhsa_exception_fp_ieee_underflow 0
		.amdhsa_exception_fp_ieee_inexact 0
		.amdhsa_exception_int_div_zero 0
	.end_amdhsa_kernel
	.section	.text._ZN5aiter24add_rmsnorm_quant_kernelItDB8_Li256ELi24ELb0ELb1ELb0ELi1EEEvPT0_PT_PfS5_S5_S5_diiiiiiib,"axG",@progbits,_ZN5aiter24add_rmsnorm_quant_kernelItDB8_Li256ELi24ELb0ELb1ELb0ELi1EEEvPT0_PT_PfS5_S5_S5_diiiiiiib,comdat
.Lfunc_end84:
	.size	_ZN5aiter24add_rmsnorm_quant_kernelItDB8_Li256ELi24ELb0ELb1ELb0ELi1EEEvPT0_PT_PfS5_S5_S5_diiiiiiib, .Lfunc_end84-_ZN5aiter24add_rmsnorm_quant_kernelItDB8_Li256ELi24ELb0ELb1ELb0ELi1EEEvPT0_PT_PfS5_S5_S5_diiiiiiib
                                        ; -- End function
	.section	.AMDGPU.csdata,"",@progbits
; Kernel info:
; codeLenInByte = 4336
; NumSgprs: 38
; NumVgprs: 61
; NumAgprs: 0
; TotalNumVgprs: 61
; ScratchSize: 0
; MemoryBound: 0
; FloatMode: 240
; IeeeMode: 1
; LDSByteSize: 32 bytes/workgroup (compile time only)
; SGPRBlocks: 4
; VGPRBlocks: 7
; NumSGPRsForWavesPerEU: 38
; NumVGPRsForWavesPerEU: 61
; AccumOffset: 64
; Occupancy: 8
; WaveLimiterHint : 0
; COMPUTE_PGM_RSRC2:SCRATCH_EN: 0
; COMPUTE_PGM_RSRC2:USER_SGPR: 6
; COMPUTE_PGM_RSRC2:TRAP_HANDLER: 0
; COMPUTE_PGM_RSRC2:TGID_X_EN: 1
; COMPUTE_PGM_RSRC2:TGID_Y_EN: 0
; COMPUTE_PGM_RSRC2:TGID_Z_EN: 0
; COMPUTE_PGM_RSRC2:TIDIG_COMP_CNT: 0
; COMPUTE_PGM_RSRC3_GFX90A:ACCUM_OFFSET: 15
; COMPUTE_PGM_RSRC3_GFX90A:TG_SPLIT: 0
	.section	.text._ZN5aiter24add_rmsnorm_quant_kernelIDF16_DB8_Li256ELi32ELb0ELb1ELb1ELi1EEEvPT0_PT_PfS5_S5_S5_diiiiiiib,"axG",@progbits,_ZN5aiter24add_rmsnorm_quant_kernelIDF16_DB8_Li256ELi32ELb0ELb1ELb1ELi1EEEvPT0_PT_PfS5_S5_S5_diiiiiiib,comdat
	.protected	_ZN5aiter24add_rmsnorm_quant_kernelIDF16_DB8_Li256ELi32ELb0ELb1ELb1ELi1EEEvPT0_PT_PfS5_S5_S5_diiiiiiib ; -- Begin function _ZN5aiter24add_rmsnorm_quant_kernelIDF16_DB8_Li256ELi32ELb0ELb1ELb1ELi1EEEvPT0_PT_PfS5_S5_S5_diiiiiiib
	.globl	_ZN5aiter24add_rmsnorm_quant_kernelIDF16_DB8_Li256ELi32ELb0ELb1ELb1ELi1EEEvPT0_PT_PfS5_S5_S5_diiiiiiib
	.p2align	8
	.type	_ZN5aiter24add_rmsnorm_quant_kernelIDF16_DB8_Li256ELi32ELb0ELb1ELb1ELi1EEEvPT0_PT_PfS5_S5_S5_diiiiiiib,@function
_ZN5aiter24add_rmsnorm_quant_kernelIDF16_DB8_Li256ELi32ELb0ELb1ELb1ELi1EEEvPT0_PT_PfS5_S5_S5_diiiiiiib: ; @_ZN5aiter24add_rmsnorm_quant_kernelIDF16_DB8_Li256ELi32ELb0ELb1ELb1ELi1EEEvPT0_PT_PfS5_S5_S5_diiiiiiib
; %bb.0:
	s_load_dwordx4 s[8:11], s[4:5], 0x38
	s_mov_b32 s7, 0
	s_waitcnt lgkmcnt(0)
	s_ashr_i32 s0, s8, 31
	v_mov_b32_e32 v2, s8
	v_mov_b32_e32 v3, s0
	v_cmp_ge_i64_e32 vcc, s[6:7], v[2:3]
	s_cbranch_vccnz .LBB85_49
; %bb.1:
	s_load_dwordx4 s[12:15], s[4:5], 0x10
	s_load_dwordx4 s[0:3], s[4:5], 0x28
	s_ashr_i32 s11, s10, 31
	s_mul_hi_u32 s16, s10, s6
	s_mul_i32 s11, s11, s6
	s_add_i32 s11, s16, s11
	s_mul_i32 s10, s10, s6
	s_lshl_b64 s[10:11], s[10:11], 1
	s_waitcnt lgkmcnt(0)
	s_add_u32 s16, s14, s10
	s_addc_u32 s10, s15, s11
	s_add_i32 s11, s9, 1
	s_lshr_b32 s14, s11, 31
	v_lshlrev_b32_e32 v53, 5, v0
	s_add_i32 s11, s11, s14
	s_and_b32 s17, s10, 0xffff
	v_lshlrev_b32_e32 v1, 3, v0
	v_and_b32_e32 v2, 0x7800, v53
	s_movk_i32 s10, 0x1f8
	s_lshl_b32 s11, s11, 1
	v_and_or_b32 v52, v1, s10, v2
	s_and_b32 s18, s11, -4
	s_mov_b32 s19, 0x20000
	v_lshlrev_b32_e32 v1, 1, v52
	buffer_load_dwordx4 v[30:33], v1, s[16:19], 0 offen glc slc
	s_movk_i32 s10, 0x400
	buffer_load_dwordx4 v[26:29], v1, s[16:19], s10 offen glc slc
	s_movk_i32 s11, 0x800
	s_movk_i32 s14, 0xc00
	buffer_load_dwordx4 v[22:25], v1, s[16:19], s11 offen glc slc
	buffer_load_dwordx4 v[18:21], v1, s[16:19], s14 offen glc slc
	s_mov_b32 s16, s0
	s_and_b32 s17, s1, 0xffff
	buffer_load_dwordx4 v[14:17], v1, s[16:19], 0 offen
	buffer_load_dwordx4 v[10:13], v1, s[16:19], s10 offen
	;; [unrolled: 1-line block ×4, first 2 shown]
	v_and_b32_e32 v60, 63, v0
	v_cmp_eq_u32_e64 s[0:1], 63, v60
	s_waitcnt vmcnt(7)
	v_cvt_f32_f16_e32 v50, v30
	v_cvt_f32_f16_sdwa v51, v30 dst_sel:DWORD dst_unused:UNUSED_PAD src0_sel:WORD_1
	v_cvt_f32_f16_e32 v48, v31
	v_cvt_f32_f16_sdwa v49, v31 dst_sel:DWORD dst_unused:UNUSED_PAD src0_sel:WORD_1
	v_cvt_f32_f16_e32 v46, v32
	v_cvt_f32_f16_sdwa v47, v32 dst_sel:DWORD dst_unused:UNUSED_PAD src0_sel:WORD_1
	v_cvt_f32_f16_e32 v44, v33
	v_cvt_f32_f16_sdwa v45, v33 dst_sel:DWORD dst_unused:UNUSED_PAD src0_sel:WORD_1
	s_waitcnt vmcnt(6)
	v_cvt_f32_f16_e32 v42, v26
	v_cvt_f32_f16_sdwa v43, v26 dst_sel:DWORD dst_unused:UNUSED_PAD src0_sel:WORD_1
	v_cvt_f32_f16_e32 v40, v27
	v_cvt_f32_f16_sdwa v41, v27 dst_sel:DWORD dst_unused:UNUSED_PAD src0_sel:WORD_1
	v_cvt_f32_f16_e32 v38, v28
	v_cvt_f32_f16_sdwa v39, v28 dst_sel:DWORD dst_unused:UNUSED_PAD src0_sel:WORD_1
	v_cvt_f32_f16_e32 v36, v29
	v_cvt_f32_f16_sdwa v37, v29 dst_sel:DWORD dst_unused:UNUSED_PAD src0_sel:WORD_1
	;; [unrolled: 9-line block ×4, first 2 shown]
	v_pk_mul_f32 v[20:21], v[50:51], v[50:51]
	v_pk_mul_f32 v[54:55], v[48:49], v[48:49]
	v_add_f32_e32 v1, v20, v21
	v_add_f32_e32 v1, v54, v1
	v_pk_mul_f32 v[56:57], v[46:47], v[46:47]
	v_add_f32_e32 v1, v55, v1
	v_add_f32_e32 v1, v56, v1
	;; [unrolled: 3-line block ×15, first 2 shown]
	v_add_f32_e32 v1, v57, v1
	s_nop 1
	v_mov_b32_dpp v20, v1 quad_perm:[1,0,3,2] row_mask:0xf bank_mask:0xf
	v_add_f32_e32 v1, v1, v20
	s_nop 1
	v_mov_b32_dpp v20, v1 quad_perm:[2,3,0,1] row_mask:0xf bank_mask:0xf
	v_add_f32_e32 v1, v1, v20
	s_nop 1
	v_mov_b32_dpp v20, v1 row_half_mirror row_mask:0xf bank_mask:0xf
	v_add_f32_e32 v1, v1, v20
	s_nop 1
	v_mov_b32_dpp v20, v1 row_mirror row_mask:0xf bank_mask:0xf
	v_add_f32_e32 v1, v1, v20
	s_nop 1
	v_mov_b32_dpp v20, v1 row_bcast:15 row_mask:0xf bank_mask:0xf
	v_add_f32_e32 v1, v1, v20
	s_nop 1
	v_mov_b32_dpp v20, v1 row_bcast:31 row_mask:0xf bank_mask:0xf
	s_and_saveexec_b64 s[10:11], s[0:1]
	s_cbranch_execz .LBB85_3
; %bb.2:
	v_lshrrev_b32_e32 v21, 4, v0
	v_and_b32_e32 v21, 60, v21
	v_add_f32_e32 v1, v1, v20
	ds_write_b32 v21, v1 offset:16
.LBB85_3:
	s_or_b64 exec, exec, s[10:11]
	v_and_b32_e32 v1, 3, v0
	v_lshlrev_b32_e32 v1, 2, v1
	s_waitcnt lgkmcnt(0)
	s_barrier
	ds_read_b32 v20, v1 offset:16
	v_cvt_f32_i32_e32 v21, s9
	s_waitcnt lgkmcnt(0)
	v_mov_b32_dpp v54, v20 quad_perm:[1,0,3,2] row_mask:0xf bank_mask:0xf
	v_add_f32_e32 v20, v20, v54
	s_nop 1
	v_mov_b32_dpp v54, v20 quad_perm:[2,3,0,1] row_mask:0xf bank_mask:0xf
	v_add_f32_e32 v20, v20, v54
	v_div_scale_f32 v54, s[10:11], v21, v21, v20
	v_rcp_f32_e32 v55, v54
	v_div_scale_f32 v56, vcc, v20, v21, v20
	s_load_dwordx2 s[10:11], s[4:5], 0x4c
	s_load_dword s14, s[4:5], 0x54
	v_fma_f32 v57, -v54, v55, 1.0
	v_fmac_f32_e32 v55, v57, v55
	v_mul_f32_e32 v57, v56, v55
	v_fma_f32 v58, -v54, v57, v56
	v_fmac_f32_e32 v57, v58, v55
	v_fma_f32 v54, -v54, v57, v56
	v_div_fmas_f32 v54, v54, v55, v57
	v_div_fixup_f32 v20, v54, v21, v20
	v_cvt_f64_f32_e32 v[20:21], v20
	v_add_f64 v[20:21], v[20:21], s[2:3]
	v_cvt_f32_f64_e32 v20, v[20:21]
	s_mov_b32 s2, 0x800000
	v_mul_f32_e32 v21, 0x4b800000, v20
	v_cmp_gt_f32_e32 vcc, s2, v20
	v_cndmask_b32_e32 v20, v20, v21, vcc
	v_rsq_f32_e32 v20, v20
	s_waitcnt lgkmcnt(0)
	s_cmp_lg_u32 s11, 0
	v_mul_f32_e32 v21, 0x45800000, v20
	v_cndmask_b32_e32 v20, v20, v21, vcc
	v_mov_b32_e32 v21, v20
	;;#ASMSTART
	v_pk_mul_f32 v[50:51], v[50:51], v[20:21]
	;;#ASMEND
	;;#ASMSTART
	v_pk_mul_f32 v[48:49], v[48:49], v[20:21]
	;;#ASMEND
	;;#ASMSTART
	v_pk_mul_f32 v[46:47], v[46:47], v[20:21]
	;;#ASMEND
	;;#ASMSTART
	v_pk_mul_f32 v[44:45], v[44:45], v[20:21]
	;;#ASMEND
	;;#ASMSTART
	v_pk_mul_f32 v[42:43], v[42:43], v[20:21]
	;;#ASMEND
	;;#ASMSTART
	v_pk_mul_f32 v[40:41], v[40:41], v[20:21]
	;;#ASMEND
	;;#ASMSTART
	v_pk_mul_f32 v[38:39], v[38:39], v[20:21]
	;;#ASMEND
	;;#ASMSTART
	v_pk_mul_f32 v[36:37], v[36:37], v[20:21]
	;;#ASMEND
	;;#ASMSTART
	v_pk_mul_f32 v[34:35], v[34:35], v[20:21]
	;;#ASMEND
	;;#ASMSTART
	v_pk_mul_f32 v[54:55], v[32:33], v[20:21]
	;;#ASMEND
	;;#ASMSTART
	v_pk_mul_f32 v[56:57], v[30:31], v[20:21]
	;;#ASMEND
	;;#ASMSTART
	v_pk_mul_f32 v[58:59], v[28:29], v[20:21]
	;;#ASMEND
	;;#ASMSTART
	v_pk_mul_f32 v[60:61], v[26:27], v[20:21]
	;;#ASMEND
	;;#ASMSTART
	v_pk_mul_f32 v[62:63], v[24:25], v[20:21]
	;;#ASMEND
	;;#ASMSTART
	v_pk_mul_f32 v[64:65], v[22:23], v[20:21]
	;;#ASMEND
	;;#ASMSTART
	v_pk_mul_f32 v[66:67], v[18:19], v[20:21]
	;;#ASMEND
	s_waitcnt vmcnt(3)
	v_cvt_f32_f16_sdwa v19, v14 dst_sel:DWORD dst_unused:UNUSED_PAD src0_sel:WORD_1
	v_cvt_f32_f16_e32 v18, v14
	v_cvt_f32_f16_sdwa v21, v15 dst_sel:DWORD dst_unused:UNUSED_PAD src0_sel:WORD_1
	v_cvt_f32_f16_e32 v20, v15
	;; [unrolled: 2-line block ×4, first 2 shown]
	;;#ASMSTART
	v_pk_mul_f32 v[32:33], v[50:51], v[18:19]
	;;#ASMEND
	;;#ASMSTART
	v_pk_mul_f32 v[30:31], v[48:49], v[20:21]
	;;#ASMEND
	;; [unrolled: 3-line block ×3, first 2 shown]
	s_waitcnt vmcnt(2)
	v_cvt_f32_f16_sdwa v15, v10 dst_sel:DWORD dst_unused:UNUSED_PAD src0_sel:WORD_1
	v_cvt_f32_f16_e32 v14, v10
	v_cvt_f32_f16_sdwa v17, v11 dst_sel:DWORD dst_unused:UNUSED_PAD src0_sel:WORD_1
	v_cvt_f32_f16_e32 v16, v11
	;; [unrolled: 2-line block ×3, first 2 shown]
	;;#ASMSTART
	v_pk_mul_f32 v[24:25], v[44:45], v[22:23]
	;;#ASMEND
	v_cvt_f32_f16_sdwa v19, v13 dst_sel:DWORD dst_unused:UNUSED_PAD src0_sel:WORD_1
	v_cvt_f32_f16_e32 v18, v13
	;;#ASMSTART
	v_pk_mul_f32 v[26:27], v[42:43], v[14:15]
	;;#ASMEND
	;;#ASMSTART
	v_pk_mul_f32 v[22:23], v[40:41], v[16:17]
	;;#ASMEND
	;; [unrolled: 3-line block ×4, first 2 shown]
	s_waitcnt vmcnt(1)
	v_cvt_f32_f16_sdwa v11, v6 dst_sel:DWORD dst_unused:UNUSED_PAD src0_sel:WORD_1
	v_cvt_f32_f16_e32 v10, v6
	v_cvt_f32_f16_sdwa v13, v7 dst_sel:DWORD dst_unused:UNUSED_PAD src0_sel:WORD_1
	v_cvt_f32_f16_e32 v12, v7
	;; [unrolled: 2-line block ×3, first 2 shown]
	v_cvt_f32_f16_e32 v36, v9
	v_cvt_f32_f16_sdwa v37, v9 dst_sel:DWORD dst_unused:UNUSED_PAD src0_sel:WORD_1
	;;#ASMSTART
	v_pk_mul_f32 v[18:19], v[34:35], v[10:11]
	;;#ASMEND
	;;#ASMSTART
	v_pk_mul_f32 v[14:15], v[54:55], v[12:13]
	;;#ASMEND
	;; [unrolled: 3-line block ×4, first 2 shown]
	s_waitcnt vmcnt(0)
	v_cvt_f32_f16_sdwa v7, v2 dst_sel:DWORD dst_unused:UNUSED_PAD src0_sel:WORD_1
	v_cvt_f32_f16_e32 v6, v2
	v_cvt_f32_f16_sdwa v35, v3 dst_sel:DWORD dst_unused:UNUSED_PAD src0_sel:WORD_1
	v_cvt_f32_f16_e32 v34, v3
	;; [unrolled: 2-line block ×3, first 2 shown]
	v_cvt_f32_f16_e32 v36, v5
	v_cvt_f32_f16_sdwa v37, v5 dst_sel:DWORD dst_unused:UNUSED_PAD src0_sel:WORD_1
	;;#ASMSTART
	v_pk_mul_f32 v[10:11], v[60:61], v[6:7]
	;;#ASMEND
	;;#ASMSTART
	v_pk_mul_f32 v[6:7], v[62:63], v[34:35]
	;;#ASMEND
	;; [unrolled: 3-line block ×4, first 2 shown]
	v_and_b32_e32 v34, 0x7fffffff, v32
	v_mov_b32_e32 v36, 0x2edbe6ff
	v_and_b32_e32 v35, 0x7fffffff, v33
	;;#ASMSTART
	v_max3_f32 v34, v36, v34, v35

	;;#ASMEND
	v_and_b32_e32 v36, 0x7fffffff, v31
	v_and_b32_e32 v35, 0x7fffffff, v30
	;;#ASMSTART
	v_max3_f32 v34, v34, v35, v36

	;;#ASMEND
	v_and_b32_e32 v36, 0x7fffffff, v29
	;; [unrolled: 6-line block ×15, first 2 shown]
	v_and_b32_e32 v35, 0x7fffffff, v2
	;;#ASMSTART
	v_max3_f32 v36, v34, v35, v36

	;;#ASMEND
	s_cbranch_scc0 .LBB85_10
; %bb.4:
	s_ashr_i32 s15, s11, 31
	s_lshr_b32 s2, s15, 27
	s_add_i32 s2, s11, s2
	s_ashr_i32 s18, s2, 5
	s_cmp_lt_i32 s18, 16
	s_cbranch_scc1 .LBB85_11
; %bb.5:
	s_cmp_lt_i32 s18, 32
	s_cbranch_scc1 .LBB85_12
; %bb.6:
	;; [unrolled: 3-line block ×3, first 2 shown]
	s_cmp_eq_u32 s18, 64
	v_mov_b32_e32 v34, v36
	s_cbranch_scc0 .LBB85_9
; %bb.8:
	s_nop 0
	v_mov_b32_dpp v34, v36 quad_perm:[1,0,3,2] row_mask:0xf bank_mask:0xf
	v_cmp_gt_f32_e32 vcc, v36, v34
	v_cndmask_b32_e32 v34, v34, v36, vcc
	v_bfrev_b32_e32 v37, 0.5
	s_nop 0
	v_mov_b32_dpp v35, v34 quad_perm:[2,3,0,1] row_mask:0xf bank_mask:0xf
	v_cmp_gt_f32_e32 vcc, v34, v35
	v_cndmask_b32_e32 v34, v35, v34, vcc
	s_nop 1
	v_mov_b32_dpp v35, v34 row_ror:4 row_mask:0xf bank_mask:0xf
	v_cmp_gt_f32_e32 vcc, v34, v35
	v_cndmask_b32_e32 v34, v35, v34, vcc
	s_nop 1
	v_mov_b32_dpp v35, v34 row_ror:8 row_mask:0xf bank_mask:0xf
	v_cmp_gt_f32_e32 vcc, v34, v35
	v_cndmask_b32_e32 v34, v35, v34, vcc
	s_nop 1
	v_mov_b32_dpp v35, v34 row_bcast:15 row_mask:0xf bank_mask:0xf
	v_cmp_gt_f32_e32 vcc, v34, v35
	v_cndmask_b32_e32 v34, v35, v34, vcc
	s_nop 1
	v_mov_b32_dpp v35, v34 row_bcast:31 row_mask:0xf bank_mask:0xf
	v_cmp_gt_f32_e32 vcc, v34, v35
	v_cndmask_b32_e32 v34, v35, v34, vcc
	v_mbcnt_lo_u32_b32 v35, -1, 0
	v_mbcnt_hi_u32_b32 v35, -1, v35
	v_lshl_or_b32 v35, v35, 2, v37
	ds_bpermute_b32 v34, v35, v34
.LBB85_9:
	s_mov_b64 s[2:3], 0
	s_branch .LBB85_14
.LBB85_10:
	s_mov_b64 s[2:3], 0
                                        ; implicit-def: $vgpr37
                                        ; implicit-def: $vgpr34_vgpr35
	s_cbranch_execnz .LBB85_43
	s_branch .LBB85_46
.LBB85_11:
                                        ; implicit-def: $vgpr34
	s_branch .LBB85_21
.LBB85_12:
                                        ; implicit-def: $vgpr34
	s_branch .LBB85_18
.LBB85_13:
	s_mov_b64 s[2:3], -1
                                        ; implicit-def: $vgpr34
.LBB85_14:
	s_andn2_b64 vcc, exec, s[2:3]
	s_cbranch_vccnz .LBB85_17
; %bb.15:
	s_cmp_eq_u32 s18, 32
	s_waitcnt lgkmcnt(0)
	v_mov_b32_e32 v34, v36
	s_cbranch_scc0 .LBB85_17
; %bb.16:
	s_nop 0
	v_mov_b32_dpp v34, v36 quad_perm:[1,0,3,2] row_mask:0xf bank_mask:0xf
	v_cmp_gt_f32_e32 vcc, v36, v34
	v_cndmask_b32_e32 v34, v34, v36, vcc
	v_mov_b32_e32 v37, 0x7c
	s_nop 0
	v_mov_b32_dpp v35, v34 quad_perm:[2,3,0,1] row_mask:0xf bank_mask:0xf
	v_cmp_gt_f32_e32 vcc, v34, v35
	v_cndmask_b32_e32 v34, v35, v34, vcc
	s_nop 1
	v_mov_b32_dpp v35, v34 row_half_mirror row_mask:0xf bank_mask:0xf
	v_cmp_gt_f32_e32 vcc, v34, v35
	v_cndmask_b32_e32 v34, v35, v34, vcc
	s_nop 1
	v_mov_b32_dpp v35, v34 row_mirror row_mask:0xf bank_mask:0xf
	v_cmp_gt_f32_e32 vcc, v34, v35
	v_cndmask_b32_e32 v34, v35, v34, vcc
	s_nop 1
	v_mov_b32_dpp v35, v34 row_bcast:15 row_mask:0xa bank_mask:0xf
	v_cmp_gt_f32_e32 vcc, v34, v35
	v_cndmask_b32_e32 v34, v35, v34, vcc
	v_mbcnt_lo_u32_b32 v35, -1, 0
	v_mbcnt_hi_u32_b32 v35, -1, v35
	v_lshl_or_b32 v35, v35, 2, v37
	ds_bpermute_b32 v34, v35, v34
.LBB85_17:
	s_cbranch_execnz .LBB85_20
.LBB85_18:
	s_cmp_eq_u32 s18, 16
	s_waitcnt lgkmcnt(0)
	v_mov_b32_e32 v34, v36
	s_cbranch_scc0 .LBB85_20
; %bb.19:
	s_nop 0
	v_mov_b32_dpp v34, v36 quad_perm:[1,0,3,2] row_mask:0xf bank_mask:0xf
	v_cmp_gt_f32_e32 vcc, v36, v34
	v_cndmask_b32_e32 v34, v34, v36, vcc
	s_nop 1
	v_mov_b32_dpp v35, v34 quad_perm:[2,3,0,1] row_mask:0xf bank_mask:0xf
	v_cmp_gt_f32_e32 vcc, v34, v35
	v_cndmask_b32_e32 v34, v35, v34, vcc
	s_nop 1
	v_mov_b32_dpp v35, v34 row_half_mirror row_mask:0xf bank_mask:0xf
	v_cmp_gt_f32_e32 vcc, v34, v35
	v_cndmask_b32_e32 v34, v35, v34, vcc
	s_nop 1
	v_mov_b32_dpp v35, v34 row_mirror row_mask:0xf bank_mask:0xf
	v_cmp_gt_f32_e32 vcc, v34, v35
	v_cndmask_b32_e32 v34, v35, v34, vcc
.LBB85_20:
	s_cbranch_execnz .LBB85_33
.LBB85_21:
	s_cmp_lt_i32 s18, 4
	s_cbranch_scc1 .LBB85_25
; %bb.22:
	s_cmp_lt_i32 s18, 8
	s_cbranch_scc1 .LBB85_26
; %bb.23:
	s_cmp_eq_u32 s18, 8
	s_waitcnt lgkmcnt(0)
	v_mov_b32_e32 v34, v36
	s_cbranch_scc0 .LBB85_27
; %bb.24:
	s_nop 0
	v_mov_b32_dpp v34, v36 quad_perm:[1,0,3,2] row_mask:0xf bank_mask:0xf
	v_cmp_gt_f32_e32 vcc, v36, v34
	v_cndmask_b32_e32 v34, v34, v36, vcc
	s_nop 1
	v_mov_b32_dpp v35, v34 quad_perm:[2,3,0,1] row_mask:0xf bank_mask:0xf
	v_cmp_gt_f32_e32 vcc, v34, v35
	v_cndmask_b32_e32 v34, v35, v34, vcc
	s_nop 1
	v_mov_b32_dpp v35, v34 row_half_mirror row_mask:0xf bank_mask:0xf
	v_cmp_gt_f32_e32 vcc, v34, v35
	v_cndmask_b32_e32 v34, v35, v34, vcc
	s_cbranch_execz .LBB85_28
	s_branch .LBB85_30
.LBB85_25:
                                        ; implicit-def: $vgpr34
	s_branch .LBB85_31
.LBB85_26:
                                        ; implicit-def: $vgpr34
	s_branch .LBB85_28
.LBB85_27:
	s_cbranch_execnz .LBB85_30
.LBB85_28:
	s_cmp_eq_u32 s18, 4
	s_waitcnt lgkmcnt(0)
	v_mov_b32_e32 v34, v36
	s_cbranch_scc0 .LBB85_30
; %bb.29:
	s_nop 0
	v_mov_b32_dpp v34, v36 quad_perm:[1,0,3,2] row_mask:0xf bank_mask:0xf
	v_cmp_gt_f32_e32 vcc, v36, v34
	v_cndmask_b32_e32 v34, v34, v36, vcc
	s_nop 1
	v_mov_b32_dpp v35, v34 quad_perm:[2,3,0,1] row_mask:0xf bank_mask:0xf
	v_cmp_gt_f32_e32 vcc, v34, v35
	v_cndmask_b32_e32 v34, v35, v34, vcc
.LBB85_30:
	s_cbranch_execnz .LBB85_33
.LBB85_31:
	s_cmp_lg_u32 s18, 2
	s_waitcnt lgkmcnt(0)
	v_mov_b32_e32 v34, v36
	s_cbranch_scc1 .LBB85_33
; %bb.32:
	s_nop 0
	v_mov_b32_dpp v34, v36 quad_perm:[1,0,3,2] row_mask:0xf bank_mask:0xf
	v_cmp_gt_f32_e32 vcc, v36, v34
	v_cndmask_b32_e32 v34, v34, v36, vcc
.LBB85_33:
	v_cvt_f32_u32_e32 v35, s18
	s_waitcnt lgkmcnt(0)
	v_mul_f32_e32 v37, 0x3b124925, v34
	s_sub_i32 s2, 0, s18
	v_cmp_gt_u32_e32 vcc, s9, v53
	v_rcp_iflag_f32_e32 v35, v35
	s_mov_b64 s[16:17], 0
	v_mul_f32_e32 v34, 0x4f7ffffe, v35
	v_cvt_u32_f32_e32 v34, v34
	v_mul_lo_u32 v35, s2, v34
	v_mul_hi_u32 v35, v34, v35
	v_add_u32_e32 v34, v34, v35
	v_mul_hi_u32 v34, v0, v34
	v_mul_lo_u32 v35, v34, s18
	v_sub_u32_e32 v35, v0, v35
	v_add_u32_e32 v38, 1, v34
	v_cmp_le_u32_e64 s[2:3], s18, v35
	v_cndmask_b32_e64 v34, v34, v38, s[2:3]
	v_subrev_u32_e32 v38, s18, v35
	v_cndmask_b32_e64 v35, v35, v38, s[2:3]
	v_add_u32_e32 v38, 1, v34
	v_cmp_le_u32_e64 s[2:3], s18, v35
	v_cndmask_b32_e64 v38, v34, v38, s[2:3]
	v_mul_lo_u32 v34, v38, s18
	v_sub_u32_e32 v34, v0, v34
	v_cmp_eq_u32_e64 s[2:3], 0, v34
	s_and_b64 s[18:19], s[2:3], vcc
	s_mov_b64 s[2:3], 0
                                        ; implicit-def: $vgpr34_vgpr35
	s_and_saveexec_b64 s[20:21], s[18:19]
	s_xor_b64 s[18:19], exec, s[20:21]
	s_cbranch_execz .LBB85_42
; %bb.34:
	s_bitcmp0_b32 s14, 0
	s_cbranch_scc0 .LBB85_39
; %bb.35:
	s_ashr_i32 s2, s9, 31
	s_mul_hi_u32 s3, s9, s6
	s_mul_i32 s2, s2, s6
	s_add_i32 s21, s3, s2
	s_mul_i32 s20, s9, s6
	s_mov_b32 s14, s11
	s_or_b64 s[2:3], s[20:21], s[14:15]
	s_mov_b32 s2, 0
	s_cmp_lg_u64 s[2:3], 0
	s_cbranch_scc0 .LBB85_50
; %bb.36:
	s_add_u32 s2, s14, s15
	s_mov_b32 s24, s15
	s_mov_b32 s25, s15
	s_addc_u32 s3, s15, s15
	s_xor_b64 s[26:27], s[2:3], s[24:25]
	v_cvt_f32_u32_e32 v34, s26
	v_cvt_f32_u32_e32 v35, s27
	s_sub_u32 s2, 0, s26
	s_subb_u32 s3, 0, s27
	v_madmk_f32 v34, v35, 0x4f800000, v34
	v_rcp_f32_e32 v34, v34
	v_mul_f32_e32 v34, 0x5f7ffffc, v34
	v_mul_f32_e32 v35, 0x2f800000, v34
	v_trunc_f32_e32 v35, v35
	v_madmk_f32 v34, v35, 0xcf800000, v34
	v_cvt_u32_f32_e32 v35, v35
	v_cvt_u32_f32_e32 v34, v34
	v_readfirstlane_b32 s11, v35
	v_readfirstlane_b32 s15, v34
	s_mul_i32 s28, s2, s11
	s_mul_hi_u32 s30, s2, s15
	s_mul_i32 s29, s3, s15
	s_add_i32 s28, s30, s28
	s_add_i32 s28, s28, s29
	s_mul_i32 s31, s2, s15
	s_mul_hi_u32 s29, s15, s28
	s_mul_i32 s30, s15, s28
	s_mul_hi_u32 s15, s15, s31
	s_add_u32 s15, s15, s30
	s_addc_u32 s29, 0, s29
	s_mul_hi_u32 s33, s11, s31
	s_mul_i32 s31, s11, s31
	s_add_u32 s15, s15, s31
	s_mul_hi_u32 s30, s11, s28
	s_addc_u32 s15, s29, s33
	s_addc_u32 s29, s30, 0
	s_mul_i32 s28, s11, s28
	s_add_u32 s15, s15, s28
	s_addc_u32 s28, 0, s29
	v_add_co_u32_e32 v34, vcc, s15, v34
	s_cmp_lg_u64 vcc, 0
	s_addc_u32 s11, s11, s28
	v_readfirstlane_b32 s28, v34
	s_mul_i32 s15, s2, s11
	s_mul_hi_u32 s29, s2, s28
	s_add_i32 s15, s29, s15
	s_mul_i32 s3, s3, s28
	s_add_i32 s15, s15, s3
	s_mul_i32 s2, s2, s28
	s_mul_hi_u32 s29, s11, s2
	s_mul_i32 s30, s11, s2
	s_mul_i32 s33, s28, s15
	s_mul_hi_u32 s2, s28, s2
	s_mul_hi_u32 s31, s28, s15
	s_add_u32 s2, s2, s33
	s_addc_u32 s28, 0, s31
	s_add_u32 s2, s2, s30
	s_mul_hi_u32 s3, s11, s15
	s_addc_u32 s2, s28, s29
	s_addc_u32 s3, s3, 0
	s_mul_i32 s15, s11, s15
	s_add_u32 s2, s2, s15
	s_addc_u32 s3, 0, s3
	v_add_co_u32_e32 v34, vcc, s2, v34
	s_cmp_lg_u64 vcc, 0
	s_addc_u32 s11, s11, s3
	s_ashr_i32 s28, s21, 31
	s_add_u32 s2, s20, s28
	s_mov_b32 s29, s28
	s_addc_u32 s3, s21, s28
	s_xor_b64 s[30:31], s[2:3], s[28:29]
	v_readfirstlane_b32 s15, v34
	s_mul_i32 s3, s30, s11
	s_mul_hi_u32 s21, s30, s15
	s_mul_hi_u32 s2, s30, s11
	s_add_u32 s3, s21, s3
	s_addc_u32 s2, 0, s2
	s_mul_hi_u32 s33, s31, s15
	s_mul_i32 s15, s31, s15
	s_add_u32 s3, s3, s15
	s_mul_hi_u32 s21, s31, s11
	s_addc_u32 s2, s2, s33
	s_addc_u32 s3, s21, 0
	s_mul_i32 s11, s31, s11
	s_add_u32 s11, s2, s11
	s_addc_u32 s15, 0, s3
	s_mul_i32 s2, s26, s15
	s_mul_hi_u32 s3, s26, s11
	s_add_i32 s2, s3, s2
	s_mul_i32 s3, s27, s11
	s_add_i32 s21, s2, s3
	s_mul_i32 s3, s26, s11
	v_mov_b32_e32 v34, s3
	s_sub_i32 s2, s31, s21
	v_sub_co_u32_e32 v34, vcc, s30, v34
	s_cmp_lg_u64 vcc, 0
	s_subb_u32 s30, s2, s27
	v_subrev_co_u32_e64 v35, s[2:3], s26, v34
	s_cmp_lg_u64 s[2:3], 0
	s_subb_u32 s30, s30, 0
	s_cmp_ge_u32 s30, s27
	s_cselect_b32 s33, -1, 0
	v_cmp_le_u32_e64 s[2:3], s26, v35
	s_cmp_eq_u32 s30, s27
	v_cndmask_b32_e64 v35, 0, -1, s[2:3]
	v_mov_b32_e32 v39, s33
	s_cselect_b64 s[2:3], -1, 0
	v_cndmask_b32_e64 v35, v39, v35, s[2:3]
	s_add_u32 s2, s11, 1
	s_addc_u32 s30, s15, 0
	s_add_u32 s3, s11, 2
	s_addc_u32 s33, s15, 0
	v_mov_b32_e32 v39, s2
	v_mov_b32_e32 v40, s3
	v_cmp_ne_u32_e64 s[2:3], 0, v35
	v_cndmask_b32_e64 v35, v39, v40, s[2:3]
	v_mov_b32_e32 v39, s30
	v_mov_b32_e32 v40, s33
	s_cmp_lg_u64 vcc, 0
	v_cndmask_b32_e64 v39, v39, v40, s[2:3]
	s_subb_u32 s2, s31, s21
	s_cmp_ge_u32 s2, s27
	s_cselect_b32 s3, -1, 0
	v_cmp_le_u32_e32 vcc, s26, v34
	s_cmp_eq_u32 s2, s27
	v_cndmask_b32_e64 v34, 0, -1, vcc
	v_mov_b32_e32 v40, s3
	s_cselect_b64 vcc, -1, 0
	v_cndmask_b32_e32 v34, v40, v34, vcc
	v_mov_b32_e32 v40, s15
	v_cmp_ne_u32_e32 vcc, 0, v34
	v_cndmask_b32_e32 v34, v40, v39, vcc
	v_mov_b32_e32 v39, s11
	v_cndmask_b32_e32 v35, v39, v35, vcc
	s_xor_b64 s[2:3], s[28:29], s[24:25]
	v_xor_b32_e32 v35, s2, v35
	v_xor_b32_e32 v39, s3, v34
	v_mov_b32_e32 v40, s3
	v_subrev_co_u32_e32 v34, vcc, s2, v35
	v_subb_co_u32_e32 v35, vcc, v39, v40, vcc
	s_cbranch_execnz .LBB85_38
.LBB85_37:
	v_cvt_f32_u32_e32 v34, s14
	s_sub_i32 s2, 0, s14
	s_mov_b32 s3, 0
	v_rcp_iflag_f32_e32 v34, v34
	v_mul_f32_e32 v34, 0x4f7ffffe, v34
	v_cvt_u32_f32_e32 v34, v34
	v_readfirstlane_b32 s11, v34
	s_mul_i32 s2, s2, s11
	s_mul_hi_u32 s2, s11, s2
	s_add_i32 s11, s11, s2
	s_mul_hi_u32 s2, s20, s11
	s_mul_i32 s15, s2, s14
	s_sub_i32 s15, s20, s15
	s_add_i32 s11, s2, 1
	s_sub_i32 s20, s15, s14
	s_cmp_ge_u32 s15, s14
	s_cselect_b32 s2, s11, s2
	s_cselect_b32 s15, s20, s15
	s_add_i32 s11, s2, 1
	s_cmp_ge_u32 s15, s14
	s_cselect_b32 s2, s11, s2
	v_pk_mov_b32 v[34:35], s[2:3], s[2:3] op_sel:[0,1]
.LBB85_38:
	v_add_co_u32_e32 v34, vcc, v34, v38
	v_addc_co_u32_e32 v35, vcc, 0, v35, vcc
	s_branch .LBB85_41
.LBB85_39:
                                        ; implicit-def: $vgpr34_vgpr35
	s_cbranch_execz .LBB85_41
; %bb.40:
	v_mul_lo_u32 v34, v38, s8
	v_ashrrev_i32_e32 v35, 31, v34
	v_mov_b32_e32 v38, s7
	v_add_co_u32_e32 v34, vcc, s6, v34
	v_addc_co_u32_e32 v35, vcc, v35, v38, vcc
.LBB85_41:
	s_mov_b64 s[2:3], exec
.LBB85_42:
	s_or_b64 exec, exec, s[18:19]
	s_and_b64 vcc, exec, s[16:17]
	s_cbranch_vccz .LBB85_46
.LBB85_43:
	v_mov_b32_dpp v34, v36 quad_perm:[1,0,3,2] row_mask:0xf bank_mask:0xf
	v_cmp_gt_f32_e32 vcc, v36, v34
	v_cndmask_b32_e32 v34, v34, v36, vcc
	s_nop 1
	v_mov_b32_dpp v35, v34 quad_perm:[2,3,0,1] row_mask:0xf bank_mask:0xf
	v_cmp_gt_f32_e32 vcc, v34, v35
	v_cndmask_b32_e32 v34, v35, v34, vcc
	s_nop 1
	v_mov_b32_dpp v35, v34 row_half_mirror row_mask:0xf bank_mask:0xf
	v_cmp_gt_f32_e32 vcc, v34, v35
	v_cndmask_b32_e32 v34, v35, v34, vcc
	s_nop 1
	v_mov_b32_dpp v35, v34 row_mirror row_mask:0xf bank_mask:0xf
	v_cmp_gt_f32_e32 vcc, v34, v35
	v_cndmask_b32_e32 v34, v35, v34, vcc
	s_nop 1
	v_mov_b32_dpp v35, v34 row_bcast:15 row_mask:0xf bank_mask:0xf
	v_cmp_gt_f32_e32 vcc, v34, v35
	v_cndmask_b32_e32 v34, v35, v34, vcc
	s_nop 1
	v_mov_b32_dpp v35, v34 row_bcast:31 row_mask:0xf bank_mask:0xf
	s_and_saveexec_b64 s[2:3], s[0:1]
	s_cbranch_execz .LBB85_45
; %bb.44:
	v_lshrrev_b32_e32 v36, 4, v0
	v_cmp_gt_f32_e32 vcc, v34, v35
	v_and_b32_e32 v36, 60, v36
	v_cndmask_b32_e32 v34, v35, v34, vcc
	ds_write_b32 v36, v34
.LBB85_45:
	s_or_b64 exec, exec, s[2:3]
	s_waitcnt lgkmcnt(0)
	s_barrier
	ds_read_b32 v1, v1
	v_cmp_eq_u32_e64 s[2:3], 0, v0
	s_waitcnt lgkmcnt(0)
	v_mov_b32_dpp v34, v1 quad_perm:[1,0,3,2] row_mask:0xf bank_mask:0xf
	v_cmp_gt_f32_e32 vcc, v1, v34
	v_cndmask_b32_e32 v1, v34, v1, vcc
	s_nop 1
	v_mov_b32_dpp v34, v1 quad_perm:[2,3,0,1] row_mask:0xf bank_mask:0xf
	v_cmp_gt_f32_e32 vcc, v1, v34
	v_cndmask_b32_e32 v1, v34, v1, vcc
	v_mul_f32_e32 v37, 0x3b124925, v1
	v_pk_mov_b32 v[34:35], s[6:7], s[6:7] op_sel:[0,1]
.LBB85_46:
	s_and_saveexec_b64 s[0:1], s[2:3]
	s_cbranch_execz .LBB85_48
; %bb.47:
	v_lshlrev_b64 v[0:1], 2, v[34:35]
	v_mov_b32_e32 v34, s13
	v_add_co_u32_e32 v0, vcc, s12, v0
	v_addc_co_u32_e32 v1, vcc, v34, v1, vcc
	global_store_dword v[0:1], v37, off
.LBB85_48:
	s_or_b64 exec, exec, s[0:1]
	s_add_i32 s2, s9, 3
	s_load_dwordx2 s[0:1], s[4:5], 0x0
	s_ashr_i32 s3, s2, 31
	s_lshr_b32 s3, s3, 30
	;;#ASMSTART
	v_rcp_f32 v0, v37
	;;#ASMEND
	v_mov_b32_e32 v1, v0
	;;#ASMSTART
	v_pk_mul_f32 v[32:33], v[32:33], v[0:1]
	;;#ASMEND
	s_add_i32 s2, s2, s3
	s_ashr_i32 s3, s10, 31
	v_mov_b32_e32 v34, 0xc3e00000
	v_mov_b32_e32 v35, 0x43e00000
	;;#ASMSTART
	v_med3_f32 v32, v32, v34, v35
v_med3_f32 v33, v33, v34, v35
v_cvt_pk_fp8_f32 v36, v32, v33
	;;#ASMEND
	;;#ASMSTART
	v_pk_mul_f32 v[30:31], v[30:31], v[0:1]
	;;#ASMEND
	s_mul_hi_u32 s4, s10, s6
	s_mul_i32 s3, s3, s6
	;;#ASMSTART
	v_med3_f32 v30, v30, v34, v35
v_med3_f32 v31, v31, v34, v35
v_cvt_pk_fp8_f32 v32, v30, v31
	;;#ASMEND
	s_mov_b32 s5, 0x5040100
	s_and_b32 s2, s2, -4
	s_add_i32 s4, s4, s3
	s_mul_i32 s3, s10, s6
	v_perm_b32 v31, v32, v36, s5
	s_movk_i32 s6, 0xff
	s_waitcnt lgkmcnt(0)
	s_add_u32 s0, s0, s3
	v_and_b32_e32 v30, 0xffffff00, v32
	v_and_b32_sdwa v32, v31, s6 dst_sel:DWORD dst_unused:UNUSED_PAD src0_sel:WORD_1 src1_sel:DWORD
	s_addc_u32 s1, s1, s4
	s_mov_b32 s4, 0xffff
	v_or_b32_sdwa v30, v32, v30 dst_sel:WORD_1 dst_unused:UNUSED_PAD src0_sel:DWORD src1_sel:DWORD
	;;#ASMSTART
	v_pk_mul_f32 v[28:29], v[28:29], v[0:1]
	;;#ASMEND
	v_and_or_b32 v30, v31, s4, v30
	;;#ASMSTART
	v_med3_f32 v28, v28, v34, v35
v_med3_f32 v29, v29, v34, v35
v_cvt_pk_fp8_f32 v31, v28, v29
	;;#ASMEND
	;;#ASMSTART
	v_pk_mul_f32 v[24:25], v[24:25], v[0:1]
	;;#ASMEND
	;;#ASMSTART
	v_med3_f32 v24, v24, v34, v35
v_med3_f32 v25, v25, v34, v35
v_cvt_pk_fp8_f32 v28, v24, v25
	;;#ASMEND
	v_lshlrev_b32_e32 v24, 16, v28
	s_and_b32 s1, s1, 0xffff
	s_mov_b32 s3, 0x20000
	v_and_or_b32 v31, v31, s4, v24
	buffer_store_dwordx2 v[30:31], v52, s[0:3], 0 offen
	;;#ASMSTART
	s_nop 0
	;;#ASMEND
	;;#ASMSTART
	v_pk_mul_f32 v[24:25], v[26:27], v[0:1]
	;;#ASMEND
	;;#ASMSTART
	v_med3_f32 v24, v24, v34, v35
v_med3_f32 v25, v25, v34, v35
v_cvt_pk_fp8_f32 v26, v24, v25
	;;#ASMEND
	;;#ASMSTART
	v_pk_mul_f32 v[22:23], v[22:23], v[0:1]
	;;#ASMEND
	;;#ASMSTART
	v_med3_f32 v22, v22, v34, v35
v_med3_f32 v23, v23, v34, v35
v_cvt_pk_fp8_f32 v24, v22, v23
	;;#ASMEND
	v_perm_b32 v23, v24, v26, s5
	v_and_b32_e32 v22, 0xffffff00, v24
	v_and_b32_sdwa v24, v23, s6 dst_sel:DWORD dst_unused:UNUSED_PAD src0_sel:WORD_1 src1_sel:DWORD
	v_or_b32_sdwa v22, v24, v22 dst_sel:WORD_1 dst_unused:UNUSED_PAD src0_sel:DWORD src1_sel:DWORD
	;;#ASMSTART
	v_pk_mul_f32 v[20:21], v[20:21], v[0:1]
	;;#ASMEND
	v_and_or_b32 v22, v23, s4, v22
	;;#ASMSTART
	v_med3_f32 v20, v20, v34, v35
v_med3_f32 v21, v21, v34, v35
v_cvt_pk_fp8_f32 v23, v20, v21
	;;#ASMEND
	;;#ASMSTART
	v_pk_mul_f32 v[16:17], v[16:17], v[0:1]
	;;#ASMEND
	;;#ASMSTART
	v_med3_f32 v16, v16, v34, v35
v_med3_f32 v17, v17, v34, v35
v_cvt_pk_fp8_f32 v20, v16, v17
	;;#ASMEND
	v_lshlrev_b32_e32 v16, 16, v20
	v_and_or_b32 v23, v23, s4, v16
	s_movk_i32 s7, 0x200
	buffer_store_dwordx2 v[22:23], v52, s[0:3], s7 offen
	;;#ASMSTART
	s_nop 0
	;;#ASMEND
	;;#ASMSTART
	v_pk_mul_f32 v[16:17], v[18:19], v[0:1]
	;;#ASMEND
	;;#ASMSTART
	v_med3_f32 v16, v16, v34, v35
v_med3_f32 v17, v17, v34, v35
v_cvt_pk_fp8_f32 v18, v16, v17
	;;#ASMEND
	;;#ASMSTART
	v_pk_mul_f32 v[14:15], v[14:15], v[0:1]
	;;#ASMEND
	;;#ASMSTART
	v_med3_f32 v14, v14, v34, v35
v_med3_f32 v15, v15, v34, v35
v_cvt_pk_fp8_f32 v16, v14, v15
	;;#ASMEND
	v_perm_b32 v15, v16, v18, s5
	v_and_b32_e32 v14, 0xffffff00, v16
	v_and_b32_sdwa v16, v15, s6 dst_sel:DWORD dst_unused:UNUSED_PAD src0_sel:WORD_1 src1_sel:DWORD
	v_or_b32_sdwa v14, v16, v14 dst_sel:WORD_1 dst_unused:UNUSED_PAD src0_sel:DWORD src1_sel:DWORD
	;;#ASMSTART
	v_pk_mul_f32 v[12:13], v[12:13], v[0:1]
	;;#ASMEND
	v_and_or_b32 v14, v15, s4, v14
	;;#ASMSTART
	v_med3_f32 v12, v12, v34, v35
v_med3_f32 v13, v13, v34, v35
v_cvt_pk_fp8_f32 v15, v12, v13
	;;#ASMEND
	;;#ASMSTART
	v_pk_mul_f32 v[8:9], v[8:9], v[0:1]
	;;#ASMEND
	;;#ASMSTART
	v_med3_f32 v8, v8, v34, v35
v_med3_f32 v9, v9, v34, v35
v_cvt_pk_fp8_f32 v12, v8, v9
	;;#ASMEND
	v_lshlrev_b32_e32 v8, 16, v12
	v_and_or_b32 v15, v15, s4, v8
	s_movk_i32 s7, 0x400
	;; [unrolled: 44-line block ×3, first 2 shown]
	buffer_store_dwordx2 v[6:7], v52, s[0:3], s4 offen
	;;#ASMSTART
	s_nop 0
	;;#ASMEND
.LBB85_49:
	s_endpgm
.LBB85_50:
                                        ; implicit-def: $vgpr34_vgpr35
	s_branch .LBB85_37
	.section	.rodata,"a",@progbits
	.p2align	6, 0x0
	.amdhsa_kernel _ZN5aiter24add_rmsnorm_quant_kernelIDF16_DB8_Li256ELi32ELb0ELb1ELb1ELi1EEEvPT0_PT_PfS5_S5_S5_diiiiiiib
		.amdhsa_group_segment_fixed_size 32
		.amdhsa_private_segment_fixed_size 0
		.amdhsa_kernarg_size 88
		.amdhsa_user_sgpr_count 6
		.amdhsa_user_sgpr_private_segment_buffer 1
		.amdhsa_user_sgpr_dispatch_ptr 0
		.amdhsa_user_sgpr_queue_ptr 0
		.amdhsa_user_sgpr_kernarg_segment_ptr 1
		.amdhsa_user_sgpr_dispatch_id 0
		.amdhsa_user_sgpr_flat_scratch_init 0
		.amdhsa_user_sgpr_kernarg_preload_length 0
		.amdhsa_user_sgpr_kernarg_preload_offset 0
		.amdhsa_user_sgpr_private_segment_size 0
		.amdhsa_uses_dynamic_stack 0
		.amdhsa_system_sgpr_private_segment_wavefront_offset 0
		.amdhsa_system_sgpr_workgroup_id_x 1
		.amdhsa_system_sgpr_workgroup_id_y 0
		.amdhsa_system_sgpr_workgroup_id_z 0
		.amdhsa_system_sgpr_workgroup_info 0
		.amdhsa_system_vgpr_workitem_id 0
		.amdhsa_next_free_vgpr 68
		.amdhsa_next_free_sgpr 34
		.amdhsa_accum_offset 68
		.amdhsa_reserve_vcc 1
		.amdhsa_reserve_flat_scratch 0
		.amdhsa_float_round_mode_32 0
		.amdhsa_float_round_mode_16_64 0
		.amdhsa_float_denorm_mode_32 3
		.amdhsa_float_denorm_mode_16_64 3
		.amdhsa_dx10_clamp 1
		.amdhsa_ieee_mode 1
		.amdhsa_fp16_overflow 0
		.amdhsa_tg_split 0
		.amdhsa_exception_fp_ieee_invalid_op 0
		.amdhsa_exception_fp_denorm_src 0
		.amdhsa_exception_fp_ieee_div_zero 0
		.amdhsa_exception_fp_ieee_overflow 0
		.amdhsa_exception_fp_ieee_underflow 0
		.amdhsa_exception_fp_ieee_inexact 0
		.amdhsa_exception_int_div_zero 0
	.end_amdhsa_kernel
	.section	.text._ZN5aiter24add_rmsnorm_quant_kernelIDF16_DB8_Li256ELi32ELb0ELb1ELb1ELi1EEEvPT0_PT_PfS5_S5_S5_diiiiiiib,"axG",@progbits,_ZN5aiter24add_rmsnorm_quant_kernelIDF16_DB8_Li256ELi32ELb0ELb1ELb1ELi1EEEvPT0_PT_PfS5_S5_S5_diiiiiiib,comdat
.Lfunc_end85:
	.size	_ZN5aiter24add_rmsnorm_quant_kernelIDF16_DB8_Li256ELi32ELb0ELb1ELb1ELi1EEEvPT0_PT_PfS5_S5_S5_diiiiiiib, .Lfunc_end85-_ZN5aiter24add_rmsnorm_quant_kernelIDF16_DB8_Li256ELi32ELb0ELb1ELb1ELi1EEEvPT0_PT_PfS5_S5_S5_diiiiiiib
                                        ; -- End function
	.section	.AMDGPU.csdata,"",@progbits
; Kernel info:
; codeLenInByte = 4820
; NumSgprs: 38
; NumVgprs: 68
; NumAgprs: 0
; TotalNumVgprs: 68
; ScratchSize: 0
; MemoryBound: 0
; FloatMode: 240
; IeeeMode: 1
; LDSByteSize: 32 bytes/workgroup (compile time only)
; SGPRBlocks: 4
; VGPRBlocks: 8
; NumSGPRsForWavesPerEU: 38
; NumVGPRsForWavesPerEU: 68
; AccumOffset: 68
; Occupancy: 7
; WaveLimiterHint : 0
; COMPUTE_PGM_RSRC2:SCRATCH_EN: 0
; COMPUTE_PGM_RSRC2:USER_SGPR: 6
; COMPUTE_PGM_RSRC2:TRAP_HANDLER: 0
; COMPUTE_PGM_RSRC2:TGID_X_EN: 1
; COMPUTE_PGM_RSRC2:TGID_Y_EN: 0
; COMPUTE_PGM_RSRC2:TGID_Z_EN: 0
; COMPUTE_PGM_RSRC2:TIDIG_COMP_CNT: 0
; COMPUTE_PGM_RSRC3_GFX90A:ACCUM_OFFSET: 16
; COMPUTE_PGM_RSRC3_GFX90A:TG_SPLIT: 0
	.section	.text._ZN5aiter24add_rmsnorm_quant_kernelItDB8_Li256ELi32ELb0ELb1ELb1ELi1EEEvPT0_PT_PfS5_S5_S5_diiiiiiib,"axG",@progbits,_ZN5aiter24add_rmsnorm_quant_kernelItDB8_Li256ELi32ELb0ELb1ELb1ELi1EEEvPT0_PT_PfS5_S5_S5_diiiiiiib,comdat
	.protected	_ZN5aiter24add_rmsnorm_quant_kernelItDB8_Li256ELi32ELb0ELb1ELb1ELi1EEEvPT0_PT_PfS5_S5_S5_diiiiiiib ; -- Begin function _ZN5aiter24add_rmsnorm_quant_kernelItDB8_Li256ELi32ELb0ELb1ELb1ELi1EEEvPT0_PT_PfS5_S5_S5_diiiiiiib
	.globl	_ZN5aiter24add_rmsnorm_quant_kernelItDB8_Li256ELi32ELb0ELb1ELb1ELi1EEEvPT0_PT_PfS5_S5_S5_diiiiiiib
	.p2align	8
	.type	_ZN5aiter24add_rmsnorm_quant_kernelItDB8_Li256ELi32ELb0ELb1ELb1ELi1EEEvPT0_PT_PfS5_S5_S5_diiiiiiib,@function
_ZN5aiter24add_rmsnorm_quant_kernelItDB8_Li256ELi32ELb0ELb1ELb1ELi1EEEvPT0_PT_PfS5_S5_S5_diiiiiiib: ; @_ZN5aiter24add_rmsnorm_quant_kernelItDB8_Li256ELi32ELb0ELb1ELb1ELi1EEEvPT0_PT_PfS5_S5_S5_diiiiiiib
; %bb.0:
	s_load_dwordx4 s[8:11], s[4:5], 0x38
	s_mov_b32 s7, 0
	s_waitcnt lgkmcnt(0)
	s_ashr_i32 s0, s8, 31
	v_mov_b32_e32 v2, s8
	v_mov_b32_e32 v3, s0
	v_cmp_ge_i64_e32 vcc, s[6:7], v[2:3]
	s_cbranch_vccnz .LBB86_49
; %bb.1:
	s_load_dwordx4 s[12:15], s[4:5], 0x10
	s_load_dwordx4 s[0:3], s[4:5], 0x28
	s_ashr_i32 s11, s10, 31
	s_mul_hi_u32 s16, s10, s6
	s_mul_i32 s11, s11, s6
	s_add_i32 s11, s16, s11
	s_mul_i32 s10, s10, s6
	s_lshl_b64 s[10:11], s[10:11], 1
	s_waitcnt lgkmcnt(0)
	s_add_u32 s16, s14, s10
	s_addc_u32 s10, s15, s11
	s_add_i32 s11, s9, 1
	s_lshr_b32 s14, s11, 31
	v_lshlrev_b32_e32 v53, 5, v0
	s_add_i32 s11, s11, s14
	s_and_b32 s17, s10, 0xffff
	v_lshlrev_b32_e32 v1, 3, v0
	v_and_b32_e32 v2, 0x7800, v53
	s_movk_i32 s10, 0x1f8
	s_lshl_b32 s11, s11, 1
	v_and_or_b32 v52, v1, s10, v2
	s_and_b32 s18, s11, -4
	s_mov_b32 s19, 0x20000
	v_lshlrev_b32_e32 v1, 1, v52
	buffer_load_dwordx4 v[30:33], v1, s[16:19], 0 offen glc slc
	s_movk_i32 s10, 0x400
	buffer_load_dwordx4 v[26:29], v1, s[16:19], s10 offen glc slc
	s_movk_i32 s11, 0x800
	s_movk_i32 s14, 0xc00
	buffer_load_dwordx4 v[22:25], v1, s[16:19], s11 offen glc slc
	buffer_load_dwordx4 v[18:21], v1, s[16:19], s14 offen glc slc
	s_mov_b32 s16, s0
	s_and_b32 s17, s1, 0xffff
	buffer_load_dwordx4 v[14:17], v1, s[16:19], 0 offen
	buffer_load_dwordx4 v[10:13], v1, s[16:19], s10 offen
	buffer_load_dwordx4 v[6:9], v1, s[16:19], s11 offen
	buffer_load_dwordx4 v[2:5], v1, s[16:19], s14 offen
	v_and_b32_e32 v60, 63, v0
	v_cmp_eq_u32_e64 s[0:1], 63, v60
	s_waitcnt vmcnt(7)
	v_cvt_f32_u32_sdwa v51, v30 dst_sel:DWORD dst_unused:UNUSED_PAD src0_sel:WORD_1
	v_cvt_f32_u32_sdwa v50, v30 dst_sel:DWORD dst_unused:UNUSED_PAD src0_sel:WORD_0
	v_cvt_f32_u32_sdwa v49, v31 dst_sel:DWORD dst_unused:UNUSED_PAD src0_sel:WORD_1
	v_cvt_f32_u32_sdwa v48, v31 dst_sel:DWORD dst_unused:UNUSED_PAD src0_sel:WORD_0
	v_cvt_f32_u32_sdwa v47, v32 dst_sel:DWORD dst_unused:UNUSED_PAD src0_sel:WORD_1
	v_cvt_f32_u32_sdwa v46, v32 dst_sel:DWORD dst_unused:UNUSED_PAD src0_sel:WORD_0
	v_cvt_f32_u32_sdwa v45, v33 dst_sel:DWORD dst_unused:UNUSED_PAD src0_sel:WORD_1
	v_cvt_f32_u32_sdwa v44, v33 dst_sel:DWORD dst_unused:UNUSED_PAD src0_sel:WORD_0
	s_waitcnt vmcnt(6)
	v_cvt_f32_u32_sdwa v43, v26 dst_sel:DWORD dst_unused:UNUSED_PAD src0_sel:WORD_1
	v_cvt_f32_u32_sdwa v42, v26 dst_sel:DWORD dst_unused:UNUSED_PAD src0_sel:WORD_0
	v_cvt_f32_u32_sdwa v41, v27 dst_sel:DWORD dst_unused:UNUSED_PAD src0_sel:WORD_1
	v_cvt_f32_u32_sdwa v40, v27 dst_sel:DWORD dst_unused:UNUSED_PAD src0_sel:WORD_0
	v_cvt_f32_u32_sdwa v39, v28 dst_sel:DWORD dst_unused:UNUSED_PAD src0_sel:WORD_1
	v_cvt_f32_u32_sdwa v38, v28 dst_sel:DWORD dst_unused:UNUSED_PAD src0_sel:WORD_0
	v_cvt_f32_u32_sdwa v37, v29 dst_sel:DWORD dst_unused:UNUSED_PAD src0_sel:WORD_1
	v_cvt_f32_u32_sdwa v36, v29 dst_sel:DWORD dst_unused:UNUSED_PAD src0_sel:WORD_0
	;; [unrolled: 9-line block ×4, first 2 shown]
	v_pk_mul_f32 v[20:21], v[50:51], v[50:51]
	v_pk_mul_f32 v[54:55], v[48:49], v[48:49]
	v_add_f32_e32 v1, v20, v21
	v_add_f32_e32 v1, v54, v1
	v_pk_mul_f32 v[56:57], v[46:47], v[46:47]
	v_add_f32_e32 v1, v55, v1
	v_add_f32_e32 v1, v56, v1
	;; [unrolled: 3-line block ×15, first 2 shown]
	v_add_f32_e32 v1, v57, v1
	s_nop 1
	v_mov_b32_dpp v20, v1 quad_perm:[1,0,3,2] row_mask:0xf bank_mask:0xf
	v_add_f32_e32 v1, v1, v20
	s_nop 1
	v_mov_b32_dpp v20, v1 quad_perm:[2,3,0,1] row_mask:0xf bank_mask:0xf
	v_add_f32_e32 v1, v1, v20
	s_nop 1
	v_mov_b32_dpp v20, v1 row_half_mirror row_mask:0xf bank_mask:0xf
	v_add_f32_e32 v1, v1, v20
	s_nop 1
	v_mov_b32_dpp v20, v1 row_mirror row_mask:0xf bank_mask:0xf
	v_add_f32_e32 v1, v1, v20
	s_nop 1
	v_mov_b32_dpp v20, v1 row_bcast:15 row_mask:0xf bank_mask:0xf
	v_add_f32_e32 v1, v1, v20
	s_nop 1
	v_mov_b32_dpp v20, v1 row_bcast:31 row_mask:0xf bank_mask:0xf
	s_and_saveexec_b64 s[10:11], s[0:1]
	s_cbranch_execz .LBB86_3
; %bb.2:
	v_lshrrev_b32_e32 v21, 4, v0
	v_and_b32_e32 v21, 60, v21
	v_add_f32_e32 v1, v1, v20
	ds_write_b32 v21, v1 offset:16
.LBB86_3:
	s_or_b64 exec, exec, s[10:11]
	v_and_b32_e32 v1, 3, v0
	v_lshlrev_b32_e32 v1, 2, v1
	s_waitcnt lgkmcnt(0)
	s_barrier
	ds_read_b32 v20, v1 offset:16
	v_cvt_f32_i32_e32 v21, s9
	s_waitcnt lgkmcnt(0)
	v_mov_b32_dpp v54, v20 quad_perm:[1,0,3,2] row_mask:0xf bank_mask:0xf
	v_add_f32_e32 v20, v20, v54
	s_nop 1
	v_mov_b32_dpp v54, v20 quad_perm:[2,3,0,1] row_mask:0xf bank_mask:0xf
	v_add_f32_e32 v20, v20, v54
	v_div_scale_f32 v54, s[10:11], v21, v21, v20
	v_rcp_f32_e32 v55, v54
	v_div_scale_f32 v56, vcc, v20, v21, v20
	s_load_dwordx2 s[10:11], s[4:5], 0x4c
	s_load_dword s14, s[4:5], 0x54
	v_fma_f32 v57, -v54, v55, 1.0
	v_fmac_f32_e32 v55, v57, v55
	v_mul_f32_e32 v57, v56, v55
	v_fma_f32 v58, -v54, v57, v56
	v_fmac_f32_e32 v57, v58, v55
	v_fma_f32 v54, -v54, v57, v56
	v_div_fmas_f32 v54, v54, v55, v57
	v_div_fixup_f32 v20, v54, v21, v20
	v_cvt_f64_f32_e32 v[20:21], v20
	v_add_f64 v[20:21], v[20:21], s[2:3]
	v_cvt_f32_f64_e32 v20, v[20:21]
	s_mov_b32 s2, 0x800000
	v_mul_f32_e32 v21, 0x4b800000, v20
	v_cmp_gt_f32_e32 vcc, s2, v20
	v_cndmask_b32_e32 v20, v20, v21, vcc
	v_rsq_f32_e32 v20, v20
	s_waitcnt lgkmcnt(0)
	s_cmp_lg_u32 s11, 0
	v_mul_f32_e32 v21, 0x45800000, v20
	v_cndmask_b32_e32 v20, v20, v21, vcc
	v_mov_b32_e32 v21, v20
	;;#ASMSTART
	v_pk_mul_f32 v[50:51], v[50:51], v[20:21]
	;;#ASMEND
	;;#ASMSTART
	v_pk_mul_f32 v[48:49], v[48:49], v[20:21]
	;;#ASMEND
	;; [unrolled: 3-line block ×16, first 2 shown]
	s_waitcnt vmcnt(3)
	v_cvt_f32_u32_sdwa v19, v14 dst_sel:DWORD dst_unused:UNUSED_PAD src0_sel:WORD_1
	v_cvt_f32_u32_sdwa v18, v14 dst_sel:DWORD dst_unused:UNUSED_PAD src0_sel:WORD_0
	v_cvt_f32_u32_sdwa v21, v15 dst_sel:DWORD dst_unused:UNUSED_PAD src0_sel:WORD_1
	v_cvt_f32_u32_sdwa v20, v15 dst_sel:DWORD dst_unused:UNUSED_PAD src0_sel:WORD_0
	;; [unrolled: 2-line block ×4, first 2 shown]
	;;#ASMSTART
	v_pk_mul_f32 v[32:33], v[50:51], v[18:19]
	;;#ASMEND
	;;#ASMSTART
	v_pk_mul_f32 v[30:31], v[48:49], v[20:21]
	;;#ASMEND
	;; [unrolled: 3-line block ×3, first 2 shown]
	s_waitcnt vmcnt(2)
	v_cvt_f32_u32_sdwa v15, v10 dst_sel:DWORD dst_unused:UNUSED_PAD src0_sel:WORD_1
	v_cvt_f32_u32_sdwa v14, v10 dst_sel:DWORD dst_unused:UNUSED_PAD src0_sel:WORD_0
	v_cvt_f32_u32_sdwa v17, v11 dst_sel:DWORD dst_unused:UNUSED_PAD src0_sel:WORD_1
	v_cvt_f32_u32_sdwa v16, v11 dst_sel:DWORD dst_unused:UNUSED_PAD src0_sel:WORD_0
	;; [unrolled: 2-line block ×3, first 2 shown]
	;;#ASMSTART
	v_pk_mul_f32 v[24:25], v[44:45], v[22:23]
	;;#ASMEND
	v_cvt_f32_u32_sdwa v19, v13 dst_sel:DWORD dst_unused:UNUSED_PAD src0_sel:WORD_1
	v_cvt_f32_u32_sdwa v18, v13 dst_sel:DWORD dst_unused:UNUSED_PAD src0_sel:WORD_0
	;;#ASMSTART
	v_pk_mul_f32 v[26:27], v[42:43], v[14:15]
	;;#ASMEND
	;;#ASMSTART
	v_pk_mul_f32 v[22:23], v[40:41], v[16:17]
	;;#ASMEND
	;;#ASMSTART
	v_pk_mul_f32 v[20:21], v[38:39], v[10:11]
	;;#ASMEND
	;;#ASMSTART
	v_pk_mul_f32 v[16:17], v[36:37], v[18:19]
	;;#ASMEND
	s_waitcnt vmcnt(1)
	v_cvt_f32_u32_sdwa v11, v6 dst_sel:DWORD dst_unused:UNUSED_PAD src0_sel:WORD_1
	v_cvt_f32_u32_sdwa v10, v6 dst_sel:DWORD dst_unused:UNUSED_PAD src0_sel:WORD_0
	v_cvt_f32_u32_sdwa v13, v7 dst_sel:DWORD dst_unused:UNUSED_PAD src0_sel:WORD_1
	v_cvt_f32_u32_sdwa v12, v7 dst_sel:DWORD dst_unused:UNUSED_PAD src0_sel:WORD_0
	;; [unrolled: 2-line block ×3, first 2 shown]
	v_cvt_f32_u32_sdwa v36, v9 dst_sel:DWORD dst_unused:UNUSED_PAD src0_sel:WORD_0
	v_cvt_f32_u32_sdwa v37, v9 dst_sel:DWORD dst_unused:UNUSED_PAD src0_sel:WORD_1
	;;#ASMSTART
	v_pk_mul_f32 v[18:19], v[34:35], v[10:11]
	;;#ASMEND
	;;#ASMSTART
	v_pk_mul_f32 v[14:15], v[54:55], v[12:13]
	;;#ASMEND
	;;#ASMSTART
	v_pk_mul_f32 v[12:13], v[56:57], v[6:7]
	;;#ASMEND
	;;#ASMSTART
	v_pk_mul_f32 v[8:9], v[58:59], v[36:37]
	;;#ASMEND
	s_waitcnt vmcnt(0)
	v_cvt_f32_u32_sdwa v7, v2 dst_sel:DWORD dst_unused:UNUSED_PAD src0_sel:WORD_1
	v_cvt_f32_u32_sdwa v6, v2 dst_sel:DWORD dst_unused:UNUSED_PAD src0_sel:WORD_0
	v_cvt_f32_u32_sdwa v35, v3 dst_sel:DWORD dst_unused:UNUSED_PAD src0_sel:WORD_1
	v_cvt_f32_u32_sdwa v34, v3 dst_sel:DWORD dst_unused:UNUSED_PAD src0_sel:WORD_0
	;; [unrolled: 2-line block ×3, first 2 shown]
	v_cvt_f32_u32_sdwa v36, v5 dst_sel:DWORD dst_unused:UNUSED_PAD src0_sel:WORD_0
	v_cvt_f32_u32_sdwa v37, v5 dst_sel:DWORD dst_unused:UNUSED_PAD src0_sel:WORD_1
	;;#ASMSTART
	v_pk_mul_f32 v[10:11], v[60:61], v[6:7]
	;;#ASMEND
	;;#ASMSTART
	v_pk_mul_f32 v[6:7], v[62:63], v[34:35]
	;;#ASMEND
	;; [unrolled: 3-line block ×4, first 2 shown]
	v_and_b32_e32 v34, 0x7fffffff, v32
	v_mov_b32_e32 v36, 0x2edbe6ff
	v_and_b32_e32 v35, 0x7fffffff, v33
	;;#ASMSTART
	v_max3_f32 v34, v36, v34, v35

	;;#ASMEND
	v_and_b32_e32 v36, 0x7fffffff, v31
	v_and_b32_e32 v35, 0x7fffffff, v30
	;;#ASMSTART
	v_max3_f32 v34, v34, v35, v36

	;;#ASMEND
	v_and_b32_e32 v36, 0x7fffffff, v29
	v_and_b32_e32 v35, 0x7fffffff, v28
	;;#ASMSTART
	v_max3_f32 v34, v34, v35, v36

	;;#ASMEND
	v_and_b32_e32 v36, 0x7fffffff, v25
	v_and_b32_e32 v35, 0x7fffffff, v24
	;;#ASMSTART
	v_max3_f32 v34, v34, v35, v36

	;;#ASMEND
	v_and_b32_e32 v36, 0x7fffffff, v27
	v_and_b32_e32 v35, 0x7fffffff, v26
	;;#ASMSTART
	v_max3_f32 v34, v34, v35, v36

	;;#ASMEND
	v_and_b32_e32 v36, 0x7fffffff, v23
	v_and_b32_e32 v35, 0x7fffffff, v22
	;;#ASMSTART
	v_max3_f32 v34, v34, v35, v36

	;;#ASMEND
	v_and_b32_e32 v36, 0x7fffffff, v21
	v_and_b32_e32 v35, 0x7fffffff, v20
	;;#ASMSTART
	v_max3_f32 v34, v34, v35, v36

	;;#ASMEND
	v_and_b32_e32 v36, 0x7fffffff, v17
	v_and_b32_e32 v35, 0x7fffffff, v16
	;;#ASMSTART
	v_max3_f32 v34, v34, v35, v36

	;;#ASMEND
	v_and_b32_e32 v36, 0x7fffffff, v19
	v_and_b32_e32 v35, 0x7fffffff, v18
	;;#ASMSTART
	v_max3_f32 v34, v34, v35, v36

	;;#ASMEND
	v_and_b32_e32 v36, 0x7fffffff, v15
	v_and_b32_e32 v35, 0x7fffffff, v14
	;;#ASMSTART
	v_max3_f32 v34, v34, v35, v36

	;;#ASMEND
	v_and_b32_e32 v36, 0x7fffffff, v13
	v_and_b32_e32 v35, 0x7fffffff, v12
	;;#ASMSTART
	v_max3_f32 v34, v34, v35, v36

	;;#ASMEND
	v_and_b32_e32 v36, 0x7fffffff, v9
	v_and_b32_e32 v35, 0x7fffffff, v8
	;;#ASMSTART
	v_max3_f32 v34, v34, v35, v36

	;;#ASMEND
	v_and_b32_e32 v36, 0x7fffffff, v11
	v_and_b32_e32 v35, 0x7fffffff, v10
	;;#ASMSTART
	v_max3_f32 v34, v34, v35, v36

	;;#ASMEND
	v_and_b32_e32 v36, 0x7fffffff, v7
	v_and_b32_e32 v35, 0x7fffffff, v6
	;;#ASMSTART
	v_max3_f32 v34, v34, v35, v36

	;;#ASMEND
	v_and_b32_e32 v36, 0x7fffffff, v5
	v_and_b32_e32 v35, 0x7fffffff, v4
	;;#ASMSTART
	v_max3_f32 v34, v34, v35, v36

	;;#ASMEND
	v_and_b32_e32 v36, 0x7fffffff, v3
	v_and_b32_e32 v35, 0x7fffffff, v2
	;;#ASMSTART
	v_max3_f32 v36, v34, v35, v36

	;;#ASMEND
	s_cbranch_scc0 .LBB86_10
; %bb.4:
	s_ashr_i32 s15, s11, 31
	s_lshr_b32 s2, s15, 27
	s_add_i32 s2, s11, s2
	s_ashr_i32 s18, s2, 5
	s_cmp_lt_i32 s18, 16
	s_cbranch_scc1 .LBB86_11
; %bb.5:
	s_cmp_lt_i32 s18, 32
	s_cbranch_scc1 .LBB86_12
; %bb.6:
	;; [unrolled: 3-line block ×3, first 2 shown]
	s_cmp_eq_u32 s18, 64
	v_mov_b32_e32 v34, v36
	s_cbranch_scc0 .LBB86_9
; %bb.8:
	s_nop 0
	v_mov_b32_dpp v34, v36 quad_perm:[1,0,3,2] row_mask:0xf bank_mask:0xf
	v_cmp_gt_f32_e32 vcc, v36, v34
	v_cndmask_b32_e32 v34, v34, v36, vcc
	v_bfrev_b32_e32 v37, 0.5
	s_nop 0
	v_mov_b32_dpp v35, v34 quad_perm:[2,3,0,1] row_mask:0xf bank_mask:0xf
	v_cmp_gt_f32_e32 vcc, v34, v35
	v_cndmask_b32_e32 v34, v35, v34, vcc
	s_nop 1
	v_mov_b32_dpp v35, v34 row_ror:4 row_mask:0xf bank_mask:0xf
	v_cmp_gt_f32_e32 vcc, v34, v35
	v_cndmask_b32_e32 v34, v35, v34, vcc
	s_nop 1
	v_mov_b32_dpp v35, v34 row_ror:8 row_mask:0xf bank_mask:0xf
	v_cmp_gt_f32_e32 vcc, v34, v35
	v_cndmask_b32_e32 v34, v35, v34, vcc
	s_nop 1
	v_mov_b32_dpp v35, v34 row_bcast:15 row_mask:0xf bank_mask:0xf
	v_cmp_gt_f32_e32 vcc, v34, v35
	v_cndmask_b32_e32 v34, v35, v34, vcc
	s_nop 1
	v_mov_b32_dpp v35, v34 row_bcast:31 row_mask:0xf bank_mask:0xf
	v_cmp_gt_f32_e32 vcc, v34, v35
	v_cndmask_b32_e32 v34, v35, v34, vcc
	v_mbcnt_lo_u32_b32 v35, -1, 0
	v_mbcnt_hi_u32_b32 v35, -1, v35
	v_lshl_or_b32 v35, v35, 2, v37
	ds_bpermute_b32 v34, v35, v34
.LBB86_9:
	s_mov_b64 s[2:3], 0
	s_branch .LBB86_14
.LBB86_10:
	s_mov_b64 s[2:3], 0
                                        ; implicit-def: $vgpr37
                                        ; implicit-def: $vgpr34_vgpr35
	s_cbranch_execnz .LBB86_43
	s_branch .LBB86_46
.LBB86_11:
                                        ; implicit-def: $vgpr34
	s_branch .LBB86_21
.LBB86_12:
                                        ; implicit-def: $vgpr34
	s_branch .LBB86_18
.LBB86_13:
	s_mov_b64 s[2:3], -1
                                        ; implicit-def: $vgpr34
.LBB86_14:
	s_andn2_b64 vcc, exec, s[2:3]
	s_cbranch_vccnz .LBB86_17
; %bb.15:
	s_cmp_eq_u32 s18, 32
	s_waitcnt lgkmcnt(0)
	v_mov_b32_e32 v34, v36
	s_cbranch_scc0 .LBB86_17
; %bb.16:
	s_nop 0
	v_mov_b32_dpp v34, v36 quad_perm:[1,0,3,2] row_mask:0xf bank_mask:0xf
	v_cmp_gt_f32_e32 vcc, v36, v34
	v_cndmask_b32_e32 v34, v34, v36, vcc
	v_mov_b32_e32 v37, 0x7c
	s_nop 0
	v_mov_b32_dpp v35, v34 quad_perm:[2,3,0,1] row_mask:0xf bank_mask:0xf
	v_cmp_gt_f32_e32 vcc, v34, v35
	v_cndmask_b32_e32 v34, v35, v34, vcc
	s_nop 1
	v_mov_b32_dpp v35, v34 row_half_mirror row_mask:0xf bank_mask:0xf
	v_cmp_gt_f32_e32 vcc, v34, v35
	v_cndmask_b32_e32 v34, v35, v34, vcc
	s_nop 1
	v_mov_b32_dpp v35, v34 row_mirror row_mask:0xf bank_mask:0xf
	v_cmp_gt_f32_e32 vcc, v34, v35
	v_cndmask_b32_e32 v34, v35, v34, vcc
	s_nop 1
	v_mov_b32_dpp v35, v34 row_bcast:15 row_mask:0xa bank_mask:0xf
	v_cmp_gt_f32_e32 vcc, v34, v35
	v_cndmask_b32_e32 v34, v35, v34, vcc
	v_mbcnt_lo_u32_b32 v35, -1, 0
	v_mbcnt_hi_u32_b32 v35, -1, v35
	v_lshl_or_b32 v35, v35, 2, v37
	ds_bpermute_b32 v34, v35, v34
.LBB86_17:
	s_cbranch_execnz .LBB86_20
.LBB86_18:
	s_cmp_eq_u32 s18, 16
	s_waitcnt lgkmcnt(0)
	v_mov_b32_e32 v34, v36
	s_cbranch_scc0 .LBB86_20
; %bb.19:
	s_nop 0
	v_mov_b32_dpp v34, v36 quad_perm:[1,0,3,2] row_mask:0xf bank_mask:0xf
	v_cmp_gt_f32_e32 vcc, v36, v34
	v_cndmask_b32_e32 v34, v34, v36, vcc
	s_nop 1
	v_mov_b32_dpp v35, v34 quad_perm:[2,3,0,1] row_mask:0xf bank_mask:0xf
	v_cmp_gt_f32_e32 vcc, v34, v35
	v_cndmask_b32_e32 v34, v35, v34, vcc
	s_nop 1
	v_mov_b32_dpp v35, v34 row_half_mirror row_mask:0xf bank_mask:0xf
	v_cmp_gt_f32_e32 vcc, v34, v35
	v_cndmask_b32_e32 v34, v35, v34, vcc
	s_nop 1
	v_mov_b32_dpp v35, v34 row_mirror row_mask:0xf bank_mask:0xf
	v_cmp_gt_f32_e32 vcc, v34, v35
	v_cndmask_b32_e32 v34, v35, v34, vcc
.LBB86_20:
	s_cbranch_execnz .LBB86_33
.LBB86_21:
	s_cmp_lt_i32 s18, 4
	s_cbranch_scc1 .LBB86_25
; %bb.22:
	s_cmp_lt_i32 s18, 8
	s_cbranch_scc1 .LBB86_26
; %bb.23:
	s_cmp_eq_u32 s18, 8
	s_waitcnt lgkmcnt(0)
	v_mov_b32_e32 v34, v36
	s_cbranch_scc0 .LBB86_27
; %bb.24:
	s_nop 0
	v_mov_b32_dpp v34, v36 quad_perm:[1,0,3,2] row_mask:0xf bank_mask:0xf
	v_cmp_gt_f32_e32 vcc, v36, v34
	v_cndmask_b32_e32 v34, v34, v36, vcc
	s_nop 1
	v_mov_b32_dpp v35, v34 quad_perm:[2,3,0,1] row_mask:0xf bank_mask:0xf
	v_cmp_gt_f32_e32 vcc, v34, v35
	v_cndmask_b32_e32 v34, v35, v34, vcc
	s_nop 1
	v_mov_b32_dpp v35, v34 row_half_mirror row_mask:0xf bank_mask:0xf
	v_cmp_gt_f32_e32 vcc, v34, v35
	v_cndmask_b32_e32 v34, v35, v34, vcc
	s_cbranch_execz .LBB86_28
	s_branch .LBB86_30
.LBB86_25:
                                        ; implicit-def: $vgpr34
	s_branch .LBB86_31
.LBB86_26:
                                        ; implicit-def: $vgpr34
	s_branch .LBB86_28
.LBB86_27:
	s_cbranch_execnz .LBB86_30
.LBB86_28:
	s_cmp_eq_u32 s18, 4
	s_waitcnt lgkmcnt(0)
	v_mov_b32_e32 v34, v36
	s_cbranch_scc0 .LBB86_30
; %bb.29:
	s_nop 0
	v_mov_b32_dpp v34, v36 quad_perm:[1,0,3,2] row_mask:0xf bank_mask:0xf
	v_cmp_gt_f32_e32 vcc, v36, v34
	v_cndmask_b32_e32 v34, v34, v36, vcc
	s_nop 1
	v_mov_b32_dpp v35, v34 quad_perm:[2,3,0,1] row_mask:0xf bank_mask:0xf
	v_cmp_gt_f32_e32 vcc, v34, v35
	v_cndmask_b32_e32 v34, v35, v34, vcc
.LBB86_30:
	s_cbranch_execnz .LBB86_33
.LBB86_31:
	s_cmp_lg_u32 s18, 2
	s_waitcnt lgkmcnt(0)
	v_mov_b32_e32 v34, v36
	s_cbranch_scc1 .LBB86_33
; %bb.32:
	s_nop 0
	v_mov_b32_dpp v34, v36 quad_perm:[1,0,3,2] row_mask:0xf bank_mask:0xf
	v_cmp_gt_f32_e32 vcc, v36, v34
	v_cndmask_b32_e32 v34, v34, v36, vcc
.LBB86_33:
	v_cvt_f32_u32_e32 v35, s18
	s_waitcnt lgkmcnt(0)
	v_mul_f32_e32 v37, 0x3b124925, v34
	s_sub_i32 s2, 0, s18
	v_cmp_gt_u32_e32 vcc, s9, v53
	v_rcp_iflag_f32_e32 v35, v35
	s_mov_b64 s[16:17], 0
	v_mul_f32_e32 v34, 0x4f7ffffe, v35
	v_cvt_u32_f32_e32 v34, v34
	v_mul_lo_u32 v35, s2, v34
	v_mul_hi_u32 v35, v34, v35
	v_add_u32_e32 v34, v34, v35
	v_mul_hi_u32 v34, v0, v34
	v_mul_lo_u32 v35, v34, s18
	v_sub_u32_e32 v35, v0, v35
	v_add_u32_e32 v38, 1, v34
	v_cmp_le_u32_e64 s[2:3], s18, v35
	v_cndmask_b32_e64 v34, v34, v38, s[2:3]
	v_subrev_u32_e32 v38, s18, v35
	v_cndmask_b32_e64 v35, v35, v38, s[2:3]
	v_add_u32_e32 v38, 1, v34
	v_cmp_le_u32_e64 s[2:3], s18, v35
	v_cndmask_b32_e64 v38, v34, v38, s[2:3]
	v_mul_lo_u32 v34, v38, s18
	v_sub_u32_e32 v34, v0, v34
	v_cmp_eq_u32_e64 s[2:3], 0, v34
	s_and_b64 s[18:19], s[2:3], vcc
	s_mov_b64 s[2:3], 0
                                        ; implicit-def: $vgpr34_vgpr35
	s_and_saveexec_b64 s[20:21], s[18:19]
	s_xor_b64 s[18:19], exec, s[20:21]
	s_cbranch_execz .LBB86_42
; %bb.34:
	s_bitcmp0_b32 s14, 0
	s_cbranch_scc0 .LBB86_39
; %bb.35:
	s_ashr_i32 s2, s9, 31
	s_mul_hi_u32 s3, s9, s6
	s_mul_i32 s2, s2, s6
	s_add_i32 s21, s3, s2
	s_mul_i32 s20, s9, s6
	s_mov_b32 s14, s11
	s_or_b64 s[2:3], s[20:21], s[14:15]
	s_mov_b32 s2, 0
	s_cmp_lg_u64 s[2:3], 0
	s_cbranch_scc0 .LBB86_50
; %bb.36:
	s_add_u32 s2, s14, s15
	s_mov_b32 s24, s15
	s_mov_b32 s25, s15
	s_addc_u32 s3, s15, s15
	s_xor_b64 s[26:27], s[2:3], s[24:25]
	v_cvt_f32_u32_e32 v34, s26
	v_cvt_f32_u32_e32 v35, s27
	s_sub_u32 s2, 0, s26
	s_subb_u32 s3, 0, s27
	v_madmk_f32 v34, v35, 0x4f800000, v34
	v_rcp_f32_e32 v34, v34
	v_mul_f32_e32 v34, 0x5f7ffffc, v34
	v_mul_f32_e32 v35, 0x2f800000, v34
	v_trunc_f32_e32 v35, v35
	v_madmk_f32 v34, v35, 0xcf800000, v34
	v_cvt_u32_f32_e32 v35, v35
	v_cvt_u32_f32_e32 v34, v34
	v_readfirstlane_b32 s11, v35
	v_readfirstlane_b32 s15, v34
	s_mul_i32 s28, s2, s11
	s_mul_hi_u32 s30, s2, s15
	s_mul_i32 s29, s3, s15
	s_add_i32 s28, s30, s28
	s_add_i32 s28, s28, s29
	s_mul_i32 s31, s2, s15
	s_mul_hi_u32 s29, s15, s28
	s_mul_i32 s30, s15, s28
	s_mul_hi_u32 s15, s15, s31
	s_add_u32 s15, s15, s30
	s_addc_u32 s29, 0, s29
	s_mul_hi_u32 s33, s11, s31
	s_mul_i32 s31, s11, s31
	s_add_u32 s15, s15, s31
	s_mul_hi_u32 s30, s11, s28
	s_addc_u32 s15, s29, s33
	s_addc_u32 s29, s30, 0
	s_mul_i32 s28, s11, s28
	s_add_u32 s15, s15, s28
	s_addc_u32 s28, 0, s29
	v_add_co_u32_e32 v34, vcc, s15, v34
	s_cmp_lg_u64 vcc, 0
	s_addc_u32 s11, s11, s28
	v_readfirstlane_b32 s28, v34
	s_mul_i32 s15, s2, s11
	s_mul_hi_u32 s29, s2, s28
	s_add_i32 s15, s29, s15
	s_mul_i32 s3, s3, s28
	s_add_i32 s15, s15, s3
	s_mul_i32 s2, s2, s28
	s_mul_hi_u32 s29, s11, s2
	s_mul_i32 s30, s11, s2
	s_mul_i32 s33, s28, s15
	s_mul_hi_u32 s2, s28, s2
	s_mul_hi_u32 s31, s28, s15
	s_add_u32 s2, s2, s33
	s_addc_u32 s28, 0, s31
	s_add_u32 s2, s2, s30
	s_mul_hi_u32 s3, s11, s15
	s_addc_u32 s2, s28, s29
	s_addc_u32 s3, s3, 0
	s_mul_i32 s15, s11, s15
	s_add_u32 s2, s2, s15
	s_addc_u32 s3, 0, s3
	v_add_co_u32_e32 v34, vcc, s2, v34
	s_cmp_lg_u64 vcc, 0
	s_addc_u32 s11, s11, s3
	s_ashr_i32 s28, s21, 31
	s_add_u32 s2, s20, s28
	s_mov_b32 s29, s28
	s_addc_u32 s3, s21, s28
	s_xor_b64 s[30:31], s[2:3], s[28:29]
	v_readfirstlane_b32 s15, v34
	s_mul_i32 s3, s30, s11
	s_mul_hi_u32 s21, s30, s15
	s_mul_hi_u32 s2, s30, s11
	s_add_u32 s3, s21, s3
	s_addc_u32 s2, 0, s2
	s_mul_hi_u32 s33, s31, s15
	s_mul_i32 s15, s31, s15
	s_add_u32 s3, s3, s15
	s_mul_hi_u32 s21, s31, s11
	s_addc_u32 s2, s2, s33
	s_addc_u32 s3, s21, 0
	s_mul_i32 s11, s31, s11
	s_add_u32 s11, s2, s11
	s_addc_u32 s15, 0, s3
	s_mul_i32 s2, s26, s15
	s_mul_hi_u32 s3, s26, s11
	s_add_i32 s2, s3, s2
	s_mul_i32 s3, s27, s11
	s_add_i32 s21, s2, s3
	s_mul_i32 s3, s26, s11
	v_mov_b32_e32 v34, s3
	s_sub_i32 s2, s31, s21
	v_sub_co_u32_e32 v34, vcc, s30, v34
	s_cmp_lg_u64 vcc, 0
	s_subb_u32 s30, s2, s27
	v_subrev_co_u32_e64 v35, s[2:3], s26, v34
	s_cmp_lg_u64 s[2:3], 0
	s_subb_u32 s30, s30, 0
	s_cmp_ge_u32 s30, s27
	s_cselect_b32 s33, -1, 0
	v_cmp_le_u32_e64 s[2:3], s26, v35
	s_cmp_eq_u32 s30, s27
	v_cndmask_b32_e64 v35, 0, -1, s[2:3]
	v_mov_b32_e32 v39, s33
	s_cselect_b64 s[2:3], -1, 0
	v_cndmask_b32_e64 v35, v39, v35, s[2:3]
	s_add_u32 s2, s11, 1
	s_addc_u32 s30, s15, 0
	s_add_u32 s3, s11, 2
	s_addc_u32 s33, s15, 0
	v_mov_b32_e32 v39, s2
	v_mov_b32_e32 v40, s3
	v_cmp_ne_u32_e64 s[2:3], 0, v35
	v_cndmask_b32_e64 v35, v39, v40, s[2:3]
	v_mov_b32_e32 v39, s30
	v_mov_b32_e32 v40, s33
	s_cmp_lg_u64 vcc, 0
	v_cndmask_b32_e64 v39, v39, v40, s[2:3]
	s_subb_u32 s2, s31, s21
	s_cmp_ge_u32 s2, s27
	s_cselect_b32 s3, -1, 0
	v_cmp_le_u32_e32 vcc, s26, v34
	s_cmp_eq_u32 s2, s27
	v_cndmask_b32_e64 v34, 0, -1, vcc
	v_mov_b32_e32 v40, s3
	s_cselect_b64 vcc, -1, 0
	v_cndmask_b32_e32 v34, v40, v34, vcc
	v_mov_b32_e32 v40, s15
	v_cmp_ne_u32_e32 vcc, 0, v34
	v_cndmask_b32_e32 v34, v40, v39, vcc
	v_mov_b32_e32 v39, s11
	v_cndmask_b32_e32 v35, v39, v35, vcc
	s_xor_b64 s[2:3], s[28:29], s[24:25]
	v_xor_b32_e32 v35, s2, v35
	v_xor_b32_e32 v39, s3, v34
	v_mov_b32_e32 v40, s3
	v_subrev_co_u32_e32 v34, vcc, s2, v35
	v_subb_co_u32_e32 v35, vcc, v39, v40, vcc
	s_cbranch_execnz .LBB86_38
.LBB86_37:
	v_cvt_f32_u32_e32 v34, s14
	s_sub_i32 s2, 0, s14
	s_mov_b32 s3, 0
	v_rcp_iflag_f32_e32 v34, v34
	v_mul_f32_e32 v34, 0x4f7ffffe, v34
	v_cvt_u32_f32_e32 v34, v34
	v_readfirstlane_b32 s11, v34
	s_mul_i32 s2, s2, s11
	s_mul_hi_u32 s2, s11, s2
	s_add_i32 s11, s11, s2
	s_mul_hi_u32 s2, s20, s11
	s_mul_i32 s15, s2, s14
	s_sub_i32 s15, s20, s15
	s_add_i32 s11, s2, 1
	s_sub_i32 s20, s15, s14
	s_cmp_ge_u32 s15, s14
	s_cselect_b32 s2, s11, s2
	s_cselect_b32 s15, s20, s15
	s_add_i32 s11, s2, 1
	s_cmp_ge_u32 s15, s14
	s_cselect_b32 s2, s11, s2
	v_pk_mov_b32 v[34:35], s[2:3], s[2:3] op_sel:[0,1]
.LBB86_38:
	v_add_co_u32_e32 v34, vcc, v34, v38
	v_addc_co_u32_e32 v35, vcc, 0, v35, vcc
	s_branch .LBB86_41
.LBB86_39:
                                        ; implicit-def: $vgpr34_vgpr35
	s_cbranch_execz .LBB86_41
; %bb.40:
	v_mul_lo_u32 v34, v38, s8
	v_ashrrev_i32_e32 v35, 31, v34
	v_mov_b32_e32 v38, s7
	v_add_co_u32_e32 v34, vcc, s6, v34
	v_addc_co_u32_e32 v35, vcc, v35, v38, vcc
.LBB86_41:
	s_mov_b64 s[2:3], exec
.LBB86_42:
	s_or_b64 exec, exec, s[18:19]
	s_and_b64 vcc, exec, s[16:17]
	s_cbranch_vccz .LBB86_46
.LBB86_43:
	v_mov_b32_dpp v34, v36 quad_perm:[1,0,3,2] row_mask:0xf bank_mask:0xf
	v_cmp_gt_f32_e32 vcc, v36, v34
	v_cndmask_b32_e32 v34, v34, v36, vcc
	s_nop 1
	v_mov_b32_dpp v35, v34 quad_perm:[2,3,0,1] row_mask:0xf bank_mask:0xf
	v_cmp_gt_f32_e32 vcc, v34, v35
	v_cndmask_b32_e32 v34, v35, v34, vcc
	s_nop 1
	v_mov_b32_dpp v35, v34 row_half_mirror row_mask:0xf bank_mask:0xf
	v_cmp_gt_f32_e32 vcc, v34, v35
	v_cndmask_b32_e32 v34, v35, v34, vcc
	s_nop 1
	v_mov_b32_dpp v35, v34 row_mirror row_mask:0xf bank_mask:0xf
	v_cmp_gt_f32_e32 vcc, v34, v35
	v_cndmask_b32_e32 v34, v35, v34, vcc
	s_nop 1
	v_mov_b32_dpp v35, v34 row_bcast:15 row_mask:0xf bank_mask:0xf
	v_cmp_gt_f32_e32 vcc, v34, v35
	v_cndmask_b32_e32 v34, v35, v34, vcc
	s_nop 1
	v_mov_b32_dpp v35, v34 row_bcast:31 row_mask:0xf bank_mask:0xf
	s_and_saveexec_b64 s[2:3], s[0:1]
	s_cbranch_execz .LBB86_45
; %bb.44:
	v_lshrrev_b32_e32 v36, 4, v0
	v_cmp_gt_f32_e32 vcc, v34, v35
	v_and_b32_e32 v36, 60, v36
	v_cndmask_b32_e32 v34, v35, v34, vcc
	ds_write_b32 v36, v34
.LBB86_45:
	s_or_b64 exec, exec, s[2:3]
	s_waitcnt lgkmcnt(0)
	s_barrier
	ds_read_b32 v1, v1
	v_cmp_eq_u32_e64 s[2:3], 0, v0
	s_waitcnt lgkmcnt(0)
	v_mov_b32_dpp v34, v1 quad_perm:[1,0,3,2] row_mask:0xf bank_mask:0xf
	v_cmp_gt_f32_e32 vcc, v1, v34
	v_cndmask_b32_e32 v1, v34, v1, vcc
	s_nop 1
	v_mov_b32_dpp v34, v1 quad_perm:[2,3,0,1] row_mask:0xf bank_mask:0xf
	v_cmp_gt_f32_e32 vcc, v1, v34
	v_cndmask_b32_e32 v1, v34, v1, vcc
	v_mul_f32_e32 v37, 0x3b124925, v1
	v_pk_mov_b32 v[34:35], s[6:7], s[6:7] op_sel:[0,1]
.LBB86_46:
	s_and_saveexec_b64 s[0:1], s[2:3]
	s_cbranch_execz .LBB86_48
; %bb.47:
	v_lshlrev_b64 v[0:1], 2, v[34:35]
	v_mov_b32_e32 v34, s13
	v_add_co_u32_e32 v0, vcc, s12, v0
	v_addc_co_u32_e32 v1, vcc, v34, v1, vcc
	global_store_dword v[0:1], v37, off
.LBB86_48:
	s_or_b64 exec, exec, s[0:1]
	s_add_i32 s2, s9, 3
	s_load_dwordx2 s[0:1], s[4:5], 0x0
	s_ashr_i32 s3, s2, 31
	s_lshr_b32 s3, s3, 30
	;;#ASMSTART
	v_rcp_f32 v0, v37
	;;#ASMEND
	v_mov_b32_e32 v1, v0
	;;#ASMSTART
	v_pk_mul_f32 v[32:33], v[32:33], v[0:1]
	;;#ASMEND
	s_add_i32 s2, s2, s3
	s_ashr_i32 s3, s10, 31
	v_mov_b32_e32 v34, 0xc3e00000
	v_mov_b32_e32 v35, 0x43e00000
	;;#ASMSTART
	v_med3_f32 v32, v32, v34, v35
v_med3_f32 v33, v33, v34, v35
v_cvt_pk_fp8_f32 v36, v32, v33
	;;#ASMEND
	;;#ASMSTART
	v_pk_mul_f32 v[30:31], v[30:31], v[0:1]
	;;#ASMEND
	s_mul_hi_u32 s4, s10, s6
	s_mul_i32 s3, s3, s6
	;;#ASMSTART
	v_med3_f32 v30, v30, v34, v35
v_med3_f32 v31, v31, v34, v35
v_cvt_pk_fp8_f32 v32, v30, v31
	;;#ASMEND
	s_mov_b32 s5, 0x5040100
	s_and_b32 s2, s2, -4
	s_add_i32 s4, s4, s3
	s_mul_i32 s3, s10, s6
	v_perm_b32 v31, v32, v36, s5
	s_movk_i32 s6, 0xff
	s_waitcnt lgkmcnt(0)
	s_add_u32 s0, s0, s3
	v_and_b32_e32 v30, 0xffffff00, v32
	v_and_b32_sdwa v32, v31, s6 dst_sel:DWORD dst_unused:UNUSED_PAD src0_sel:WORD_1 src1_sel:DWORD
	s_addc_u32 s1, s1, s4
	s_mov_b32 s4, 0xffff
	v_or_b32_sdwa v30, v32, v30 dst_sel:WORD_1 dst_unused:UNUSED_PAD src0_sel:DWORD src1_sel:DWORD
	;;#ASMSTART
	v_pk_mul_f32 v[28:29], v[28:29], v[0:1]
	;;#ASMEND
	v_and_or_b32 v30, v31, s4, v30
	;;#ASMSTART
	v_med3_f32 v28, v28, v34, v35
v_med3_f32 v29, v29, v34, v35
v_cvt_pk_fp8_f32 v31, v28, v29
	;;#ASMEND
	;;#ASMSTART
	v_pk_mul_f32 v[24:25], v[24:25], v[0:1]
	;;#ASMEND
	;;#ASMSTART
	v_med3_f32 v24, v24, v34, v35
v_med3_f32 v25, v25, v34, v35
v_cvt_pk_fp8_f32 v28, v24, v25
	;;#ASMEND
	v_lshlrev_b32_e32 v24, 16, v28
	s_and_b32 s1, s1, 0xffff
	s_mov_b32 s3, 0x20000
	v_and_or_b32 v31, v31, s4, v24
	buffer_store_dwordx2 v[30:31], v52, s[0:3], 0 offen
	;;#ASMSTART
	s_nop 0
	;;#ASMEND
	;;#ASMSTART
	v_pk_mul_f32 v[24:25], v[26:27], v[0:1]
	;;#ASMEND
	;;#ASMSTART
	v_med3_f32 v24, v24, v34, v35
v_med3_f32 v25, v25, v34, v35
v_cvt_pk_fp8_f32 v26, v24, v25
	;;#ASMEND
	;;#ASMSTART
	v_pk_mul_f32 v[22:23], v[22:23], v[0:1]
	;;#ASMEND
	;;#ASMSTART
	v_med3_f32 v22, v22, v34, v35
v_med3_f32 v23, v23, v34, v35
v_cvt_pk_fp8_f32 v24, v22, v23
	;;#ASMEND
	v_perm_b32 v23, v24, v26, s5
	v_and_b32_e32 v22, 0xffffff00, v24
	v_and_b32_sdwa v24, v23, s6 dst_sel:DWORD dst_unused:UNUSED_PAD src0_sel:WORD_1 src1_sel:DWORD
	v_or_b32_sdwa v22, v24, v22 dst_sel:WORD_1 dst_unused:UNUSED_PAD src0_sel:DWORD src1_sel:DWORD
	;;#ASMSTART
	v_pk_mul_f32 v[20:21], v[20:21], v[0:1]
	;;#ASMEND
	v_and_or_b32 v22, v23, s4, v22
	;;#ASMSTART
	v_med3_f32 v20, v20, v34, v35
v_med3_f32 v21, v21, v34, v35
v_cvt_pk_fp8_f32 v23, v20, v21
	;;#ASMEND
	;;#ASMSTART
	v_pk_mul_f32 v[16:17], v[16:17], v[0:1]
	;;#ASMEND
	;;#ASMSTART
	v_med3_f32 v16, v16, v34, v35
v_med3_f32 v17, v17, v34, v35
v_cvt_pk_fp8_f32 v20, v16, v17
	;;#ASMEND
	v_lshlrev_b32_e32 v16, 16, v20
	v_and_or_b32 v23, v23, s4, v16
	s_movk_i32 s7, 0x200
	buffer_store_dwordx2 v[22:23], v52, s[0:3], s7 offen
	;;#ASMSTART
	s_nop 0
	;;#ASMEND
	;;#ASMSTART
	v_pk_mul_f32 v[16:17], v[18:19], v[0:1]
	;;#ASMEND
	;;#ASMSTART
	v_med3_f32 v16, v16, v34, v35
v_med3_f32 v17, v17, v34, v35
v_cvt_pk_fp8_f32 v18, v16, v17
	;;#ASMEND
	;;#ASMSTART
	v_pk_mul_f32 v[14:15], v[14:15], v[0:1]
	;;#ASMEND
	;;#ASMSTART
	v_med3_f32 v14, v14, v34, v35
v_med3_f32 v15, v15, v34, v35
v_cvt_pk_fp8_f32 v16, v14, v15
	;;#ASMEND
	v_perm_b32 v15, v16, v18, s5
	v_and_b32_e32 v14, 0xffffff00, v16
	v_and_b32_sdwa v16, v15, s6 dst_sel:DWORD dst_unused:UNUSED_PAD src0_sel:WORD_1 src1_sel:DWORD
	v_or_b32_sdwa v14, v16, v14 dst_sel:WORD_1 dst_unused:UNUSED_PAD src0_sel:DWORD src1_sel:DWORD
	;;#ASMSTART
	v_pk_mul_f32 v[12:13], v[12:13], v[0:1]
	;;#ASMEND
	v_and_or_b32 v14, v15, s4, v14
	;;#ASMSTART
	v_med3_f32 v12, v12, v34, v35
v_med3_f32 v13, v13, v34, v35
v_cvt_pk_fp8_f32 v15, v12, v13
	;;#ASMEND
	;;#ASMSTART
	v_pk_mul_f32 v[8:9], v[8:9], v[0:1]
	;;#ASMEND
	;;#ASMSTART
	v_med3_f32 v8, v8, v34, v35
v_med3_f32 v9, v9, v34, v35
v_cvt_pk_fp8_f32 v12, v8, v9
	;;#ASMEND
	v_lshlrev_b32_e32 v8, 16, v12
	v_and_or_b32 v15, v15, s4, v8
	s_movk_i32 s7, 0x400
	buffer_store_dwordx2 v[14:15], v52, s[0:3], s7 offen
	;;#ASMSTART
	s_nop 0
	;;#ASMEND
	;;#ASMSTART
	v_pk_mul_f32 v[8:9], v[10:11], v[0:1]
	;;#ASMEND
	;;#ASMSTART
	v_med3_f32 v8, v8, v34, v35
v_med3_f32 v9, v9, v34, v35
v_cvt_pk_fp8_f32 v10, v8, v9
	;;#ASMEND
	;;#ASMSTART
	v_pk_mul_f32 v[6:7], v[6:7], v[0:1]
	;;#ASMEND
	;;#ASMSTART
	v_med3_f32 v6, v6, v34, v35
v_med3_f32 v7, v7, v34, v35
v_cvt_pk_fp8_f32 v8, v6, v7
	;;#ASMEND
	v_perm_b32 v7, v8, v10, s5
	v_and_b32_e32 v6, 0xffffff00, v8
	v_and_b32_sdwa v8, v7, s6 dst_sel:DWORD dst_unused:UNUSED_PAD src0_sel:WORD_1 src1_sel:DWORD
	v_or_b32_sdwa v6, v8, v6 dst_sel:WORD_1 dst_unused:UNUSED_PAD src0_sel:DWORD src1_sel:DWORD
	;;#ASMSTART
	v_pk_mul_f32 v[4:5], v[4:5], v[0:1]
	;;#ASMEND
	v_and_or_b32 v6, v7, s4, v6
	;;#ASMSTART
	v_med3_f32 v4, v4, v34, v35
v_med3_f32 v5, v5, v34, v35
v_cvt_pk_fp8_f32 v7, v4, v5
	;;#ASMEND
	;;#ASMSTART
	v_pk_mul_f32 v[0:1], v[2:3], v[0:1]
	;;#ASMEND
	;;#ASMSTART
	v_med3_f32 v0, v0, v34, v35
v_med3_f32 v1, v1, v34, v35
v_cvt_pk_fp8_f32 v2, v0, v1
	;;#ASMEND
	v_lshlrev_b32_e32 v0, 16, v2
	v_and_or_b32 v7, v7, s4, v0
	s_movk_i32 s4, 0x600
	buffer_store_dwordx2 v[6:7], v52, s[0:3], s4 offen
	;;#ASMSTART
	s_nop 0
	;;#ASMEND
.LBB86_49:
	s_endpgm
.LBB86_50:
                                        ; implicit-def: $vgpr34_vgpr35
	s_branch .LBB86_37
	.section	.rodata,"a",@progbits
	.p2align	6, 0x0
	.amdhsa_kernel _ZN5aiter24add_rmsnorm_quant_kernelItDB8_Li256ELi32ELb0ELb1ELb1ELi1EEEvPT0_PT_PfS5_S5_S5_diiiiiiib
		.amdhsa_group_segment_fixed_size 32
		.amdhsa_private_segment_fixed_size 0
		.amdhsa_kernarg_size 88
		.amdhsa_user_sgpr_count 6
		.amdhsa_user_sgpr_private_segment_buffer 1
		.amdhsa_user_sgpr_dispatch_ptr 0
		.amdhsa_user_sgpr_queue_ptr 0
		.amdhsa_user_sgpr_kernarg_segment_ptr 1
		.amdhsa_user_sgpr_dispatch_id 0
		.amdhsa_user_sgpr_flat_scratch_init 0
		.amdhsa_user_sgpr_kernarg_preload_length 0
		.amdhsa_user_sgpr_kernarg_preload_offset 0
		.amdhsa_user_sgpr_private_segment_size 0
		.amdhsa_uses_dynamic_stack 0
		.amdhsa_system_sgpr_private_segment_wavefront_offset 0
		.amdhsa_system_sgpr_workgroup_id_x 1
		.amdhsa_system_sgpr_workgroup_id_y 0
		.amdhsa_system_sgpr_workgroup_id_z 0
		.amdhsa_system_sgpr_workgroup_info 0
		.amdhsa_system_vgpr_workitem_id 0
		.amdhsa_next_free_vgpr 68
		.amdhsa_next_free_sgpr 34
		.amdhsa_accum_offset 68
		.amdhsa_reserve_vcc 1
		.amdhsa_reserve_flat_scratch 0
		.amdhsa_float_round_mode_32 0
		.amdhsa_float_round_mode_16_64 0
		.amdhsa_float_denorm_mode_32 3
		.amdhsa_float_denorm_mode_16_64 3
		.amdhsa_dx10_clamp 1
		.amdhsa_ieee_mode 1
		.amdhsa_fp16_overflow 0
		.amdhsa_tg_split 0
		.amdhsa_exception_fp_ieee_invalid_op 0
		.amdhsa_exception_fp_denorm_src 0
		.amdhsa_exception_fp_ieee_div_zero 0
		.amdhsa_exception_fp_ieee_overflow 0
		.amdhsa_exception_fp_ieee_underflow 0
		.amdhsa_exception_fp_ieee_inexact 0
		.amdhsa_exception_int_div_zero 0
	.end_amdhsa_kernel
	.section	.text._ZN5aiter24add_rmsnorm_quant_kernelItDB8_Li256ELi32ELb0ELb1ELb1ELi1EEEvPT0_PT_PfS5_S5_S5_diiiiiiib,"axG",@progbits,_ZN5aiter24add_rmsnorm_quant_kernelItDB8_Li256ELi32ELb0ELb1ELb1ELi1EEEvPT0_PT_PfS5_S5_S5_diiiiiiib,comdat
.Lfunc_end86:
	.size	_ZN5aiter24add_rmsnorm_quant_kernelItDB8_Li256ELi32ELb0ELb1ELb1ELi1EEEvPT0_PT_PfS5_S5_S5_diiiiiiib, .Lfunc_end86-_ZN5aiter24add_rmsnorm_quant_kernelItDB8_Li256ELi32ELb0ELb1ELb1ELi1EEEvPT0_PT_PfS5_S5_S5_diiiiiiib
                                        ; -- End function
	.section	.AMDGPU.csdata,"",@progbits
; Kernel info:
; codeLenInByte = 4948
; NumSgprs: 38
; NumVgprs: 68
; NumAgprs: 0
; TotalNumVgprs: 68
; ScratchSize: 0
; MemoryBound: 0
; FloatMode: 240
; IeeeMode: 1
; LDSByteSize: 32 bytes/workgroup (compile time only)
; SGPRBlocks: 4
; VGPRBlocks: 8
; NumSGPRsForWavesPerEU: 38
; NumVGPRsForWavesPerEU: 68
; AccumOffset: 68
; Occupancy: 7
; WaveLimiterHint : 0
; COMPUTE_PGM_RSRC2:SCRATCH_EN: 0
; COMPUTE_PGM_RSRC2:USER_SGPR: 6
; COMPUTE_PGM_RSRC2:TRAP_HANDLER: 0
; COMPUTE_PGM_RSRC2:TGID_X_EN: 1
; COMPUTE_PGM_RSRC2:TGID_Y_EN: 0
; COMPUTE_PGM_RSRC2:TGID_Z_EN: 0
; COMPUTE_PGM_RSRC2:TIDIG_COMP_CNT: 0
; COMPUTE_PGM_RSRC3_GFX90A:ACCUM_OFFSET: 16
; COMPUTE_PGM_RSRC3_GFX90A:TG_SPLIT: 0
	.section	.text._ZN5aiter24add_rmsnorm_quant_kernelIDF16_DB8_Li256ELi32ELb0ELb1ELb0ELi1EEEvPT0_PT_PfS5_S5_S5_diiiiiiib,"axG",@progbits,_ZN5aiter24add_rmsnorm_quant_kernelIDF16_DB8_Li256ELi32ELb0ELb1ELb0ELi1EEEvPT0_PT_PfS5_S5_S5_diiiiiiib,comdat
	.protected	_ZN5aiter24add_rmsnorm_quant_kernelIDF16_DB8_Li256ELi32ELb0ELb1ELb0ELi1EEEvPT0_PT_PfS5_S5_S5_diiiiiiib ; -- Begin function _ZN5aiter24add_rmsnorm_quant_kernelIDF16_DB8_Li256ELi32ELb0ELb1ELb0ELi1EEEvPT0_PT_PfS5_S5_S5_diiiiiiib
	.globl	_ZN5aiter24add_rmsnorm_quant_kernelIDF16_DB8_Li256ELi32ELb0ELb1ELb0ELi1EEEvPT0_PT_PfS5_S5_S5_diiiiiiib
	.p2align	8
	.type	_ZN5aiter24add_rmsnorm_quant_kernelIDF16_DB8_Li256ELi32ELb0ELb1ELb0ELi1EEEvPT0_PT_PfS5_S5_S5_diiiiiiib,@function
_ZN5aiter24add_rmsnorm_quant_kernelIDF16_DB8_Li256ELi32ELb0ELb1ELb0ELi1EEEvPT0_PT_PfS5_S5_S5_diiiiiiib: ; @_ZN5aiter24add_rmsnorm_quant_kernelIDF16_DB8_Li256ELi32ELb0ELb1ELb0ELi1EEEvPT0_PT_PfS5_S5_S5_diiiiiiib
; %bb.0:
	s_load_dwordx4 s[8:11], s[4:5], 0x38
	s_mov_b32 s7, 0
	s_waitcnt lgkmcnt(0)
	s_ashr_i32 s0, s8, 31
	v_mov_b32_e32 v2, s8
	v_mov_b32_e32 v3, s0
	v_cmp_ge_i64_e32 vcc, s[6:7], v[2:3]
	s_cbranch_vccnz .LBB87_49
; %bb.1:
	s_load_dwordx4 s[12:15], s[4:5], 0x10
	s_load_dwordx4 s[0:3], s[4:5], 0x28
	s_ashr_i32 s11, s10, 31
	s_mul_hi_u32 s16, s10, s6
	s_mul_i32 s11, s11, s6
	s_add_i32 s11, s16, s11
	s_mul_i32 s10, s10, s6
	s_lshl_b64 s[10:11], s[10:11], 1
	s_waitcnt lgkmcnt(0)
	s_add_u32 s16, s14, s10
	s_addc_u32 s10, s15, s11
	s_add_i32 s11, s9, 1
	s_lshr_b32 s14, s11, 31
	s_add_i32 s11, s11, s14
	s_lshl_b32 s11, s11, 1
	s_and_b32 s18, s11, -4
	s_and_b32 s17, s10, 0xffff
	s_mov_b32 s19, 0x20000
	v_lshlrev_b32_e32 v1, 6, v0
	buffer_load_dwordx4 v[30:33], v1, s[16:19], 0 offen
	buffer_load_dwordx4 v[26:29], v1, s[16:19], 16 offen
	;; [unrolled: 1-line block ×4, first 2 shown]
	s_mov_b32 s16, s0
	s_and_b32 s17, s1, 0xffff
	buffer_load_dwordx4 v[14:17], v1, s[16:19], 0 offen
	buffer_load_dwordx4 v[10:13], v1, s[16:19], 16 offen
	buffer_load_dwordx4 v[6:9], v1, s[16:19], 32 offen
	buffer_load_dwordx4 v[2:5], v1, s[16:19], 48 offen
	v_and_b32_e32 v60, 63, v0
	v_cmp_eq_u32_e64 s[0:1], 63, v60
	s_waitcnt vmcnt(7)
	v_cvt_f32_f16_e32 v50, v30
	v_cvt_f32_f16_sdwa v51, v30 dst_sel:DWORD dst_unused:UNUSED_PAD src0_sel:WORD_1
	v_cvt_f32_f16_e32 v48, v31
	v_cvt_f32_f16_sdwa v49, v31 dst_sel:DWORD dst_unused:UNUSED_PAD src0_sel:WORD_1
	v_cvt_f32_f16_e32 v46, v32
	v_cvt_f32_f16_sdwa v47, v32 dst_sel:DWORD dst_unused:UNUSED_PAD src0_sel:WORD_1
	v_cvt_f32_f16_e32 v44, v33
	v_cvt_f32_f16_sdwa v45, v33 dst_sel:DWORD dst_unused:UNUSED_PAD src0_sel:WORD_1
	s_waitcnt vmcnt(6)
	v_cvt_f32_f16_e32 v42, v26
	v_cvt_f32_f16_sdwa v43, v26 dst_sel:DWORD dst_unused:UNUSED_PAD src0_sel:WORD_1
	v_cvt_f32_f16_e32 v40, v27
	v_cvt_f32_f16_sdwa v41, v27 dst_sel:DWORD dst_unused:UNUSED_PAD src0_sel:WORD_1
	v_cvt_f32_f16_e32 v38, v28
	v_cvt_f32_f16_sdwa v39, v28 dst_sel:DWORD dst_unused:UNUSED_PAD src0_sel:WORD_1
	v_cvt_f32_f16_e32 v36, v29
	v_cvt_f32_f16_sdwa v37, v29 dst_sel:DWORD dst_unused:UNUSED_PAD src0_sel:WORD_1
	;; [unrolled: 9-line block ×4, first 2 shown]
	v_pk_mul_f32 v[20:21], v[50:51], v[50:51]
	v_pk_mul_f32 v[52:53], v[48:49], v[48:49]
	v_add_f32_e32 v1, v20, v21
	v_add_f32_e32 v1, v52, v1
	v_pk_mul_f32 v[54:55], v[46:47], v[46:47]
	v_add_f32_e32 v1, v53, v1
	v_add_f32_e32 v1, v54, v1
	;; [unrolled: 3-line block ×15, first 2 shown]
	v_add_f32_e32 v1, v55, v1
	s_nop 1
	v_mov_b32_dpp v20, v1 quad_perm:[1,0,3,2] row_mask:0xf bank_mask:0xf
	v_add_f32_e32 v1, v1, v20
	s_nop 1
	v_mov_b32_dpp v20, v1 quad_perm:[2,3,0,1] row_mask:0xf bank_mask:0xf
	v_add_f32_e32 v1, v1, v20
	s_nop 1
	v_mov_b32_dpp v20, v1 row_half_mirror row_mask:0xf bank_mask:0xf
	v_add_f32_e32 v1, v1, v20
	s_nop 1
	v_mov_b32_dpp v20, v1 row_mirror row_mask:0xf bank_mask:0xf
	v_add_f32_e32 v1, v1, v20
	s_nop 1
	v_mov_b32_dpp v20, v1 row_bcast:15 row_mask:0xf bank_mask:0xf
	v_add_f32_e32 v1, v1, v20
	s_nop 1
	v_mov_b32_dpp v20, v1 row_bcast:31 row_mask:0xf bank_mask:0xf
	s_and_saveexec_b64 s[10:11], s[0:1]
	s_cbranch_execz .LBB87_3
; %bb.2:
	v_lshrrev_b32_e32 v21, 4, v0
	v_and_b32_e32 v21, 60, v21
	v_add_f32_e32 v1, v1, v20
	ds_write_b32 v21, v1 offset:16
.LBB87_3:
	s_or_b64 exec, exec, s[10:11]
	v_and_b32_e32 v1, 3, v0
	v_lshlrev_b32_e32 v1, 2, v1
	s_waitcnt lgkmcnt(0)
	s_barrier
	ds_read_b32 v20, v1 offset:16
	v_cvt_f32_i32_e32 v21, s9
	s_waitcnt lgkmcnt(0)
	v_mov_b32_dpp v52, v20 quad_perm:[1,0,3,2] row_mask:0xf bank_mask:0xf
	v_add_f32_e32 v20, v20, v52
	s_nop 1
	v_mov_b32_dpp v52, v20 quad_perm:[2,3,0,1] row_mask:0xf bank_mask:0xf
	v_add_f32_e32 v20, v20, v52
	v_div_scale_f32 v52, s[10:11], v21, v21, v20
	v_rcp_f32_e32 v53, v52
	v_div_scale_f32 v54, vcc, v20, v21, v20
	s_load_dwordx2 s[10:11], s[4:5], 0x4c
	s_load_dword s14, s[4:5], 0x54
	v_fma_f32 v55, -v52, v53, 1.0
	v_fmac_f32_e32 v53, v55, v53
	v_mul_f32_e32 v55, v54, v53
	v_fma_f32 v56, -v52, v55, v54
	v_fmac_f32_e32 v55, v56, v53
	v_fma_f32 v52, -v52, v55, v54
	v_div_fmas_f32 v52, v52, v53, v55
	v_div_fixup_f32 v20, v52, v21, v20
	v_cvt_f64_f32_e32 v[20:21], v20
	v_add_f64 v[20:21], v[20:21], s[2:3]
	v_cvt_f32_f64_e32 v20, v[20:21]
	s_mov_b32 s2, 0x800000
	v_mul_f32_e32 v21, 0x4b800000, v20
	v_cmp_gt_f32_e32 vcc, s2, v20
	v_cndmask_b32_e32 v20, v20, v21, vcc
	v_rsq_f32_e32 v20, v20
	v_lshlrev_b32_e32 v52, 5, v0
	s_waitcnt lgkmcnt(0)
	s_cmp_lg_u32 s11, 0
	v_mul_f32_e32 v21, 0x45800000, v20
	v_cndmask_b32_e32 v20, v20, v21, vcc
	v_mov_b32_e32 v21, v20
	;;#ASMSTART
	v_pk_mul_f32 v[50:51], v[50:51], v[20:21]
	;;#ASMEND
	;;#ASMSTART
	v_pk_mul_f32 v[48:49], v[48:49], v[20:21]
	;;#ASMEND
	;; [unrolled: 3-line block ×16, first 2 shown]
	s_waitcnt vmcnt(3)
	v_cvt_f32_f16_sdwa v19, v14 dst_sel:DWORD dst_unused:UNUSED_PAD src0_sel:WORD_1
	v_cvt_f32_f16_e32 v18, v14
	v_cvt_f32_f16_sdwa v21, v15 dst_sel:DWORD dst_unused:UNUSED_PAD src0_sel:WORD_1
	v_cvt_f32_f16_e32 v20, v15
	;; [unrolled: 2-line block ×4, first 2 shown]
	;;#ASMSTART
	v_pk_mul_f32 v[32:33], v[50:51], v[18:19]
	;;#ASMEND
	;;#ASMSTART
	v_pk_mul_f32 v[30:31], v[48:49], v[20:21]
	;;#ASMEND
	;; [unrolled: 3-line block ×3, first 2 shown]
	s_waitcnt vmcnt(2)
	v_cvt_f32_f16_sdwa v15, v10 dst_sel:DWORD dst_unused:UNUSED_PAD src0_sel:WORD_1
	v_cvt_f32_f16_e32 v14, v10
	v_cvt_f32_f16_sdwa v17, v11 dst_sel:DWORD dst_unused:UNUSED_PAD src0_sel:WORD_1
	v_cvt_f32_f16_e32 v16, v11
	;; [unrolled: 2-line block ×3, first 2 shown]
	;;#ASMSTART
	v_pk_mul_f32 v[22:23], v[44:45], v[22:23]
	;;#ASMEND
	v_cvt_f32_f16_sdwa v19, v13 dst_sel:DWORD dst_unused:UNUSED_PAD src0_sel:WORD_1
	v_cvt_f32_f16_e32 v18, v13
	;;#ASMSTART
	v_pk_mul_f32 v[28:29], v[42:43], v[14:15]
	;;#ASMEND
	;;#ASMSTART
	v_pk_mul_f32 v[24:25], v[40:41], v[16:17]
	;;#ASMEND
	;; [unrolled: 3-line block ×4, first 2 shown]
	s_waitcnt vmcnt(1)
	v_cvt_f32_f16_sdwa v11, v6 dst_sel:DWORD dst_unused:UNUSED_PAD src0_sel:WORD_1
	v_cvt_f32_f16_e32 v10, v6
	v_cvt_f32_f16_sdwa v13, v7 dst_sel:DWORD dst_unused:UNUSED_PAD src0_sel:WORD_1
	v_cvt_f32_f16_e32 v12, v7
	;; [unrolled: 2-line block ×3, first 2 shown]
	v_cvt_f32_f16_e32 v36, v9
	v_cvt_f32_f16_sdwa v37, v9 dst_sel:DWORD dst_unused:UNUSED_PAD src0_sel:WORD_1
	;;#ASMSTART
	v_pk_mul_f32 v[18:19], v[34:35], v[10:11]
	;;#ASMEND
	;;#ASMSTART
	v_pk_mul_f32 v[14:15], v[54:55], v[12:13]
	;;#ASMEND
	;; [unrolled: 3-line block ×4, first 2 shown]
	s_waitcnt vmcnt(0)
	v_cvt_f32_f16_sdwa v9, v2 dst_sel:DWORD dst_unused:UNUSED_PAD src0_sel:WORD_1
	v_cvt_f32_f16_e32 v8, v2
	v_cvt_f32_f16_sdwa v35, v3 dst_sel:DWORD dst_unused:UNUSED_PAD src0_sel:WORD_1
	v_cvt_f32_f16_e32 v34, v3
	;; [unrolled: 2-line block ×3, first 2 shown]
	v_cvt_f32_f16_e32 v36, v5
	v_cvt_f32_f16_sdwa v37, v5 dst_sel:DWORD dst_unused:UNUSED_PAD src0_sel:WORD_1
	;;#ASMSTART
	v_pk_mul_f32 v[12:13], v[60:61], v[8:9]
	;;#ASMEND
	;;#ASMSTART
	v_pk_mul_f32 v[8:9], v[62:63], v[34:35]
	;;#ASMEND
	;;#ASMSTART
	v_pk_mul_f32 v[4:5], v[64:65], v[2:3]
	;;#ASMEND
	;;#ASMSTART
	v_pk_mul_f32 v[2:3], v[66:67], v[36:37]
	;;#ASMEND
	v_and_b32_e32 v34, 0x7fffffff, v32
	v_mov_b32_e32 v36, 0x2edbe6ff
	v_and_b32_e32 v35, 0x7fffffff, v33
	;;#ASMSTART
	v_max3_f32 v34, v36, v34, v35

	;;#ASMEND
	v_and_b32_e32 v36, 0x7fffffff, v31
	v_and_b32_e32 v35, 0x7fffffff, v30
	;;#ASMSTART
	v_max3_f32 v34, v34, v35, v36

	;;#ASMEND
	v_and_b32_e32 v36, 0x7fffffff, v27
	;; [unrolled: 6-line block ×15, first 2 shown]
	v_and_b32_e32 v35, 0x7fffffff, v2
	;;#ASMSTART
	v_max3_f32 v36, v34, v35, v36

	;;#ASMEND
	s_cbranch_scc0 .LBB87_10
; %bb.4:
	s_ashr_i32 s15, s11, 31
	s_lshr_b32 s2, s15, 27
	s_add_i32 s2, s11, s2
	s_ashr_i32 s18, s2, 5
	s_cmp_lt_i32 s18, 16
	s_cbranch_scc1 .LBB87_11
; %bb.5:
	s_cmp_lt_i32 s18, 32
	s_cbranch_scc1 .LBB87_12
; %bb.6:
	;; [unrolled: 3-line block ×3, first 2 shown]
	s_cmp_eq_u32 s18, 64
	v_mov_b32_e32 v34, v36
	s_cbranch_scc0 .LBB87_9
; %bb.8:
	s_nop 0
	v_mov_b32_dpp v34, v36 quad_perm:[1,0,3,2] row_mask:0xf bank_mask:0xf
	v_cmp_gt_f32_e32 vcc, v36, v34
	v_cndmask_b32_e32 v34, v34, v36, vcc
	v_bfrev_b32_e32 v37, 0.5
	s_nop 0
	v_mov_b32_dpp v35, v34 quad_perm:[2,3,0,1] row_mask:0xf bank_mask:0xf
	v_cmp_gt_f32_e32 vcc, v34, v35
	v_cndmask_b32_e32 v34, v35, v34, vcc
	s_nop 1
	v_mov_b32_dpp v35, v34 row_ror:4 row_mask:0xf bank_mask:0xf
	v_cmp_gt_f32_e32 vcc, v34, v35
	v_cndmask_b32_e32 v34, v35, v34, vcc
	s_nop 1
	v_mov_b32_dpp v35, v34 row_ror:8 row_mask:0xf bank_mask:0xf
	v_cmp_gt_f32_e32 vcc, v34, v35
	v_cndmask_b32_e32 v34, v35, v34, vcc
	s_nop 1
	v_mov_b32_dpp v35, v34 row_bcast:15 row_mask:0xf bank_mask:0xf
	v_cmp_gt_f32_e32 vcc, v34, v35
	v_cndmask_b32_e32 v34, v35, v34, vcc
	s_nop 1
	v_mov_b32_dpp v35, v34 row_bcast:31 row_mask:0xf bank_mask:0xf
	v_cmp_gt_f32_e32 vcc, v34, v35
	v_cndmask_b32_e32 v34, v35, v34, vcc
	v_mbcnt_lo_u32_b32 v35, -1, 0
	v_mbcnt_hi_u32_b32 v35, -1, v35
	v_lshl_or_b32 v35, v35, 2, v37
	ds_bpermute_b32 v34, v35, v34
.LBB87_9:
	s_mov_b64 s[2:3], 0
	s_branch .LBB87_14
.LBB87_10:
	s_mov_b64 s[2:3], 0
                                        ; implicit-def: $vgpr37
                                        ; implicit-def: $vgpr34_vgpr35
	s_cbranch_execnz .LBB87_43
	s_branch .LBB87_46
.LBB87_11:
                                        ; implicit-def: $vgpr34
	s_branch .LBB87_21
.LBB87_12:
                                        ; implicit-def: $vgpr34
	s_branch .LBB87_18
.LBB87_13:
	s_mov_b64 s[2:3], -1
                                        ; implicit-def: $vgpr34
.LBB87_14:
	s_andn2_b64 vcc, exec, s[2:3]
	s_cbranch_vccnz .LBB87_17
; %bb.15:
	s_cmp_eq_u32 s18, 32
	s_waitcnt lgkmcnt(0)
	v_mov_b32_e32 v34, v36
	s_cbranch_scc0 .LBB87_17
; %bb.16:
	s_nop 0
	v_mov_b32_dpp v34, v36 quad_perm:[1,0,3,2] row_mask:0xf bank_mask:0xf
	v_cmp_gt_f32_e32 vcc, v36, v34
	v_cndmask_b32_e32 v34, v34, v36, vcc
	v_mov_b32_e32 v37, 0x7c
	s_nop 0
	v_mov_b32_dpp v35, v34 quad_perm:[2,3,0,1] row_mask:0xf bank_mask:0xf
	v_cmp_gt_f32_e32 vcc, v34, v35
	v_cndmask_b32_e32 v34, v35, v34, vcc
	s_nop 1
	v_mov_b32_dpp v35, v34 row_half_mirror row_mask:0xf bank_mask:0xf
	v_cmp_gt_f32_e32 vcc, v34, v35
	v_cndmask_b32_e32 v34, v35, v34, vcc
	s_nop 1
	v_mov_b32_dpp v35, v34 row_mirror row_mask:0xf bank_mask:0xf
	v_cmp_gt_f32_e32 vcc, v34, v35
	v_cndmask_b32_e32 v34, v35, v34, vcc
	s_nop 1
	v_mov_b32_dpp v35, v34 row_bcast:15 row_mask:0xa bank_mask:0xf
	v_cmp_gt_f32_e32 vcc, v34, v35
	v_cndmask_b32_e32 v34, v35, v34, vcc
	v_mbcnt_lo_u32_b32 v35, -1, 0
	v_mbcnt_hi_u32_b32 v35, -1, v35
	v_lshl_or_b32 v35, v35, 2, v37
	ds_bpermute_b32 v34, v35, v34
.LBB87_17:
	s_cbranch_execnz .LBB87_20
.LBB87_18:
	s_cmp_eq_u32 s18, 16
	s_waitcnt lgkmcnt(0)
	v_mov_b32_e32 v34, v36
	s_cbranch_scc0 .LBB87_20
; %bb.19:
	s_nop 0
	v_mov_b32_dpp v34, v36 quad_perm:[1,0,3,2] row_mask:0xf bank_mask:0xf
	v_cmp_gt_f32_e32 vcc, v36, v34
	v_cndmask_b32_e32 v34, v34, v36, vcc
	s_nop 1
	v_mov_b32_dpp v35, v34 quad_perm:[2,3,0,1] row_mask:0xf bank_mask:0xf
	v_cmp_gt_f32_e32 vcc, v34, v35
	v_cndmask_b32_e32 v34, v35, v34, vcc
	s_nop 1
	v_mov_b32_dpp v35, v34 row_half_mirror row_mask:0xf bank_mask:0xf
	v_cmp_gt_f32_e32 vcc, v34, v35
	v_cndmask_b32_e32 v34, v35, v34, vcc
	s_nop 1
	v_mov_b32_dpp v35, v34 row_mirror row_mask:0xf bank_mask:0xf
	v_cmp_gt_f32_e32 vcc, v34, v35
	v_cndmask_b32_e32 v34, v35, v34, vcc
.LBB87_20:
	s_cbranch_execnz .LBB87_33
.LBB87_21:
	s_cmp_lt_i32 s18, 4
	s_cbranch_scc1 .LBB87_25
; %bb.22:
	s_cmp_lt_i32 s18, 8
	s_cbranch_scc1 .LBB87_26
; %bb.23:
	s_cmp_eq_u32 s18, 8
	s_waitcnt lgkmcnt(0)
	v_mov_b32_e32 v34, v36
	s_cbranch_scc0 .LBB87_27
; %bb.24:
	s_nop 0
	v_mov_b32_dpp v34, v36 quad_perm:[1,0,3,2] row_mask:0xf bank_mask:0xf
	v_cmp_gt_f32_e32 vcc, v36, v34
	v_cndmask_b32_e32 v34, v34, v36, vcc
	s_nop 1
	v_mov_b32_dpp v35, v34 quad_perm:[2,3,0,1] row_mask:0xf bank_mask:0xf
	v_cmp_gt_f32_e32 vcc, v34, v35
	v_cndmask_b32_e32 v34, v35, v34, vcc
	s_nop 1
	v_mov_b32_dpp v35, v34 row_half_mirror row_mask:0xf bank_mask:0xf
	v_cmp_gt_f32_e32 vcc, v34, v35
	v_cndmask_b32_e32 v34, v35, v34, vcc
	s_cbranch_execz .LBB87_28
	s_branch .LBB87_30
.LBB87_25:
                                        ; implicit-def: $vgpr34
	s_branch .LBB87_31
.LBB87_26:
                                        ; implicit-def: $vgpr34
	s_branch .LBB87_28
.LBB87_27:
	s_cbranch_execnz .LBB87_30
.LBB87_28:
	s_cmp_eq_u32 s18, 4
	s_waitcnt lgkmcnt(0)
	v_mov_b32_e32 v34, v36
	s_cbranch_scc0 .LBB87_30
; %bb.29:
	s_nop 0
	v_mov_b32_dpp v34, v36 quad_perm:[1,0,3,2] row_mask:0xf bank_mask:0xf
	v_cmp_gt_f32_e32 vcc, v36, v34
	v_cndmask_b32_e32 v34, v34, v36, vcc
	s_nop 1
	v_mov_b32_dpp v35, v34 quad_perm:[2,3,0,1] row_mask:0xf bank_mask:0xf
	v_cmp_gt_f32_e32 vcc, v34, v35
	v_cndmask_b32_e32 v34, v35, v34, vcc
.LBB87_30:
	s_cbranch_execnz .LBB87_33
.LBB87_31:
	s_cmp_lg_u32 s18, 2
	s_waitcnt lgkmcnt(0)
	v_mov_b32_e32 v34, v36
	s_cbranch_scc1 .LBB87_33
; %bb.32:
	s_nop 0
	v_mov_b32_dpp v34, v36 quad_perm:[1,0,3,2] row_mask:0xf bank_mask:0xf
	v_cmp_gt_f32_e32 vcc, v36, v34
	v_cndmask_b32_e32 v34, v34, v36, vcc
.LBB87_33:
	v_cvt_f32_u32_e32 v35, s18
	s_waitcnt lgkmcnt(0)
	v_mul_f32_e32 v37, 0x3b124925, v34
	s_sub_i32 s2, 0, s18
	v_cmp_gt_u32_e32 vcc, s9, v52
	v_rcp_iflag_f32_e32 v35, v35
	s_mov_b64 s[16:17], 0
	v_mul_f32_e32 v34, 0x4f7ffffe, v35
	v_cvt_u32_f32_e32 v34, v34
	v_mul_lo_u32 v35, s2, v34
	v_mul_hi_u32 v35, v34, v35
	v_add_u32_e32 v34, v34, v35
	v_mul_hi_u32 v34, v0, v34
	v_mul_lo_u32 v35, v34, s18
	v_sub_u32_e32 v35, v0, v35
	v_add_u32_e32 v38, 1, v34
	v_cmp_le_u32_e64 s[2:3], s18, v35
	v_cndmask_b32_e64 v34, v34, v38, s[2:3]
	v_subrev_u32_e32 v38, s18, v35
	v_cndmask_b32_e64 v35, v35, v38, s[2:3]
	v_add_u32_e32 v38, 1, v34
	v_cmp_le_u32_e64 s[2:3], s18, v35
	v_cndmask_b32_e64 v38, v34, v38, s[2:3]
	v_mul_lo_u32 v34, v38, s18
	v_sub_u32_e32 v34, v0, v34
	v_cmp_eq_u32_e64 s[2:3], 0, v34
	s_and_b64 s[18:19], s[2:3], vcc
	s_mov_b64 s[2:3], 0
                                        ; implicit-def: $vgpr34_vgpr35
	s_and_saveexec_b64 s[20:21], s[18:19]
	s_xor_b64 s[18:19], exec, s[20:21]
	s_cbranch_execz .LBB87_42
; %bb.34:
	s_bitcmp0_b32 s14, 0
	s_cbranch_scc0 .LBB87_39
; %bb.35:
	s_ashr_i32 s2, s9, 31
	s_mul_hi_u32 s3, s9, s6
	s_mul_i32 s2, s2, s6
	s_add_i32 s21, s3, s2
	s_mul_i32 s20, s9, s6
	s_mov_b32 s14, s11
	s_or_b64 s[2:3], s[20:21], s[14:15]
	s_mov_b32 s2, 0
	s_cmp_lg_u64 s[2:3], 0
	s_cbranch_scc0 .LBB87_50
; %bb.36:
	s_add_u32 s2, s14, s15
	s_mov_b32 s24, s15
	s_mov_b32 s25, s15
	s_addc_u32 s3, s15, s15
	s_xor_b64 s[26:27], s[2:3], s[24:25]
	v_cvt_f32_u32_e32 v34, s26
	v_cvt_f32_u32_e32 v35, s27
	s_sub_u32 s2, 0, s26
	s_subb_u32 s3, 0, s27
	v_madmk_f32 v34, v35, 0x4f800000, v34
	v_rcp_f32_e32 v34, v34
	v_mul_f32_e32 v34, 0x5f7ffffc, v34
	v_mul_f32_e32 v35, 0x2f800000, v34
	v_trunc_f32_e32 v35, v35
	v_madmk_f32 v34, v35, 0xcf800000, v34
	v_cvt_u32_f32_e32 v35, v35
	v_cvt_u32_f32_e32 v34, v34
	v_readfirstlane_b32 s11, v35
	v_readfirstlane_b32 s15, v34
	s_mul_i32 s28, s2, s11
	s_mul_hi_u32 s30, s2, s15
	s_mul_i32 s29, s3, s15
	s_add_i32 s28, s30, s28
	s_add_i32 s28, s28, s29
	s_mul_i32 s31, s2, s15
	s_mul_hi_u32 s29, s15, s28
	s_mul_i32 s30, s15, s28
	s_mul_hi_u32 s15, s15, s31
	s_add_u32 s15, s15, s30
	s_addc_u32 s29, 0, s29
	s_mul_hi_u32 s33, s11, s31
	s_mul_i32 s31, s11, s31
	s_add_u32 s15, s15, s31
	s_mul_hi_u32 s30, s11, s28
	s_addc_u32 s15, s29, s33
	s_addc_u32 s29, s30, 0
	s_mul_i32 s28, s11, s28
	s_add_u32 s15, s15, s28
	s_addc_u32 s28, 0, s29
	v_add_co_u32_e32 v34, vcc, s15, v34
	s_cmp_lg_u64 vcc, 0
	s_addc_u32 s11, s11, s28
	v_readfirstlane_b32 s28, v34
	s_mul_i32 s15, s2, s11
	s_mul_hi_u32 s29, s2, s28
	s_add_i32 s15, s29, s15
	s_mul_i32 s3, s3, s28
	s_add_i32 s15, s15, s3
	s_mul_i32 s2, s2, s28
	s_mul_hi_u32 s29, s11, s2
	s_mul_i32 s30, s11, s2
	s_mul_i32 s33, s28, s15
	s_mul_hi_u32 s2, s28, s2
	s_mul_hi_u32 s31, s28, s15
	s_add_u32 s2, s2, s33
	s_addc_u32 s28, 0, s31
	s_add_u32 s2, s2, s30
	s_mul_hi_u32 s3, s11, s15
	s_addc_u32 s2, s28, s29
	s_addc_u32 s3, s3, 0
	s_mul_i32 s15, s11, s15
	s_add_u32 s2, s2, s15
	s_addc_u32 s3, 0, s3
	v_add_co_u32_e32 v34, vcc, s2, v34
	s_cmp_lg_u64 vcc, 0
	s_addc_u32 s11, s11, s3
	s_ashr_i32 s28, s21, 31
	s_add_u32 s2, s20, s28
	s_mov_b32 s29, s28
	s_addc_u32 s3, s21, s28
	s_xor_b64 s[30:31], s[2:3], s[28:29]
	v_readfirstlane_b32 s15, v34
	s_mul_i32 s3, s30, s11
	s_mul_hi_u32 s21, s30, s15
	s_mul_hi_u32 s2, s30, s11
	s_add_u32 s3, s21, s3
	s_addc_u32 s2, 0, s2
	s_mul_hi_u32 s33, s31, s15
	s_mul_i32 s15, s31, s15
	s_add_u32 s3, s3, s15
	s_mul_hi_u32 s21, s31, s11
	s_addc_u32 s2, s2, s33
	s_addc_u32 s3, s21, 0
	s_mul_i32 s11, s31, s11
	s_add_u32 s11, s2, s11
	s_addc_u32 s15, 0, s3
	s_mul_i32 s2, s26, s15
	s_mul_hi_u32 s3, s26, s11
	s_add_i32 s2, s3, s2
	s_mul_i32 s3, s27, s11
	s_add_i32 s21, s2, s3
	s_mul_i32 s3, s26, s11
	v_mov_b32_e32 v34, s3
	s_sub_i32 s2, s31, s21
	v_sub_co_u32_e32 v34, vcc, s30, v34
	s_cmp_lg_u64 vcc, 0
	s_subb_u32 s30, s2, s27
	v_subrev_co_u32_e64 v35, s[2:3], s26, v34
	s_cmp_lg_u64 s[2:3], 0
	s_subb_u32 s30, s30, 0
	s_cmp_ge_u32 s30, s27
	s_cselect_b32 s33, -1, 0
	v_cmp_le_u32_e64 s[2:3], s26, v35
	s_cmp_eq_u32 s30, s27
	v_cndmask_b32_e64 v35, 0, -1, s[2:3]
	v_mov_b32_e32 v39, s33
	s_cselect_b64 s[2:3], -1, 0
	v_cndmask_b32_e64 v35, v39, v35, s[2:3]
	s_add_u32 s2, s11, 1
	s_addc_u32 s30, s15, 0
	s_add_u32 s3, s11, 2
	s_addc_u32 s33, s15, 0
	v_mov_b32_e32 v39, s2
	v_mov_b32_e32 v40, s3
	v_cmp_ne_u32_e64 s[2:3], 0, v35
	v_cndmask_b32_e64 v35, v39, v40, s[2:3]
	v_mov_b32_e32 v39, s30
	v_mov_b32_e32 v40, s33
	s_cmp_lg_u64 vcc, 0
	v_cndmask_b32_e64 v39, v39, v40, s[2:3]
	s_subb_u32 s2, s31, s21
	s_cmp_ge_u32 s2, s27
	s_cselect_b32 s3, -1, 0
	v_cmp_le_u32_e32 vcc, s26, v34
	s_cmp_eq_u32 s2, s27
	v_cndmask_b32_e64 v34, 0, -1, vcc
	v_mov_b32_e32 v40, s3
	s_cselect_b64 vcc, -1, 0
	v_cndmask_b32_e32 v34, v40, v34, vcc
	v_mov_b32_e32 v40, s15
	v_cmp_ne_u32_e32 vcc, 0, v34
	v_cndmask_b32_e32 v34, v40, v39, vcc
	v_mov_b32_e32 v39, s11
	v_cndmask_b32_e32 v35, v39, v35, vcc
	s_xor_b64 s[2:3], s[28:29], s[24:25]
	v_xor_b32_e32 v35, s2, v35
	v_xor_b32_e32 v39, s3, v34
	v_mov_b32_e32 v40, s3
	v_subrev_co_u32_e32 v34, vcc, s2, v35
	v_subb_co_u32_e32 v35, vcc, v39, v40, vcc
	s_cbranch_execnz .LBB87_38
.LBB87_37:
	v_cvt_f32_u32_e32 v34, s14
	s_sub_i32 s2, 0, s14
	s_mov_b32 s3, 0
	v_rcp_iflag_f32_e32 v34, v34
	v_mul_f32_e32 v34, 0x4f7ffffe, v34
	v_cvt_u32_f32_e32 v34, v34
	v_readfirstlane_b32 s11, v34
	s_mul_i32 s2, s2, s11
	s_mul_hi_u32 s2, s11, s2
	s_add_i32 s11, s11, s2
	s_mul_hi_u32 s2, s20, s11
	s_mul_i32 s15, s2, s14
	s_sub_i32 s15, s20, s15
	s_add_i32 s11, s2, 1
	s_sub_i32 s20, s15, s14
	s_cmp_ge_u32 s15, s14
	s_cselect_b32 s2, s11, s2
	s_cselect_b32 s15, s20, s15
	s_add_i32 s11, s2, 1
	s_cmp_ge_u32 s15, s14
	s_cselect_b32 s2, s11, s2
	v_pk_mov_b32 v[34:35], s[2:3], s[2:3] op_sel:[0,1]
.LBB87_38:
	v_add_co_u32_e32 v34, vcc, v34, v38
	v_addc_co_u32_e32 v35, vcc, 0, v35, vcc
	s_branch .LBB87_41
.LBB87_39:
                                        ; implicit-def: $vgpr34_vgpr35
	s_cbranch_execz .LBB87_41
; %bb.40:
	v_mul_lo_u32 v34, v38, s8
	v_ashrrev_i32_e32 v35, 31, v34
	v_mov_b32_e32 v38, s7
	v_add_co_u32_e32 v34, vcc, s6, v34
	v_addc_co_u32_e32 v35, vcc, v35, v38, vcc
.LBB87_41:
	s_mov_b64 s[2:3], exec
.LBB87_42:
	s_or_b64 exec, exec, s[18:19]
	s_and_b64 vcc, exec, s[16:17]
	s_cbranch_vccz .LBB87_46
.LBB87_43:
	v_mov_b32_dpp v34, v36 quad_perm:[1,0,3,2] row_mask:0xf bank_mask:0xf
	v_cmp_gt_f32_e32 vcc, v36, v34
	v_cndmask_b32_e32 v34, v34, v36, vcc
	s_nop 1
	v_mov_b32_dpp v35, v34 quad_perm:[2,3,0,1] row_mask:0xf bank_mask:0xf
	v_cmp_gt_f32_e32 vcc, v34, v35
	v_cndmask_b32_e32 v34, v35, v34, vcc
	s_nop 1
	v_mov_b32_dpp v35, v34 row_half_mirror row_mask:0xf bank_mask:0xf
	v_cmp_gt_f32_e32 vcc, v34, v35
	v_cndmask_b32_e32 v34, v35, v34, vcc
	s_nop 1
	v_mov_b32_dpp v35, v34 row_mirror row_mask:0xf bank_mask:0xf
	v_cmp_gt_f32_e32 vcc, v34, v35
	v_cndmask_b32_e32 v34, v35, v34, vcc
	s_nop 1
	v_mov_b32_dpp v35, v34 row_bcast:15 row_mask:0xf bank_mask:0xf
	v_cmp_gt_f32_e32 vcc, v34, v35
	v_cndmask_b32_e32 v34, v35, v34, vcc
	s_nop 1
	v_mov_b32_dpp v35, v34 row_bcast:31 row_mask:0xf bank_mask:0xf
	s_and_saveexec_b64 s[2:3], s[0:1]
	s_cbranch_execz .LBB87_45
; %bb.44:
	v_lshrrev_b32_e32 v36, 4, v0
	v_cmp_gt_f32_e32 vcc, v34, v35
	v_and_b32_e32 v36, 60, v36
	v_cndmask_b32_e32 v34, v35, v34, vcc
	ds_write_b32 v36, v34
.LBB87_45:
	s_or_b64 exec, exec, s[2:3]
	s_waitcnt lgkmcnt(0)
	s_barrier
	ds_read_b32 v1, v1
	v_cmp_eq_u32_e64 s[2:3], 0, v0
	s_waitcnt lgkmcnt(0)
	v_mov_b32_dpp v34, v1 quad_perm:[1,0,3,2] row_mask:0xf bank_mask:0xf
	v_cmp_gt_f32_e32 vcc, v1, v34
	v_cndmask_b32_e32 v1, v34, v1, vcc
	s_nop 1
	v_mov_b32_dpp v34, v1 quad_perm:[2,3,0,1] row_mask:0xf bank_mask:0xf
	v_cmp_gt_f32_e32 vcc, v1, v34
	v_cndmask_b32_e32 v1, v34, v1, vcc
	v_mul_f32_e32 v37, 0x3b124925, v1
	v_pk_mov_b32 v[34:35], s[6:7], s[6:7] op_sel:[0,1]
.LBB87_46:
	s_and_saveexec_b64 s[0:1], s[2:3]
	s_cbranch_execz .LBB87_48
; %bb.47:
	v_lshlrev_b64 v[0:1], 2, v[34:35]
	v_mov_b32_e32 v34, s13
	v_add_co_u32_e32 v0, vcc, s12, v0
	v_addc_co_u32_e32 v1, vcc, v34, v1, vcc
	global_store_dword v[0:1], v37, off
.LBB87_48:
	s_or_b64 exec, exec, s[0:1]
	s_add_i32 s2, s9, 3
	;;#ASMSTART
	v_rcp_f32 v0, v37
	;;#ASMEND
	v_mov_b32_e32 v1, v0
	;;#ASMSTART
	v_pk_mul_f32 v[32:33], v[32:33], v[0:1]
	;;#ASMEND
	s_ashr_i32 s3, s2, 31
	v_mov_b32_e32 v34, 0xc3e00000
	v_mov_b32_e32 v35, 0x43e00000
	;;#ASMSTART
	v_med3_f32 v32, v32, v34, v35
v_med3_f32 v33, v33, v34, v35
v_cvt_pk_fp8_f32 v36, v32, v33
	;;#ASMEND
	;;#ASMSTART
	v_pk_mul_f32 v[30:31], v[30:31], v[0:1]
	;;#ASMEND
	s_load_dwordx2 s[0:1], s[4:5], 0x0
	s_lshr_b32 s3, s3, 30
	;;#ASMSTART
	v_med3_f32 v30, v30, v34, v35
v_med3_f32 v31, v31, v34, v35
v_cvt_pk_fp8_f32 v32, v30, v31
	;;#ASMEND
	;;#ASMSTART
	v_pk_mul_f32 v[26:27], v[26:27], v[0:1]
	;;#ASMEND
	s_add_i32 s2, s2, s3
	s_ashr_i32 s3, s10, 31
	;;#ASMSTART
	v_med3_f32 v26, v26, v34, v35
v_med3_f32 v27, v27, v34, v35
v_cvt_pk_fp8_f32 v31, v26, v27
	;;#ASMEND
	;;#ASMSTART
	v_pk_mul_f32 v[22:23], v[22:23], v[0:1]
	;;#ASMEND
	s_mul_hi_u32 s4, s10, s6
	s_mul_i32 s3, s3, s6
	;;#ASMSTART
	v_med3_f32 v22, v22, v34, v35
v_med3_f32 v23, v23, v34, v35
v_cvt_pk_fp8_f32 v26, v22, v23
	;;#ASMEND
	s_add_i32 s4, s4, s3
	s_mul_i32 s3, s10, s6
	s_mov_b32 s6, 0x1000504
	;;#ASMSTART
	v_pk_mul_f32 v[22:23], v[28:29], v[0:1]
	;;#ASMEND
	s_and_b32 s2, s2, -4
	v_perm_b32 v31, v31, v26, s6
	;;#ASMSTART
	v_med3_f32 v22, v22, v34, v35
v_med3_f32 v23, v23, v34, v35
v_cvt_pk_fp8_f32 v26, v22, v23
	;;#ASMEND
	s_waitcnt lgkmcnt(0)
	s_add_u32 s0, s0, s3
	;;#ASMSTART
	v_pk_mul_f32 v[22:23], v[24:25], v[0:1]
	;;#ASMEND
	s_addc_u32 s1, s1, s4
	s_mov_b32 s4, 0x5040100
	;;#ASMSTART
	v_med3_f32 v22, v22, v34, v35
v_med3_f32 v23, v23, v34, v35
v_cvt_pk_fp8_f32 v24, v22, v23
	;;#ASMEND
	;;#ASMSTART
	v_pk_mul_f32 v[20:21], v[20:21], v[0:1]
	;;#ASMEND
	v_perm_b32 v30, v32, v36, s4
	s_mov_b32 s5, 0x1060504
	;;#ASMSTART
	v_med3_f32 v20, v20, v34, v35
v_med3_f32 v21, v21, v34, v35
v_cvt_pk_fp8_f32 v22, v20, v21
	;;#ASMEND
	;;#ASMSTART
	v_pk_mul_f32 v[16:17], v[16:17], v[0:1]
	;;#ASMEND
	s_and_b32 s1, s1, 0xffff
	s_mov_b32 s3, 0x20000
	v_perm_b32 v30, v30, v32, s5
	v_perm_b32 v32, v26, v24, s6
	;;#ASMSTART
	v_med3_f32 v16, v16, v34, v35
v_med3_f32 v17, v17, v34, v35
v_cvt_pk_fp8_f32 v20, v16, v17
	;;#ASMEND
	v_perm_b32 v33, v22, v20, s6
	buffer_store_dwordx4 v[30:33], v52, s[0:3], 0 offen
	;;#ASMSTART
	s_nop 0
	;;#ASMEND
	;;#ASMSTART
	v_pk_mul_f32 v[16:17], v[18:19], v[0:1]
	;;#ASMEND
	;;#ASMSTART
	v_med3_f32 v16, v16, v34, v35
v_med3_f32 v17, v17, v34, v35
v_cvt_pk_fp8_f32 v18, v16, v17
	;;#ASMEND
	;;#ASMSTART
	v_pk_mul_f32 v[14:15], v[14:15], v[0:1]
	;;#ASMEND
	;;#ASMSTART
	v_med3_f32 v14, v14, v34, v35
v_med3_f32 v15, v15, v34, v35
v_cvt_pk_fp8_f32 v16, v14, v15
	;; [unrolled: 8-line block ×4, first 2 shown]
	;;#ASMEND
	;;#ASMSTART
	v_pk_mul_f32 v[6:7], v[12:13], v[0:1]
	;;#ASMEND
	v_perm_b32 v15, v15, v10, s6
	;;#ASMSTART
	v_med3_f32 v6, v6, v34, v35
v_med3_f32 v7, v7, v34, v35
v_cvt_pk_fp8_f32 v10, v6, v7
	;;#ASMEND
	;;#ASMSTART
	v_pk_mul_f32 v[6:7], v[8:9], v[0:1]
	;;#ASMEND
	;;#ASMSTART
	v_med3_f32 v6, v6, v34, v35
v_med3_f32 v7, v7, v34, v35
v_cvt_pk_fp8_f32 v8, v6, v7
	;;#ASMEND
	;;#ASMSTART
	v_pk_mul_f32 v[4:5], v[4:5], v[0:1]
	;;#ASMEND
	v_perm_b32 v14, v16, v18, s4
	;;#ASMSTART
	v_med3_f32 v4, v4, v34, v35
v_med3_f32 v5, v5, v34, v35
v_cvt_pk_fp8_f32 v6, v4, v5
	;;#ASMEND
	;;#ASMSTART
	v_pk_mul_f32 v[0:1], v[2:3], v[0:1]
	;;#ASMEND
	v_perm_b32 v14, v14, v16, s5
	v_perm_b32 v16, v10, v8, s6
	;;#ASMSTART
	v_med3_f32 v0, v0, v34, v35
v_med3_f32 v1, v1, v34, v35
v_cvt_pk_fp8_f32 v2, v0, v1
	;;#ASMEND
	v_perm_b32 v17, v6, v2, s6
	buffer_store_dwordx4 v[14:17], v52, s[0:3], 16 offen
	;;#ASMSTART
	s_nop 0
	;;#ASMEND
.LBB87_49:
	s_endpgm
.LBB87_50:
                                        ; implicit-def: $vgpr34_vgpr35
	s_branch .LBB87_37
	.section	.rodata,"a",@progbits
	.p2align	6, 0x0
	.amdhsa_kernel _ZN5aiter24add_rmsnorm_quant_kernelIDF16_DB8_Li256ELi32ELb0ELb1ELb0ELi1EEEvPT0_PT_PfS5_S5_S5_diiiiiiib
		.amdhsa_group_segment_fixed_size 32
		.amdhsa_private_segment_fixed_size 0
		.amdhsa_kernarg_size 88
		.amdhsa_user_sgpr_count 6
		.amdhsa_user_sgpr_private_segment_buffer 1
		.amdhsa_user_sgpr_dispatch_ptr 0
		.amdhsa_user_sgpr_queue_ptr 0
		.amdhsa_user_sgpr_kernarg_segment_ptr 1
		.amdhsa_user_sgpr_dispatch_id 0
		.amdhsa_user_sgpr_flat_scratch_init 0
		.amdhsa_user_sgpr_kernarg_preload_length 0
		.amdhsa_user_sgpr_kernarg_preload_offset 0
		.amdhsa_user_sgpr_private_segment_size 0
		.amdhsa_uses_dynamic_stack 0
		.amdhsa_system_sgpr_private_segment_wavefront_offset 0
		.amdhsa_system_sgpr_workgroup_id_x 1
		.amdhsa_system_sgpr_workgroup_id_y 0
		.amdhsa_system_sgpr_workgroup_id_z 0
		.amdhsa_system_sgpr_workgroup_info 0
		.amdhsa_system_vgpr_workitem_id 0
		.amdhsa_next_free_vgpr 68
		.amdhsa_next_free_sgpr 34
		.amdhsa_accum_offset 68
		.amdhsa_reserve_vcc 1
		.amdhsa_reserve_flat_scratch 0
		.amdhsa_float_round_mode_32 0
		.amdhsa_float_round_mode_16_64 0
		.amdhsa_float_denorm_mode_32 3
		.amdhsa_float_denorm_mode_16_64 3
		.amdhsa_dx10_clamp 1
		.amdhsa_ieee_mode 1
		.amdhsa_fp16_overflow 0
		.amdhsa_tg_split 0
		.amdhsa_exception_fp_ieee_invalid_op 0
		.amdhsa_exception_fp_denorm_src 0
		.amdhsa_exception_fp_ieee_div_zero 0
		.amdhsa_exception_fp_ieee_overflow 0
		.amdhsa_exception_fp_ieee_underflow 0
		.amdhsa_exception_fp_ieee_inexact 0
		.amdhsa_exception_int_div_zero 0
	.end_amdhsa_kernel
	.section	.text._ZN5aiter24add_rmsnorm_quant_kernelIDF16_DB8_Li256ELi32ELb0ELb1ELb0ELi1EEEvPT0_PT_PfS5_S5_S5_diiiiiiib,"axG",@progbits,_ZN5aiter24add_rmsnorm_quant_kernelIDF16_DB8_Li256ELi32ELb0ELb1ELb0ELi1EEEvPT0_PT_PfS5_S5_S5_diiiiiiib,comdat
.Lfunc_end87:
	.size	_ZN5aiter24add_rmsnorm_quant_kernelIDF16_DB8_Li256ELi32ELb0ELb1ELb0ELi1EEEvPT0_PT_PfS5_S5_S5_diiiiiiib, .Lfunc_end87-_ZN5aiter24add_rmsnorm_quant_kernelIDF16_DB8_Li256ELi32ELb0ELb1ELb0ELi1EEEvPT0_PT_PfS5_S5_S5_diiiiiiib
                                        ; -- End function
	.section	.AMDGPU.csdata,"",@progbits
; Kernel info:
; codeLenInByte = 4616
; NumSgprs: 38
; NumVgprs: 68
; NumAgprs: 0
; TotalNumVgprs: 68
; ScratchSize: 0
; MemoryBound: 0
; FloatMode: 240
; IeeeMode: 1
; LDSByteSize: 32 bytes/workgroup (compile time only)
; SGPRBlocks: 4
; VGPRBlocks: 8
; NumSGPRsForWavesPerEU: 38
; NumVGPRsForWavesPerEU: 68
; AccumOffset: 68
; Occupancy: 7
; WaveLimiterHint : 0
; COMPUTE_PGM_RSRC2:SCRATCH_EN: 0
; COMPUTE_PGM_RSRC2:USER_SGPR: 6
; COMPUTE_PGM_RSRC2:TRAP_HANDLER: 0
; COMPUTE_PGM_RSRC2:TGID_X_EN: 1
; COMPUTE_PGM_RSRC2:TGID_Y_EN: 0
; COMPUTE_PGM_RSRC2:TGID_Z_EN: 0
; COMPUTE_PGM_RSRC2:TIDIG_COMP_CNT: 0
; COMPUTE_PGM_RSRC3_GFX90A:ACCUM_OFFSET: 16
; COMPUTE_PGM_RSRC3_GFX90A:TG_SPLIT: 0
	.section	.text._ZN5aiter24add_rmsnorm_quant_kernelItDB8_Li256ELi32ELb0ELb1ELb0ELi1EEEvPT0_PT_PfS5_S5_S5_diiiiiiib,"axG",@progbits,_ZN5aiter24add_rmsnorm_quant_kernelItDB8_Li256ELi32ELb0ELb1ELb0ELi1EEEvPT0_PT_PfS5_S5_S5_diiiiiiib,comdat
	.protected	_ZN5aiter24add_rmsnorm_quant_kernelItDB8_Li256ELi32ELb0ELb1ELb0ELi1EEEvPT0_PT_PfS5_S5_S5_diiiiiiib ; -- Begin function _ZN5aiter24add_rmsnorm_quant_kernelItDB8_Li256ELi32ELb0ELb1ELb0ELi1EEEvPT0_PT_PfS5_S5_S5_diiiiiiib
	.globl	_ZN5aiter24add_rmsnorm_quant_kernelItDB8_Li256ELi32ELb0ELb1ELb0ELi1EEEvPT0_PT_PfS5_S5_S5_diiiiiiib
	.p2align	8
	.type	_ZN5aiter24add_rmsnorm_quant_kernelItDB8_Li256ELi32ELb0ELb1ELb0ELi1EEEvPT0_PT_PfS5_S5_S5_diiiiiiib,@function
_ZN5aiter24add_rmsnorm_quant_kernelItDB8_Li256ELi32ELb0ELb1ELb0ELi1EEEvPT0_PT_PfS5_S5_S5_diiiiiiib: ; @_ZN5aiter24add_rmsnorm_quant_kernelItDB8_Li256ELi32ELb0ELb1ELb0ELi1EEEvPT0_PT_PfS5_S5_S5_diiiiiiib
; %bb.0:
	s_load_dwordx4 s[8:11], s[4:5], 0x38
	s_mov_b32 s7, 0
	s_waitcnt lgkmcnt(0)
	s_ashr_i32 s0, s8, 31
	v_mov_b32_e32 v2, s8
	v_mov_b32_e32 v3, s0
	v_cmp_ge_i64_e32 vcc, s[6:7], v[2:3]
	s_cbranch_vccnz .LBB88_49
; %bb.1:
	s_load_dwordx4 s[12:15], s[4:5], 0x10
	s_load_dwordx4 s[0:3], s[4:5], 0x28
	s_ashr_i32 s11, s10, 31
	s_mul_hi_u32 s16, s10, s6
	s_mul_i32 s11, s11, s6
	s_add_i32 s11, s16, s11
	s_mul_i32 s10, s10, s6
	s_lshl_b64 s[10:11], s[10:11], 1
	s_waitcnt lgkmcnt(0)
	s_add_u32 s16, s14, s10
	s_addc_u32 s10, s15, s11
	s_add_i32 s11, s9, 1
	s_lshr_b32 s14, s11, 31
	s_add_i32 s11, s11, s14
	s_lshl_b32 s11, s11, 1
	s_and_b32 s18, s11, -4
	s_and_b32 s17, s10, 0xffff
	s_mov_b32 s19, 0x20000
	v_lshlrev_b32_e32 v1, 6, v0
	buffer_load_dwordx4 v[30:33], v1, s[16:19], 0 offen
	buffer_load_dwordx4 v[26:29], v1, s[16:19], 16 offen
	;; [unrolled: 1-line block ×4, first 2 shown]
	s_mov_b32 s16, s0
	s_and_b32 s17, s1, 0xffff
	buffer_load_dwordx4 v[14:17], v1, s[16:19], 0 offen
	buffer_load_dwordx4 v[10:13], v1, s[16:19], 16 offen
	;; [unrolled: 1-line block ×4, first 2 shown]
	v_and_b32_e32 v60, 63, v0
	v_cmp_eq_u32_e64 s[0:1], 63, v60
	s_waitcnt vmcnt(7)
	v_cvt_f32_u32_sdwa v51, v30 dst_sel:DWORD dst_unused:UNUSED_PAD src0_sel:WORD_1
	v_cvt_f32_u32_sdwa v50, v30 dst_sel:DWORD dst_unused:UNUSED_PAD src0_sel:WORD_0
	v_cvt_f32_u32_sdwa v49, v31 dst_sel:DWORD dst_unused:UNUSED_PAD src0_sel:WORD_1
	v_cvt_f32_u32_sdwa v48, v31 dst_sel:DWORD dst_unused:UNUSED_PAD src0_sel:WORD_0
	v_cvt_f32_u32_sdwa v47, v32 dst_sel:DWORD dst_unused:UNUSED_PAD src0_sel:WORD_1
	v_cvt_f32_u32_sdwa v46, v32 dst_sel:DWORD dst_unused:UNUSED_PAD src0_sel:WORD_0
	v_cvt_f32_u32_sdwa v45, v33 dst_sel:DWORD dst_unused:UNUSED_PAD src0_sel:WORD_1
	v_cvt_f32_u32_sdwa v44, v33 dst_sel:DWORD dst_unused:UNUSED_PAD src0_sel:WORD_0
	s_waitcnt vmcnt(6)
	v_cvt_f32_u32_sdwa v43, v26 dst_sel:DWORD dst_unused:UNUSED_PAD src0_sel:WORD_1
	v_cvt_f32_u32_sdwa v42, v26 dst_sel:DWORD dst_unused:UNUSED_PAD src0_sel:WORD_0
	v_cvt_f32_u32_sdwa v41, v27 dst_sel:DWORD dst_unused:UNUSED_PAD src0_sel:WORD_1
	v_cvt_f32_u32_sdwa v40, v27 dst_sel:DWORD dst_unused:UNUSED_PAD src0_sel:WORD_0
	v_cvt_f32_u32_sdwa v39, v28 dst_sel:DWORD dst_unused:UNUSED_PAD src0_sel:WORD_1
	v_cvt_f32_u32_sdwa v38, v28 dst_sel:DWORD dst_unused:UNUSED_PAD src0_sel:WORD_0
	v_cvt_f32_u32_sdwa v37, v29 dst_sel:DWORD dst_unused:UNUSED_PAD src0_sel:WORD_1
	v_cvt_f32_u32_sdwa v36, v29 dst_sel:DWORD dst_unused:UNUSED_PAD src0_sel:WORD_0
	;; [unrolled: 9-line block ×4, first 2 shown]
	v_pk_mul_f32 v[20:21], v[50:51], v[50:51]
	v_pk_mul_f32 v[52:53], v[48:49], v[48:49]
	v_add_f32_e32 v1, v20, v21
	v_add_f32_e32 v1, v52, v1
	v_pk_mul_f32 v[54:55], v[46:47], v[46:47]
	v_add_f32_e32 v1, v53, v1
	v_add_f32_e32 v1, v54, v1
	;; [unrolled: 3-line block ×15, first 2 shown]
	v_add_f32_e32 v1, v55, v1
	s_nop 1
	v_mov_b32_dpp v20, v1 quad_perm:[1,0,3,2] row_mask:0xf bank_mask:0xf
	v_add_f32_e32 v1, v1, v20
	s_nop 1
	v_mov_b32_dpp v20, v1 quad_perm:[2,3,0,1] row_mask:0xf bank_mask:0xf
	v_add_f32_e32 v1, v1, v20
	s_nop 1
	v_mov_b32_dpp v20, v1 row_half_mirror row_mask:0xf bank_mask:0xf
	v_add_f32_e32 v1, v1, v20
	s_nop 1
	v_mov_b32_dpp v20, v1 row_mirror row_mask:0xf bank_mask:0xf
	v_add_f32_e32 v1, v1, v20
	s_nop 1
	v_mov_b32_dpp v20, v1 row_bcast:15 row_mask:0xf bank_mask:0xf
	v_add_f32_e32 v1, v1, v20
	s_nop 1
	v_mov_b32_dpp v20, v1 row_bcast:31 row_mask:0xf bank_mask:0xf
	s_and_saveexec_b64 s[10:11], s[0:1]
	s_cbranch_execz .LBB88_3
; %bb.2:
	v_lshrrev_b32_e32 v21, 4, v0
	v_and_b32_e32 v21, 60, v21
	v_add_f32_e32 v1, v1, v20
	ds_write_b32 v21, v1 offset:16
.LBB88_3:
	s_or_b64 exec, exec, s[10:11]
	v_and_b32_e32 v1, 3, v0
	v_lshlrev_b32_e32 v1, 2, v1
	s_waitcnt lgkmcnt(0)
	s_barrier
	ds_read_b32 v20, v1 offset:16
	v_cvt_f32_i32_e32 v21, s9
	s_waitcnt lgkmcnt(0)
	v_mov_b32_dpp v52, v20 quad_perm:[1,0,3,2] row_mask:0xf bank_mask:0xf
	v_add_f32_e32 v20, v20, v52
	s_nop 1
	v_mov_b32_dpp v52, v20 quad_perm:[2,3,0,1] row_mask:0xf bank_mask:0xf
	v_add_f32_e32 v20, v20, v52
	v_div_scale_f32 v52, s[10:11], v21, v21, v20
	v_rcp_f32_e32 v53, v52
	v_div_scale_f32 v54, vcc, v20, v21, v20
	s_load_dwordx2 s[10:11], s[4:5], 0x4c
	s_load_dword s14, s[4:5], 0x54
	v_fma_f32 v55, -v52, v53, 1.0
	v_fmac_f32_e32 v53, v55, v53
	v_mul_f32_e32 v55, v54, v53
	v_fma_f32 v56, -v52, v55, v54
	v_fmac_f32_e32 v55, v56, v53
	v_fma_f32 v52, -v52, v55, v54
	v_div_fmas_f32 v52, v52, v53, v55
	v_div_fixup_f32 v20, v52, v21, v20
	v_cvt_f64_f32_e32 v[20:21], v20
	v_add_f64 v[20:21], v[20:21], s[2:3]
	v_cvt_f32_f64_e32 v20, v[20:21]
	s_mov_b32 s2, 0x800000
	v_mul_f32_e32 v21, 0x4b800000, v20
	v_cmp_gt_f32_e32 vcc, s2, v20
	v_cndmask_b32_e32 v20, v20, v21, vcc
	v_rsq_f32_e32 v20, v20
	v_lshlrev_b32_e32 v52, 5, v0
	s_waitcnt lgkmcnt(0)
	s_cmp_lg_u32 s11, 0
	v_mul_f32_e32 v21, 0x45800000, v20
	v_cndmask_b32_e32 v20, v20, v21, vcc
	v_mov_b32_e32 v21, v20
	;;#ASMSTART
	v_pk_mul_f32 v[50:51], v[50:51], v[20:21]
	;;#ASMEND
	;;#ASMSTART
	v_pk_mul_f32 v[48:49], v[48:49], v[20:21]
	;;#ASMEND
	;; [unrolled: 3-line block ×16, first 2 shown]
	s_waitcnt vmcnt(3)
	v_cvt_f32_u32_sdwa v19, v14 dst_sel:DWORD dst_unused:UNUSED_PAD src0_sel:WORD_1
	v_cvt_f32_u32_sdwa v18, v14 dst_sel:DWORD dst_unused:UNUSED_PAD src0_sel:WORD_0
	v_cvt_f32_u32_sdwa v21, v15 dst_sel:DWORD dst_unused:UNUSED_PAD src0_sel:WORD_1
	v_cvt_f32_u32_sdwa v20, v15 dst_sel:DWORD dst_unused:UNUSED_PAD src0_sel:WORD_0
	;; [unrolled: 2-line block ×4, first 2 shown]
	;;#ASMSTART
	v_pk_mul_f32 v[32:33], v[50:51], v[18:19]
	;;#ASMEND
	;;#ASMSTART
	v_pk_mul_f32 v[30:31], v[48:49], v[20:21]
	;;#ASMEND
	;; [unrolled: 3-line block ×3, first 2 shown]
	s_waitcnt vmcnt(2)
	v_cvt_f32_u32_sdwa v15, v10 dst_sel:DWORD dst_unused:UNUSED_PAD src0_sel:WORD_1
	v_cvt_f32_u32_sdwa v14, v10 dst_sel:DWORD dst_unused:UNUSED_PAD src0_sel:WORD_0
	v_cvt_f32_u32_sdwa v17, v11 dst_sel:DWORD dst_unused:UNUSED_PAD src0_sel:WORD_1
	v_cvt_f32_u32_sdwa v16, v11 dst_sel:DWORD dst_unused:UNUSED_PAD src0_sel:WORD_0
	;; [unrolled: 2-line block ×3, first 2 shown]
	;;#ASMSTART
	v_pk_mul_f32 v[22:23], v[44:45], v[22:23]
	;;#ASMEND
	v_cvt_f32_u32_sdwa v19, v13 dst_sel:DWORD dst_unused:UNUSED_PAD src0_sel:WORD_1
	v_cvt_f32_u32_sdwa v18, v13 dst_sel:DWORD dst_unused:UNUSED_PAD src0_sel:WORD_0
	;;#ASMSTART
	v_pk_mul_f32 v[28:29], v[42:43], v[14:15]
	;;#ASMEND
	;;#ASMSTART
	v_pk_mul_f32 v[24:25], v[40:41], v[16:17]
	;;#ASMEND
	;; [unrolled: 3-line block ×4, first 2 shown]
	s_waitcnt vmcnt(1)
	v_cvt_f32_u32_sdwa v11, v6 dst_sel:DWORD dst_unused:UNUSED_PAD src0_sel:WORD_1
	v_cvt_f32_u32_sdwa v10, v6 dst_sel:DWORD dst_unused:UNUSED_PAD src0_sel:WORD_0
	v_cvt_f32_u32_sdwa v13, v7 dst_sel:DWORD dst_unused:UNUSED_PAD src0_sel:WORD_1
	v_cvt_f32_u32_sdwa v12, v7 dst_sel:DWORD dst_unused:UNUSED_PAD src0_sel:WORD_0
	;; [unrolled: 2-line block ×3, first 2 shown]
	v_cvt_f32_u32_sdwa v36, v9 dst_sel:DWORD dst_unused:UNUSED_PAD src0_sel:WORD_0
	v_cvt_f32_u32_sdwa v37, v9 dst_sel:DWORD dst_unused:UNUSED_PAD src0_sel:WORD_1
	;;#ASMSTART
	v_pk_mul_f32 v[18:19], v[34:35], v[10:11]
	;;#ASMEND
	;;#ASMSTART
	v_pk_mul_f32 v[14:15], v[54:55], v[12:13]
	;;#ASMEND
	;; [unrolled: 3-line block ×4, first 2 shown]
	s_waitcnt vmcnt(0)
	v_cvt_f32_u32_sdwa v9, v2 dst_sel:DWORD dst_unused:UNUSED_PAD src0_sel:WORD_1
	v_cvt_f32_u32_sdwa v8, v2 dst_sel:DWORD dst_unused:UNUSED_PAD src0_sel:WORD_0
	v_cvt_f32_u32_sdwa v35, v3 dst_sel:DWORD dst_unused:UNUSED_PAD src0_sel:WORD_1
	v_cvt_f32_u32_sdwa v34, v3 dst_sel:DWORD dst_unused:UNUSED_PAD src0_sel:WORD_0
	;; [unrolled: 2-line block ×3, first 2 shown]
	v_cvt_f32_u32_sdwa v36, v5 dst_sel:DWORD dst_unused:UNUSED_PAD src0_sel:WORD_0
	v_cvt_f32_u32_sdwa v37, v5 dst_sel:DWORD dst_unused:UNUSED_PAD src0_sel:WORD_1
	;;#ASMSTART
	v_pk_mul_f32 v[12:13], v[60:61], v[8:9]
	;;#ASMEND
	;;#ASMSTART
	v_pk_mul_f32 v[8:9], v[62:63], v[34:35]
	;;#ASMEND
	;; [unrolled: 3-line block ×4, first 2 shown]
	v_and_b32_e32 v34, 0x7fffffff, v32
	v_mov_b32_e32 v36, 0x2edbe6ff
	v_and_b32_e32 v35, 0x7fffffff, v33
	;;#ASMSTART
	v_max3_f32 v34, v36, v34, v35

	;;#ASMEND
	v_and_b32_e32 v36, 0x7fffffff, v31
	v_and_b32_e32 v35, 0x7fffffff, v30
	;;#ASMSTART
	v_max3_f32 v34, v34, v35, v36

	;;#ASMEND
	v_and_b32_e32 v36, 0x7fffffff, v27
	v_and_b32_e32 v35, 0x7fffffff, v26
	;;#ASMSTART
	v_max3_f32 v34, v34, v35, v36

	;;#ASMEND
	v_and_b32_e32 v36, 0x7fffffff, v23
	v_and_b32_e32 v35, 0x7fffffff, v22
	;;#ASMSTART
	v_max3_f32 v34, v34, v35, v36

	;;#ASMEND
	v_and_b32_e32 v36, 0x7fffffff, v29
	v_and_b32_e32 v35, 0x7fffffff, v28
	;;#ASMSTART
	v_max3_f32 v34, v34, v35, v36

	;;#ASMEND
	v_and_b32_e32 v36, 0x7fffffff, v25
	v_and_b32_e32 v35, 0x7fffffff, v24
	;;#ASMSTART
	v_max3_f32 v34, v34, v35, v36

	;;#ASMEND
	v_and_b32_e32 v36, 0x7fffffff, v21
	v_and_b32_e32 v35, 0x7fffffff, v20
	;;#ASMSTART
	v_max3_f32 v34, v34, v35, v36

	;;#ASMEND
	v_and_b32_e32 v36, 0x7fffffff, v17
	v_and_b32_e32 v35, 0x7fffffff, v16
	;;#ASMSTART
	v_max3_f32 v34, v34, v35, v36

	;;#ASMEND
	v_and_b32_e32 v36, 0x7fffffff, v19
	v_and_b32_e32 v35, 0x7fffffff, v18
	;;#ASMSTART
	v_max3_f32 v34, v34, v35, v36

	;;#ASMEND
	v_and_b32_e32 v36, 0x7fffffff, v15
	v_and_b32_e32 v35, 0x7fffffff, v14
	;;#ASMSTART
	v_max3_f32 v34, v34, v35, v36

	;;#ASMEND
	v_and_b32_e32 v36, 0x7fffffff, v11
	v_and_b32_e32 v35, 0x7fffffff, v10
	;;#ASMSTART
	v_max3_f32 v34, v34, v35, v36

	;;#ASMEND
	v_and_b32_e32 v36, 0x7fffffff, v7
	v_and_b32_e32 v35, 0x7fffffff, v6
	;;#ASMSTART
	v_max3_f32 v34, v34, v35, v36

	;;#ASMEND
	v_and_b32_e32 v36, 0x7fffffff, v13
	v_and_b32_e32 v35, 0x7fffffff, v12
	;;#ASMSTART
	v_max3_f32 v34, v34, v35, v36

	;;#ASMEND
	v_and_b32_e32 v36, 0x7fffffff, v9
	v_and_b32_e32 v35, 0x7fffffff, v8
	;;#ASMSTART
	v_max3_f32 v34, v34, v35, v36

	;;#ASMEND
	v_and_b32_e32 v36, 0x7fffffff, v5
	v_and_b32_e32 v35, 0x7fffffff, v4
	;;#ASMSTART
	v_max3_f32 v34, v34, v35, v36

	;;#ASMEND
	v_and_b32_e32 v36, 0x7fffffff, v3
	v_and_b32_e32 v35, 0x7fffffff, v2
	;;#ASMSTART
	v_max3_f32 v36, v34, v35, v36

	;;#ASMEND
	s_cbranch_scc0 .LBB88_10
; %bb.4:
	s_ashr_i32 s15, s11, 31
	s_lshr_b32 s2, s15, 27
	s_add_i32 s2, s11, s2
	s_ashr_i32 s18, s2, 5
	s_cmp_lt_i32 s18, 16
	s_cbranch_scc1 .LBB88_11
; %bb.5:
	s_cmp_lt_i32 s18, 32
	s_cbranch_scc1 .LBB88_12
; %bb.6:
	;; [unrolled: 3-line block ×3, first 2 shown]
	s_cmp_eq_u32 s18, 64
	v_mov_b32_e32 v34, v36
	s_cbranch_scc0 .LBB88_9
; %bb.8:
	s_nop 0
	v_mov_b32_dpp v34, v36 quad_perm:[1,0,3,2] row_mask:0xf bank_mask:0xf
	v_cmp_gt_f32_e32 vcc, v36, v34
	v_cndmask_b32_e32 v34, v34, v36, vcc
	v_bfrev_b32_e32 v37, 0.5
	s_nop 0
	v_mov_b32_dpp v35, v34 quad_perm:[2,3,0,1] row_mask:0xf bank_mask:0xf
	v_cmp_gt_f32_e32 vcc, v34, v35
	v_cndmask_b32_e32 v34, v35, v34, vcc
	s_nop 1
	v_mov_b32_dpp v35, v34 row_ror:4 row_mask:0xf bank_mask:0xf
	v_cmp_gt_f32_e32 vcc, v34, v35
	v_cndmask_b32_e32 v34, v35, v34, vcc
	s_nop 1
	v_mov_b32_dpp v35, v34 row_ror:8 row_mask:0xf bank_mask:0xf
	v_cmp_gt_f32_e32 vcc, v34, v35
	v_cndmask_b32_e32 v34, v35, v34, vcc
	s_nop 1
	v_mov_b32_dpp v35, v34 row_bcast:15 row_mask:0xf bank_mask:0xf
	v_cmp_gt_f32_e32 vcc, v34, v35
	v_cndmask_b32_e32 v34, v35, v34, vcc
	s_nop 1
	v_mov_b32_dpp v35, v34 row_bcast:31 row_mask:0xf bank_mask:0xf
	v_cmp_gt_f32_e32 vcc, v34, v35
	v_cndmask_b32_e32 v34, v35, v34, vcc
	v_mbcnt_lo_u32_b32 v35, -1, 0
	v_mbcnt_hi_u32_b32 v35, -1, v35
	v_lshl_or_b32 v35, v35, 2, v37
	ds_bpermute_b32 v34, v35, v34
.LBB88_9:
	s_mov_b64 s[2:3], 0
	s_branch .LBB88_14
.LBB88_10:
	s_mov_b64 s[2:3], 0
                                        ; implicit-def: $vgpr37
                                        ; implicit-def: $vgpr34_vgpr35
	s_cbranch_execnz .LBB88_43
	s_branch .LBB88_46
.LBB88_11:
                                        ; implicit-def: $vgpr34
	s_branch .LBB88_21
.LBB88_12:
                                        ; implicit-def: $vgpr34
	s_branch .LBB88_18
.LBB88_13:
	s_mov_b64 s[2:3], -1
                                        ; implicit-def: $vgpr34
.LBB88_14:
	s_andn2_b64 vcc, exec, s[2:3]
	s_cbranch_vccnz .LBB88_17
; %bb.15:
	s_cmp_eq_u32 s18, 32
	s_waitcnt lgkmcnt(0)
	v_mov_b32_e32 v34, v36
	s_cbranch_scc0 .LBB88_17
; %bb.16:
	s_nop 0
	v_mov_b32_dpp v34, v36 quad_perm:[1,0,3,2] row_mask:0xf bank_mask:0xf
	v_cmp_gt_f32_e32 vcc, v36, v34
	v_cndmask_b32_e32 v34, v34, v36, vcc
	v_mov_b32_e32 v37, 0x7c
	s_nop 0
	v_mov_b32_dpp v35, v34 quad_perm:[2,3,0,1] row_mask:0xf bank_mask:0xf
	v_cmp_gt_f32_e32 vcc, v34, v35
	v_cndmask_b32_e32 v34, v35, v34, vcc
	s_nop 1
	v_mov_b32_dpp v35, v34 row_half_mirror row_mask:0xf bank_mask:0xf
	v_cmp_gt_f32_e32 vcc, v34, v35
	v_cndmask_b32_e32 v34, v35, v34, vcc
	s_nop 1
	v_mov_b32_dpp v35, v34 row_mirror row_mask:0xf bank_mask:0xf
	v_cmp_gt_f32_e32 vcc, v34, v35
	v_cndmask_b32_e32 v34, v35, v34, vcc
	s_nop 1
	v_mov_b32_dpp v35, v34 row_bcast:15 row_mask:0xa bank_mask:0xf
	v_cmp_gt_f32_e32 vcc, v34, v35
	v_cndmask_b32_e32 v34, v35, v34, vcc
	v_mbcnt_lo_u32_b32 v35, -1, 0
	v_mbcnt_hi_u32_b32 v35, -1, v35
	v_lshl_or_b32 v35, v35, 2, v37
	ds_bpermute_b32 v34, v35, v34
.LBB88_17:
	s_cbranch_execnz .LBB88_20
.LBB88_18:
	s_cmp_eq_u32 s18, 16
	s_waitcnt lgkmcnt(0)
	v_mov_b32_e32 v34, v36
	s_cbranch_scc0 .LBB88_20
; %bb.19:
	s_nop 0
	v_mov_b32_dpp v34, v36 quad_perm:[1,0,3,2] row_mask:0xf bank_mask:0xf
	v_cmp_gt_f32_e32 vcc, v36, v34
	v_cndmask_b32_e32 v34, v34, v36, vcc
	s_nop 1
	v_mov_b32_dpp v35, v34 quad_perm:[2,3,0,1] row_mask:0xf bank_mask:0xf
	v_cmp_gt_f32_e32 vcc, v34, v35
	v_cndmask_b32_e32 v34, v35, v34, vcc
	s_nop 1
	v_mov_b32_dpp v35, v34 row_half_mirror row_mask:0xf bank_mask:0xf
	v_cmp_gt_f32_e32 vcc, v34, v35
	v_cndmask_b32_e32 v34, v35, v34, vcc
	s_nop 1
	v_mov_b32_dpp v35, v34 row_mirror row_mask:0xf bank_mask:0xf
	v_cmp_gt_f32_e32 vcc, v34, v35
	v_cndmask_b32_e32 v34, v35, v34, vcc
.LBB88_20:
	s_cbranch_execnz .LBB88_33
.LBB88_21:
	s_cmp_lt_i32 s18, 4
	s_cbranch_scc1 .LBB88_25
; %bb.22:
	s_cmp_lt_i32 s18, 8
	s_cbranch_scc1 .LBB88_26
; %bb.23:
	s_cmp_eq_u32 s18, 8
	s_waitcnt lgkmcnt(0)
	v_mov_b32_e32 v34, v36
	s_cbranch_scc0 .LBB88_27
; %bb.24:
	s_nop 0
	v_mov_b32_dpp v34, v36 quad_perm:[1,0,3,2] row_mask:0xf bank_mask:0xf
	v_cmp_gt_f32_e32 vcc, v36, v34
	v_cndmask_b32_e32 v34, v34, v36, vcc
	s_nop 1
	v_mov_b32_dpp v35, v34 quad_perm:[2,3,0,1] row_mask:0xf bank_mask:0xf
	v_cmp_gt_f32_e32 vcc, v34, v35
	v_cndmask_b32_e32 v34, v35, v34, vcc
	s_nop 1
	v_mov_b32_dpp v35, v34 row_half_mirror row_mask:0xf bank_mask:0xf
	v_cmp_gt_f32_e32 vcc, v34, v35
	v_cndmask_b32_e32 v34, v35, v34, vcc
	s_cbranch_execz .LBB88_28
	s_branch .LBB88_30
.LBB88_25:
                                        ; implicit-def: $vgpr34
	s_branch .LBB88_31
.LBB88_26:
                                        ; implicit-def: $vgpr34
	s_branch .LBB88_28
.LBB88_27:
	s_cbranch_execnz .LBB88_30
.LBB88_28:
	s_cmp_eq_u32 s18, 4
	s_waitcnt lgkmcnt(0)
	v_mov_b32_e32 v34, v36
	s_cbranch_scc0 .LBB88_30
; %bb.29:
	s_nop 0
	v_mov_b32_dpp v34, v36 quad_perm:[1,0,3,2] row_mask:0xf bank_mask:0xf
	v_cmp_gt_f32_e32 vcc, v36, v34
	v_cndmask_b32_e32 v34, v34, v36, vcc
	s_nop 1
	v_mov_b32_dpp v35, v34 quad_perm:[2,3,0,1] row_mask:0xf bank_mask:0xf
	v_cmp_gt_f32_e32 vcc, v34, v35
	v_cndmask_b32_e32 v34, v35, v34, vcc
.LBB88_30:
	s_cbranch_execnz .LBB88_33
.LBB88_31:
	s_cmp_lg_u32 s18, 2
	s_waitcnt lgkmcnt(0)
	v_mov_b32_e32 v34, v36
	s_cbranch_scc1 .LBB88_33
; %bb.32:
	s_nop 0
	v_mov_b32_dpp v34, v36 quad_perm:[1,0,3,2] row_mask:0xf bank_mask:0xf
	v_cmp_gt_f32_e32 vcc, v36, v34
	v_cndmask_b32_e32 v34, v34, v36, vcc
.LBB88_33:
	v_cvt_f32_u32_e32 v35, s18
	s_waitcnt lgkmcnt(0)
	v_mul_f32_e32 v37, 0x3b124925, v34
	s_sub_i32 s2, 0, s18
	v_cmp_gt_u32_e32 vcc, s9, v52
	v_rcp_iflag_f32_e32 v35, v35
	s_mov_b64 s[16:17], 0
	v_mul_f32_e32 v34, 0x4f7ffffe, v35
	v_cvt_u32_f32_e32 v34, v34
	v_mul_lo_u32 v35, s2, v34
	v_mul_hi_u32 v35, v34, v35
	v_add_u32_e32 v34, v34, v35
	v_mul_hi_u32 v34, v0, v34
	v_mul_lo_u32 v35, v34, s18
	v_sub_u32_e32 v35, v0, v35
	v_add_u32_e32 v38, 1, v34
	v_cmp_le_u32_e64 s[2:3], s18, v35
	v_cndmask_b32_e64 v34, v34, v38, s[2:3]
	v_subrev_u32_e32 v38, s18, v35
	v_cndmask_b32_e64 v35, v35, v38, s[2:3]
	v_add_u32_e32 v38, 1, v34
	v_cmp_le_u32_e64 s[2:3], s18, v35
	v_cndmask_b32_e64 v38, v34, v38, s[2:3]
	v_mul_lo_u32 v34, v38, s18
	v_sub_u32_e32 v34, v0, v34
	v_cmp_eq_u32_e64 s[2:3], 0, v34
	s_and_b64 s[18:19], s[2:3], vcc
	s_mov_b64 s[2:3], 0
                                        ; implicit-def: $vgpr34_vgpr35
	s_and_saveexec_b64 s[20:21], s[18:19]
	s_xor_b64 s[18:19], exec, s[20:21]
	s_cbranch_execz .LBB88_42
; %bb.34:
	s_bitcmp0_b32 s14, 0
	s_cbranch_scc0 .LBB88_39
; %bb.35:
	s_ashr_i32 s2, s9, 31
	s_mul_hi_u32 s3, s9, s6
	s_mul_i32 s2, s2, s6
	s_add_i32 s21, s3, s2
	s_mul_i32 s20, s9, s6
	s_mov_b32 s14, s11
	s_or_b64 s[2:3], s[20:21], s[14:15]
	s_mov_b32 s2, 0
	s_cmp_lg_u64 s[2:3], 0
	s_cbranch_scc0 .LBB88_50
; %bb.36:
	s_add_u32 s2, s14, s15
	s_mov_b32 s24, s15
	s_mov_b32 s25, s15
	s_addc_u32 s3, s15, s15
	s_xor_b64 s[26:27], s[2:3], s[24:25]
	v_cvt_f32_u32_e32 v34, s26
	v_cvt_f32_u32_e32 v35, s27
	s_sub_u32 s2, 0, s26
	s_subb_u32 s3, 0, s27
	v_madmk_f32 v34, v35, 0x4f800000, v34
	v_rcp_f32_e32 v34, v34
	v_mul_f32_e32 v34, 0x5f7ffffc, v34
	v_mul_f32_e32 v35, 0x2f800000, v34
	v_trunc_f32_e32 v35, v35
	v_madmk_f32 v34, v35, 0xcf800000, v34
	v_cvt_u32_f32_e32 v35, v35
	v_cvt_u32_f32_e32 v34, v34
	v_readfirstlane_b32 s11, v35
	v_readfirstlane_b32 s15, v34
	s_mul_i32 s28, s2, s11
	s_mul_hi_u32 s30, s2, s15
	s_mul_i32 s29, s3, s15
	s_add_i32 s28, s30, s28
	s_add_i32 s28, s28, s29
	s_mul_i32 s31, s2, s15
	s_mul_hi_u32 s29, s15, s28
	s_mul_i32 s30, s15, s28
	s_mul_hi_u32 s15, s15, s31
	s_add_u32 s15, s15, s30
	s_addc_u32 s29, 0, s29
	s_mul_hi_u32 s33, s11, s31
	s_mul_i32 s31, s11, s31
	s_add_u32 s15, s15, s31
	s_mul_hi_u32 s30, s11, s28
	s_addc_u32 s15, s29, s33
	s_addc_u32 s29, s30, 0
	s_mul_i32 s28, s11, s28
	s_add_u32 s15, s15, s28
	s_addc_u32 s28, 0, s29
	v_add_co_u32_e32 v34, vcc, s15, v34
	s_cmp_lg_u64 vcc, 0
	s_addc_u32 s11, s11, s28
	v_readfirstlane_b32 s28, v34
	s_mul_i32 s15, s2, s11
	s_mul_hi_u32 s29, s2, s28
	s_add_i32 s15, s29, s15
	s_mul_i32 s3, s3, s28
	s_add_i32 s15, s15, s3
	s_mul_i32 s2, s2, s28
	s_mul_hi_u32 s29, s11, s2
	s_mul_i32 s30, s11, s2
	s_mul_i32 s33, s28, s15
	s_mul_hi_u32 s2, s28, s2
	s_mul_hi_u32 s31, s28, s15
	s_add_u32 s2, s2, s33
	s_addc_u32 s28, 0, s31
	s_add_u32 s2, s2, s30
	s_mul_hi_u32 s3, s11, s15
	s_addc_u32 s2, s28, s29
	s_addc_u32 s3, s3, 0
	s_mul_i32 s15, s11, s15
	s_add_u32 s2, s2, s15
	s_addc_u32 s3, 0, s3
	v_add_co_u32_e32 v34, vcc, s2, v34
	s_cmp_lg_u64 vcc, 0
	s_addc_u32 s11, s11, s3
	s_ashr_i32 s28, s21, 31
	s_add_u32 s2, s20, s28
	s_mov_b32 s29, s28
	s_addc_u32 s3, s21, s28
	s_xor_b64 s[30:31], s[2:3], s[28:29]
	v_readfirstlane_b32 s15, v34
	s_mul_i32 s3, s30, s11
	s_mul_hi_u32 s21, s30, s15
	s_mul_hi_u32 s2, s30, s11
	s_add_u32 s3, s21, s3
	s_addc_u32 s2, 0, s2
	s_mul_hi_u32 s33, s31, s15
	s_mul_i32 s15, s31, s15
	s_add_u32 s3, s3, s15
	s_mul_hi_u32 s21, s31, s11
	s_addc_u32 s2, s2, s33
	s_addc_u32 s3, s21, 0
	s_mul_i32 s11, s31, s11
	s_add_u32 s11, s2, s11
	s_addc_u32 s15, 0, s3
	s_mul_i32 s2, s26, s15
	s_mul_hi_u32 s3, s26, s11
	s_add_i32 s2, s3, s2
	s_mul_i32 s3, s27, s11
	s_add_i32 s21, s2, s3
	s_mul_i32 s3, s26, s11
	v_mov_b32_e32 v34, s3
	s_sub_i32 s2, s31, s21
	v_sub_co_u32_e32 v34, vcc, s30, v34
	s_cmp_lg_u64 vcc, 0
	s_subb_u32 s30, s2, s27
	v_subrev_co_u32_e64 v35, s[2:3], s26, v34
	s_cmp_lg_u64 s[2:3], 0
	s_subb_u32 s30, s30, 0
	s_cmp_ge_u32 s30, s27
	s_cselect_b32 s33, -1, 0
	v_cmp_le_u32_e64 s[2:3], s26, v35
	s_cmp_eq_u32 s30, s27
	v_cndmask_b32_e64 v35, 0, -1, s[2:3]
	v_mov_b32_e32 v39, s33
	s_cselect_b64 s[2:3], -1, 0
	v_cndmask_b32_e64 v35, v39, v35, s[2:3]
	s_add_u32 s2, s11, 1
	s_addc_u32 s30, s15, 0
	s_add_u32 s3, s11, 2
	s_addc_u32 s33, s15, 0
	v_mov_b32_e32 v39, s2
	v_mov_b32_e32 v40, s3
	v_cmp_ne_u32_e64 s[2:3], 0, v35
	v_cndmask_b32_e64 v35, v39, v40, s[2:3]
	v_mov_b32_e32 v39, s30
	v_mov_b32_e32 v40, s33
	s_cmp_lg_u64 vcc, 0
	v_cndmask_b32_e64 v39, v39, v40, s[2:3]
	s_subb_u32 s2, s31, s21
	s_cmp_ge_u32 s2, s27
	s_cselect_b32 s3, -1, 0
	v_cmp_le_u32_e32 vcc, s26, v34
	s_cmp_eq_u32 s2, s27
	v_cndmask_b32_e64 v34, 0, -1, vcc
	v_mov_b32_e32 v40, s3
	s_cselect_b64 vcc, -1, 0
	v_cndmask_b32_e32 v34, v40, v34, vcc
	v_mov_b32_e32 v40, s15
	v_cmp_ne_u32_e32 vcc, 0, v34
	v_cndmask_b32_e32 v34, v40, v39, vcc
	v_mov_b32_e32 v39, s11
	v_cndmask_b32_e32 v35, v39, v35, vcc
	s_xor_b64 s[2:3], s[28:29], s[24:25]
	v_xor_b32_e32 v35, s2, v35
	v_xor_b32_e32 v39, s3, v34
	v_mov_b32_e32 v40, s3
	v_subrev_co_u32_e32 v34, vcc, s2, v35
	v_subb_co_u32_e32 v35, vcc, v39, v40, vcc
	s_cbranch_execnz .LBB88_38
.LBB88_37:
	v_cvt_f32_u32_e32 v34, s14
	s_sub_i32 s2, 0, s14
	s_mov_b32 s3, 0
	v_rcp_iflag_f32_e32 v34, v34
	v_mul_f32_e32 v34, 0x4f7ffffe, v34
	v_cvt_u32_f32_e32 v34, v34
	v_readfirstlane_b32 s11, v34
	s_mul_i32 s2, s2, s11
	s_mul_hi_u32 s2, s11, s2
	s_add_i32 s11, s11, s2
	s_mul_hi_u32 s2, s20, s11
	s_mul_i32 s15, s2, s14
	s_sub_i32 s15, s20, s15
	s_add_i32 s11, s2, 1
	s_sub_i32 s20, s15, s14
	s_cmp_ge_u32 s15, s14
	s_cselect_b32 s2, s11, s2
	s_cselect_b32 s15, s20, s15
	s_add_i32 s11, s2, 1
	s_cmp_ge_u32 s15, s14
	s_cselect_b32 s2, s11, s2
	v_pk_mov_b32 v[34:35], s[2:3], s[2:3] op_sel:[0,1]
.LBB88_38:
	v_add_co_u32_e32 v34, vcc, v34, v38
	v_addc_co_u32_e32 v35, vcc, 0, v35, vcc
	s_branch .LBB88_41
.LBB88_39:
                                        ; implicit-def: $vgpr34_vgpr35
	s_cbranch_execz .LBB88_41
; %bb.40:
	v_mul_lo_u32 v34, v38, s8
	v_ashrrev_i32_e32 v35, 31, v34
	v_mov_b32_e32 v38, s7
	v_add_co_u32_e32 v34, vcc, s6, v34
	v_addc_co_u32_e32 v35, vcc, v35, v38, vcc
.LBB88_41:
	s_mov_b64 s[2:3], exec
.LBB88_42:
	s_or_b64 exec, exec, s[18:19]
	s_and_b64 vcc, exec, s[16:17]
	s_cbranch_vccz .LBB88_46
.LBB88_43:
	v_mov_b32_dpp v34, v36 quad_perm:[1,0,3,2] row_mask:0xf bank_mask:0xf
	v_cmp_gt_f32_e32 vcc, v36, v34
	v_cndmask_b32_e32 v34, v34, v36, vcc
	s_nop 1
	v_mov_b32_dpp v35, v34 quad_perm:[2,3,0,1] row_mask:0xf bank_mask:0xf
	v_cmp_gt_f32_e32 vcc, v34, v35
	v_cndmask_b32_e32 v34, v35, v34, vcc
	s_nop 1
	v_mov_b32_dpp v35, v34 row_half_mirror row_mask:0xf bank_mask:0xf
	v_cmp_gt_f32_e32 vcc, v34, v35
	v_cndmask_b32_e32 v34, v35, v34, vcc
	s_nop 1
	v_mov_b32_dpp v35, v34 row_mirror row_mask:0xf bank_mask:0xf
	v_cmp_gt_f32_e32 vcc, v34, v35
	v_cndmask_b32_e32 v34, v35, v34, vcc
	s_nop 1
	v_mov_b32_dpp v35, v34 row_bcast:15 row_mask:0xf bank_mask:0xf
	v_cmp_gt_f32_e32 vcc, v34, v35
	v_cndmask_b32_e32 v34, v35, v34, vcc
	s_nop 1
	v_mov_b32_dpp v35, v34 row_bcast:31 row_mask:0xf bank_mask:0xf
	s_and_saveexec_b64 s[2:3], s[0:1]
	s_cbranch_execz .LBB88_45
; %bb.44:
	v_lshrrev_b32_e32 v36, 4, v0
	v_cmp_gt_f32_e32 vcc, v34, v35
	v_and_b32_e32 v36, 60, v36
	v_cndmask_b32_e32 v34, v35, v34, vcc
	ds_write_b32 v36, v34
.LBB88_45:
	s_or_b64 exec, exec, s[2:3]
	s_waitcnt lgkmcnt(0)
	s_barrier
	ds_read_b32 v1, v1
	v_cmp_eq_u32_e64 s[2:3], 0, v0
	s_waitcnt lgkmcnt(0)
	v_mov_b32_dpp v34, v1 quad_perm:[1,0,3,2] row_mask:0xf bank_mask:0xf
	v_cmp_gt_f32_e32 vcc, v1, v34
	v_cndmask_b32_e32 v1, v34, v1, vcc
	s_nop 1
	v_mov_b32_dpp v34, v1 quad_perm:[2,3,0,1] row_mask:0xf bank_mask:0xf
	v_cmp_gt_f32_e32 vcc, v1, v34
	v_cndmask_b32_e32 v1, v34, v1, vcc
	v_mul_f32_e32 v37, 0x3b124925, v1
	v_pk_mov_b32 v[34:35], s[6:7], s[6:7] op_sel:[0,1]
.LBB88_46:
	s_and_saveexec_b64 s[0:1], s[2:3]
	s_cbranch_execz .LBB88_48
; %bb.47:
	v_lshlrev_b64 v[0:1], 2, v[34:35]
	v_mov_b32_e32 v34, s13
	v_add_co_u32_e32 v0, vcc, s12, v0
	v_addc_co_u32_e32 v1, vcc, v34, v1, vcc
	global_store_dword v[0:1], v37, off
.LBB88_48:
	s_or_b64 exec, exec, s[0:1]
	s_add_i32 s2, s9, 3
	;;#ASMSTART
	v_rcp_f32 v0, v37
	;;#ASMEND
	v_mov_b32_e32 v1, v0
	;;#ASMSTART
	v_pk_mul_f32 v[32:33], v[32:33], v[0:1]
	;;#ASMEND
	s_ashr_i32 s3, s2, 31
	v_mov_b32_e32 v34, 0xc3e00000
	v_mov_b32_e32 v35, 0x43e00000
	;;#ASMSTART
	v_med3_f32 v32, v32, v34, v35
v_med3_f32 v33, v33, v34, v35
v_cvt_pk_fp8_f32 v36, v32, v33
	;;#ASMEND
	;;#ASMSTART
	v_pk_mul_f32 v[30:31], v[30:31], v[0:1]
	;;#ASMEND
	s_load_dwordx2 s[0:1], s[4:5], 0x0
	s_lshr_b32 s3, s3, 30
	;;#ASMSTART
	v_med3_f32 v30, v30, v34, v35
v_med3_f32 v31, v31, v34, v35
v_cvt_pk_fp8_f32 v32, v30, v31
	;;#ASMEND
	;;#ASMSTART
	v_pk_mul_f32 v[26:27], v[26:27], v[0:1]
	;;#ASMEND
	s_add_i32 s2, s2, s3
	s_ashr_i32 s3, s10, 31
	;;#ASMSTART
	v_med3_f32 v26, v26, v34, v35
v_med3_f32 v27, v27, v34, v35
v_cvt_pk_fp8_f32 v31, v26, v27
	;;#ASMEND
	;;#ASMSTART
	v_pk_mul_f32 v[22:23], v[22:23], v[0:1]
	;;#ASMEND
	s_mul_hi_u32 s4, s10, s6
	s_mul_i32 s3, s3, s6
	;;#ASMSTART
	v_med3_f32 v22, v22, v34, v35
v_med3_f32 v23, v23, v34, v35
v_cvt_pk_fp8_f32 v26, v22, v23
	;;#ASMEND
	s_add_i32 s4, s4, s3
	s_mul_i32 s3, s10, s6
	s_mov_b32 s6, 0x1000504
	;;#ASMSTART
	v_pk_mul_f32 v[22:23], v[28:29], v[0:1]
	;;#ASMEND
	s_and_b32 s2, s2, -4
	v_perm_b32 v31, v31, v26, s6
	;;#ASMSTART
	v_med3_f32 v22, v22, v34, v35
v_med3_f32 v23, v23, v34, v35
v_cvt_pk_fp8_f32 v26, v22, v23
	;;#ASMEND
	s_waitcnt lgkmcnt(0)
	s_add_u32 s0, s0, s3
	;;#ASMSTART
	v_pk_mul_f32 v[22:23], v[24:25], v[0:1]
	;;#ASMEND
	s_addc_u32 s1, s1, s4
	s_mov_b32 s4, 0x5040100
	;;#ASMSTART
	v_med3_f32 v22, v22, v34, v35
v_med3_f32 v23, v23, v34, v35
v_cvt_pk_fp8_f32 v24, v22, v23
	;;#ASMEND
	;;#ASMSTART
	v_pk_mul_f32 v[20:21], v[20:21], v[0:1]
	;;#ASMEND
	v_perm_b32 v30, v32, v36, s4
	s_mov_b32 s5, 0x1060504
	;;#ASMSTART
	v_med3_f32 v20, v20, v34, v35
v_med3_f32 v21, v21, v34, v35
v_cvt_pk_fp8_f32 v22, v20, v21
	;;#ASMEND
	;;#ASMSTART
	v_pk_mul_f32 v[16:17], v[16:17], v[0:1]
	;;#ASMEND
	s_and_b32 s1, s1, 0xffff
	s_mov_b32 s3, 0x20000
	v_perm_b32 v30, v30, v32, s5
	v_perm_b32 v32, v26, v24, s6
	;;#ASMSTART
	v_med3_f32 v16, v16, v34, v35
v_med3_f32 v17, v17, v34, v35
v_cvt_pk_fp8_f32 v20, v16, v17
	;;#ASMEND
	v_perm_b32 v33, v22, v20, s6
	buffer_store_dwordx4 v[30:33], v52, s[0:3], 0 offen
	;;#ASMSTART
	s_nop 0
	;;#ASMEND
	;;#ASMSTART
	v_pk_mul_f32 v[16:17], v[18:19], v[0:1]
	;;#ASMEND
	;;#ASMSTART
	v_med3_f32 v16, v16, v34, v35
v_med3_f32 v17, v17, v34, v35
v_cvt_pk_fp8_f32 v18, v16, v17
	;;#ASMEND
	;;#ASMSTART
	v_pk_mul_f32 v[14:15], v[14:15], v[0:1]
	;;#ASMEND
	;;#ASMSTART
	v_med3_f32 v14, v14, v34, v35
v_med3_f32 v15, v15, v34, v35
v_cvt_pk_fp8_f32 v16, v14, v15
	;;#ASMEND
	;;#ASMSTART
	v_pk_mul_f32 v[10:11], v[10:11], v[0:1]
	;;#ASMEND
	;;#ASMSTART
	v_med3_f32 v10, v10, v34, v35
v_med3_f32 v11, v11, v34, v35
v_cvt_pk_fp8_f32 v15, v10, v11
	;;#ASMEND
	;;#ASMSTART
	v_pk_mul_f32 v[6:7], v[6:7], v[0:1]
	;;#ASMEND
	;;#ASMSTART
	v_med3_f32 v6, v6, v34, v35
v_med3_f32 v7, v7, v34, v35
v_cvt_pk_fp8_f32 v10, v6, v7
	;;#ASMEND
	;;#ASMSTART
	v_pk_mul_f32 v[6:7], v[12:13], v[0:1]
	;;#ASMEND
	v_perm_b32 v15, v15, v10, s6
	;;#ASMSTART
	v_med3_f32 v6, v6, v34, v35
v_med3_f32 v7, v7, v34, v35
v_cvt_pk_fp8_f32 v10, v6, v7
	;;#ASMEND
	;;#ASMSTART
	v_pk_mul_f32 v[6:7], v[8:9], v[0:1]
	;;#ASMEND
	;;#ASMSTART
	v_med3_f32 v6, v6, v34, v35
v_med3_f32 v7, v7, v34, v35
v_cvt_pk_fp8_f32 v8, v6, v7
	;;#ASMEND
	;;#ASMSTART
	v_pk_mul_f32 v[4:5], v[4:5], v[0:1]
	;;#ASMEND
	v_perm_b32 v14, v16, v18, s4
	;;#ASMSTART
	v_med3_f32 v4, v4, v34, v35
v_med3_f32 v5, v5, v34, v35
v_cvt_pk_fp8_f32 v6, v4, v5
	;;#ASMEND
	;;#ASMSTART
	v_pk_mul_f32 v[0:1], v[2:3], v[0:1]
	;;#ASMEND
	v_perm_b32 v14, v14, v16, s5
	v_perm_b32 v16, v10, v8, s6
	;;#ASMSTART
	v_med3_f32 v0, v0, v34, v35
v_med3_f32 v1, v1, v34, v35
v_cvt_pk_fp8_f32 v2, v0, v1
	;;#ASMEND
	v_perm_b32 v17, v6, v2, s6
	buffer_store_dwordx4 v[14:17], v52, s[0:3], 16 offen
	;;#ASMSTART
	s_nop 0
	;;#ASMEND
.LBB88_49:
	s_endpgm
.LBB88_50:
                                        ; implicit-def: $vgpr34_vgpr35
	s_branch .LBB88_37
	.section	.rodata,"a",@progbits
	.p2align	6, 0x0
	.amdhsa_kernel _ZN5aiter24add_rmsnorm_quant_kernelItDB8_Li256ELi32ELb0ELb1ELb0ELi1EEEvPT0_PT_PfS5_S5_S5_diiiiiiib
		.amdhsa_group_segment_fixed_size 32
		.amdhsa_private_segment_fixed_size 0
		.amdhsa_kernarg_size 88
		.amdhsa_user_sgpr_count 6
		.amdhsa_user_sgpr_private_segment_buffer 1
		.amdhsa_user_sgpr_dispatch_ptr 0
		.amdhsa_user_sgpr_queue_ptr 0
		.amdhsa_user_sgpr_kernarg_segment_ptr 1
		.amdhsa_user_sgpr_dispatch_id 0
		.amdhsa_user_sgpr_flat_scratch_init 0
		.amdhsa_user_sgpr_kernarg_preload_length 0
		.amdhsa_user_sgpr_kernarg_preload_offset 0
		.amdhsa_user_sgpr_private_segment_size 0
		.amdhsa_uses_dynamic_stack 0
		.amdhsa_system_sgpr_private_segment_wavefront_offset 0
		.amdhsa_system_sgpr_workgroup_id_x 1
		.amdhsa_system_sgpr_workgroup_id_y 0
		.amdhsa_system_sgpr_workgroup_id_z 0
		.amdhsa_system_sgpr_workgroup_info 0
		.amdhsa_system_vgpr_workitem_id 0
		.amdhsa_next_free_vgpr 68
		.amdhsa_next_free_sgpr 34
		.amdhsa_accum_offset 68
		.amdhsa_reserve_vcc 1
		.amdhsa_reserve_flat_scratch 0
		.amdhsa_float_round_mode_32 0
		.amdhsa_float_round_mode_16_64 0
		.amdhsa_float_denorm_mode_32 3
		.amdhsa_float_denorm_mode_16_64 3
		.amdhsa_dx10_clamp 1
		.amdhsa_ieee_mode 1
		.amdhsa_fp16_overflow 0
		.amdhsa_tg_split 0
		.amdhsa_exception_fp_ieee_invalid_op 0
		.amdhsa_exception_fp_denorm_src 0
		.amdhsa_exception_fp_ieee_div_zero 0
		.amdhsa_exception_fp_ieee_overflow 0
		.amdhsa_exception_fp_ieee_underflow 0
		.amdhsa_exception_fp_ieee_inexact 0
		.amdhsa_exception_int_div_zero 0
	.end_amdhsa_kernel
	.section	.text._ZN5aiter24add_rmsnorm_quant_kernelItDB8_Li256ELi32ELb0ELb1ELb0ELi1EEEvPT0_PT_PfS5_S5_S5_diiiiiiib,"axG",@progbits,_ZN5aiter24add_rmsnorm_quant_kernelItDB8_Li256ELi32ELb0ELb1ELb0ELi1EEEvPT0_PT_PfS5_S5_S5_diiiiiiib,comdat
.Lfunc_end88:
	.size	_ZN5aiter24add_rmsnorm_quant_kernelItDB8_Li256ELi32ELb0ELb1ELb0ELi1EEEvPT0_PT_PfS5_S5_S5_diiiiiiib, .Lfunc_end88-_ZN5aiter24add_rmsnorm_quant_kernelItDB8_Li256ELi32ELb0ELb1ELb0ELi1EEEvPT0_PT_PfS5_S5_S5_diiiiiiib
                                        ; -- End function
	.section	.AMDGPU.csdata,"",@progbits
; Kernel info:
; codeLenInByte = 4744
; NumSgprs: 38
; NumVgprs: 68
; NumAgprs: 0
; TotalNumVgprs: 68
; ScratchSize: 0
; MemoryBound: 0
; FloatMode: 240
; IeeeMode: 1
; LDSByteSize: 32 bytes/workgroup (compile time only)
; SGPRBlocks: 4
; VGPRBlocks: 8
; NumSGPRsForWavesPerEU: 38
; NumVGPRsForWavesPerEU: 68
; AccumOffset: 68
; Occupancy: 7
; WaveLimiterHint : 0
; COMPUTE_PGM_RSRC2:SCRATCH_EN: 0
; COMPUTE_PGM_RSRC2:USER_SGPR: 6
; COMPUTE_PGM_RSRC2:TRAP_HANDLER: 0
; COMPUTE_PGM_RSRC2:TGID_X_EN: 1
; COMPUTE_PGM_RSRC2:TGID_Y_EN: 0
; COMPUTE_PGM_RSRC2:TGID_Z_EN: 0
; COMPUTE_PGM_RSRC2:TIDIG_COMP_CNT: 0
; COMPUTE_PGM_RSRC3_GFX90A:ACCUM_OFFSET: 16
; COMPUTE_PGM_RSRC3_GFX90A:TG_SPLIT: 0
	.section	.text._ZN5aiter24add_rmsnorm_quant_kernelIDF16_aLi64ELi8ELb0ELb1ELb1ELi1EEEvPT0_PT_PfS4_S4_S4_diiiiiiib,"axG",@progbits,_ZN5aiter24add_rmsnorm_quant_kernelIDF16_aLi64ELi8ELb0ELb1ELb1ELi1EEEvPT0_PT_PfS4_S4_S4_diiiiiiib,comdat
	.protected	_ZN5aiter24add_rmsnorm_quant_kernelIDF16_aLi64ELi8ELb0ELb1ELb1ELi1EEEvPT0_PT_PfS4_S4_S4_diiiiiiib ; -- Begin function _ZN5aiter24add_rmsnorm_quant_kernelIDF16_aLi64ELi8ELb0ELb1ELb1ELi1EEEvPT0_PT_PfS4_S4_S4_diiiiiiib
	.globl	_ZN5aiter24add_rmsnorm_quant_kernelIDF16_aLi64ELi8ELb0ELb1ELb1ELi1EEEvPT0_PT_PfS4_S4_S4_diiiiiiib
	.p2align	8
	.type	_ZN5aiter24add_rmsnorm_quant_kernelIDF16_aLi64ELi8ELb0ELb1ELb1ELi1EEEvPT0_PT_PfS4_S4_S4_diiiiiiib,@function
_ZN5aiter24add_rmsnorm_quant_kernelIDF16_aLi64ELi8ELb0ELb1ELb1ELi1EEEvPT0_PT_PfS4_S4_S4_diiiiiiib: ; @_ZN5aiter24add_rmsnorm_quant_kernelIDF16_aLi64ELi8ELb0ELb1ELb1ELi1EEEvPT0_PT_PfS4_S4_S4_diiiiiiib
; %bb.0:
	s_load_dwordx4 s[8:11], s[4:5], 0x38
	s_mov_b32 s7, 0
	s_waitcnt lgkmcnt(0)
	s_ashr_i32 s0, s8, 31
	v_mov_b32_e32 v2, s8
	v_mov_b32_e32 v3, s0
	v_cmp_ge_i64_e32 vcc, s[6:7], v[2:3]
	s_cbranch_vccnz .LBB89_45
; %bb.1:
	s_load_dwordx4 s[12:15], s[4:5], 0x10
	s_load_dwordx4 s[0:3], s[4:5], 0x28
	s_ashr_i32 s11, s10, 31
	s_mul_hi_u32 s16, s10, s6
	s_mul_i32 s11, s11, s6
	s_add_i32 s11, s16, s11
	s_mul_i32 s10, s10, s6
	s_lshl_b64 s[10:11], s[10:11], 1
	s_waitcnt lgkmcnt(0)
	s_add_u32 s16, s14, s10
	s_addc_u32 s10, s15, s11
	s_add_i32 s11, s9, 1
	s_lshr_b32 s14, s11, 31
	s_add_i32 s11, s11, s14
	s_lshl_b32 s11, s11, 1
	s_and_b32 s18, s11, -4
	s_and_b32 s17, s10, 0xffff
	s_mov_b32 s19, 0x20000
	v_lshlrev_b32_e32 v1, 4, v0
	buffer_load_dwordx4 v[6:9], v1, s[16:19], 0 offen glc slc
	s_and_b32 s17, s1, 0xffff
	s_mov_b32 s16, s0
	buffer_load_dwordx4 v[2:5], v1, s[16:19], 0 offen
	v_mbcnt_lo_u32_b32 v10, -1, 0
	v_mbcnt_hi_u32_b32 v10, -1, v10
	v_lshlrev_b32_e32 v10, 2, v10
	v_or_b32_e32 v12, 0xfc, v10
	v_cvt_f32_i32_e32 v11, s9
	s_mov_b32 s14, 0x800000
	s_load_dwordx2 s[10:11], s[4:5], 0x4c
	s_load_dword s18, s[4:5], 0x54
	v_mov_b32_e32 v13, 0x2edbe6ff
	v_lshlrev_b32_e32 v1, 3, v0
	s_waitcnt lgkmcnt(0)
	s_cmp_lg_u32 s11, 0
	s_waitcnt vmcnt(1)
	v_cvt_f32_f16_e32 v14, v6
	v_cvt_f32_f16_sdwa v15, v6 dst_sel:DWORD dst_unused:UNUSED_PAD src0_sel:WORD_1
	v_cvt_f32_f16_e32 v6, v7
	v_cvt_f32_f16_sdwa v7, v7 dst_sel:DWORD dst_unused:UNUSED_PAD src0_sel:WORD_1
	;; [unrolled: 2-line block ×3, first 2 shown]
	v_pk_mul_f32 v[20:21], v[14:15], v[14:15]
	v_cvt_f32_f16_e32 v8, v9
	v_cvt_f32_f16_sdwa v9, v9 dst_sel:DWORD dst_unused:UNUSED_PAD src0_sel:WORD_1
	v_pk_mul_f32 v[22:23], v[6:7], v[6:7]
	v_add_f32_e32 v19, v20, v21
	v_add_f32_e32 v19, v22, v19
	v_pk_mul_f32 v[24:25], v[16:17], v[16:17]
	v_add_f32_e32 v19, v23, v19
	v_add_f32_e32 v19, v24, v19
	;; [unrolled: 3-line block ×3, first 2 shown]
	v_add_f32_e32 v19, v27, v19
	s_waitcnt vmcnt(0)
	v_cvt_f32_f16_e32 v18, v2
	v_mov_b32_dpp v20, v19 quad_perm:[1,0,3,2] row_mask:0xf bank_mask:0xf
	v_add_f32_e32 v19, v19, v20
	s_nop 1
	v_mov_b32_dpp v20, v19 quad_perm:[2,3,0,1] row_mask:0xf bank_mask:0xf
	v_add_f32_e32 v19, v19, v20
	s_nop 1
	v_mov_b32_dpp v20, v19 row_half_mirror row_mask:0xf bank_mask:0xf
	v_add_f32_e32 v19, v19, v20
	s_nop 1
	v_mov_b32_dpp v20, v19 row_mirror row_mask:0xf bank_mask:0xf
	v_add_f32_e32 v19, v19, v20
	s_nop 1
	v_mov_b32_dpp v20, v19 row_bcast:15 row_mask:0xf bank_mask:0xf
	v_add_f32_e32 v19, v19, v20
	s_nop 1
	v_mov_b32_dpp v20, v19 row_bcast:31 row_mask:0xf bank_mask:0xf
	v_add_f32_e32 v19, v19, v20
	ds_bpermute_b32 v21, v12, v19
	v_cvt_f32_f16_e32 v20, v4
	v_cvt_f32_f16_sdwa v19, v2 dst_sel:DWORD dst_unused:UNUSED_PAD src0_sel:WORD_1
	v_cvt_f32_f16_e32 v2, v3
	v_cvt_f32_f16_sdwa v3, v3 dst_sel:DWORD dst_unused:UNUSED_PAD src0_sel:WORD_1
	s_waitcnt lgkmcnt(0)
	v_div_scale_f32 v22, s[0:1], v11, v11, v21
	v_rcp_f32_e32 v23, v22
	v_div_scale_f32 v24, vcc, v21, v11, v21
	v_fma_f32 v25, -v22, v23, 1.0
	v_fmac_f32_e32 v23, v25, v23
	v_mul_f32_e32 v25, v24, v23
	v_fma_f32 v26, -v22, v25, v24
	v_fmac_f32_e32 v25, v26, v23
	v_fma_f32 v22, -v22, v25, v24
	v_div_fmas_f32 v22, v22, v23, v25
	v_div_fixup_f32 v11, v22, v11, v21
	v_cvt_f64_f32_e32 v[22:23], v11
	v_add_f64 v[22:23], v[22:23], s[2:3]
	v_cvt_f32_f64_e32 v11, v[22:23]
	v_mul_f32_e32 v21, 0x4b800000, v11
	v_cmp_gt_f32_e32 vcc, s14, v11
	v_cndmask_b32_e32 v11, v11, v21, vcc
	v_rsq_f32_e32 v11, v11
	v_cvt_f32_f16_sdwa v21, v4 dst_sel:DWORD dst_unused:UNUSED_PAD src0_sel:WORD_1
	v_cvt_f32_f16_e32 v22, v5
	v_cvt_f32_f16_sdwa v23, v5 dst_sel:DWORD dst_unused:UNUSED_PAD src0_sel:WORD_1
	v_mul_f32_e32 v4, 0x45800000, v11
	v_cndmask_b32_e32 v4, v11, v4, vcc
	v_mov_b32_e32 v5, v4
	;;#ASMSTART
	v_pk_mul_f32 v[14:15], v[14:15], v[4:5]
	;;#ASMEND
	;;#ASMSTART
	v_pk_mul_f32 v[6:7], v[6:7], v[4:5]
	;;#ASMEND
	;; [unrolled: 3-line block ×5, first 2 shown]
	v_and_b32_e32 v11, 0x7fffffff, v8
	;;#ASMSTART
	v_pk_mul_f32 v[6:7], v[6:7], v[2:3]
	;;#ASMEND
	;;#ASMSTART
	v_pk_mul_f32 v[4:5], v[16:17], v[20:21]
	;;#ASMEND
	;; [unrolled: 3-line block ×3, first 2 shown]
	v_and_b32_e32 v14, 0x7fffffff, v9
	;;#ASMSTART
	v_max3_f32 v11, v13, v11, v14

	;;#ASMEND
	v_and_b32_e32 v15, 0x7fffffff, v6
	v_and_b32_e32 v16, 0x7fffffff, v7
	;;#ASMSTART
	v_max3_f32 v11, v11, v15, v16

	;;#ASMEND
	v_and_b32_e32 v17, 0x7fffffff, v4
	v_and_b32_e32 v18, 0x7fffffff, v5
	;; [unrolled: 1-line block ×4, first 2 shown]
	;;#ASMSTART
	v_max3_f32 v11, v11, v17, v18

	;;#ASMEND
	;;#ASMSTART
	v_max3_f32 v13, v11, v19, v20

	;;#ASMEND
	s_cbranch_scc0 .LBB89_8
; %bb.2:
	s_ashr_i32 s3, s11, 31
	s_lshr_b32 s0, s3, 29
	s_add_i32 s0, s11, s0
	s_ashr_i32 s2, s0, 3
	s_cmp_lt_i32 s2, 16
	s_cbranch_scc1 .LBB89_9
; %bb.3:
	s_cmp_lt_i32 s2, 32
	s_cbranch_scc1 .LBB89_10
; %bb.4:
	s_cmp_lt_i32 s2, 64
	s_cbranch_scc1 .LBB89_11
; %bb.5:
	s_cmp_eq_u32 s2, 64
	v_mov_b32_e32 v11, v13
	s_cbranch_scc0 .LBB89_7
; %bb.6:
	s_nop 0
	v_mov_b32_dpp v11, v13 quad_perm:[1,0,3,2] row_mask:0xf bank_mask:0xf
	v_cmp_gt_f32_e32 vcc, v13, v11
	v_cndmask_b32_e32 v11, v11, v13, vcc
	s_nop 1
	v_mov_b32_dpp v14, v11 quad_perm:[2,3,0,1] row_mask:0xf bank_mask:0xf
	v_cmp_gt_f32_e32 vcc, v11, v14
	v_cndmask_b32_e32 v11, v14, v11, vcc
	s_nop 1
	v_mov_b32_dpp v14, v11 row_ror:4 row_mask:0xf bank_mask:0xf
	v_cmp_gt_f32_e32 vcc, v11, v14
	v_cndmask_b32_e32 v11, v14, v11, vcc
	s_nop 1
	v_mov_b32_dpp v14, v11 row_ror:8 row_mask:0xf bank_mask:0xf
	v_cmp_gt_f32_e32 vcc, v11, v14
	v_cndmask_b32_e32 v11, v14, v11, vcc
	s_nop 1
	v_mov_b32_dpp v14, v11 row_bcast:15 row_mask:0xf bank_mask:0xf
	v_cmp_gt_f32_e32 vcc, v11, v14
	v_cndmask_b32_e32 v11, v14, v11, vcc
	s_nop 1
	v_mov_b32_dpp v14, v11 row_bcast:31 row_mask:0xf bank_mask:0xf
	v_cmp_gt_f32_e32 vcc, v11, v14
	v_cndmask_b32_e32 v11, v14, v11, vcc
	ds_bpermute_b32 v11, v12, v11
.LBB89_7:
	s_mov_b64 s[0:1], 0
	s_branch .LBB89_12
.LBB89_8:
	s_mov_b64 s[0:1], 0
                                        ; implicit-def: $vgpr14
                                        ; implicit-def: $vgpr10_vgpr11
	s_cbranch_execnz .LBB89_41
	s_branch .LBB89_42
.LBB89_9:
                                        ; implicit-def: $vgpr11
	s_branch .LBB89_19
.LBB89_10:
                                        ; implicit-def: $vgpr11
	s_branch .LBB89_16
.LBB89_11:
	s_mov_b64 s[0:1], -1
                                        ; implicit-def: $vgpr11
.LBB89_12:
	s_andn2_b64 vcc, exec, s[0:1]
	s_cbranch_vccnz .LBB89_15
; %bb.13:
	s_cmp_eq_u32 s2, 32
	s_waitcnt lgkmcnt(0)
	v_mov_b32_e32 v11, v13
	s_cbranch_scc0 .LBB89_15
; %bb.14:
	s_nop 0
	v_mov_b32_dpp v11, v13 quad_perm:[1,0,3,2] row_mask:0xf bank_mask:0xf
	v_cmp_gt_f32_e32 vcc, v13, v11
	v_cndmask_b32_e32 v11, v11, v13, vcc
	v_or_b32_e32 v10, 0x7c, v10
	s_nop 0
	v_mov_b32_dpp v14, v11 quad_perm:[2,3,0,1] row_mask:0xf bank_mask:0xf
	v_cmp_gt_f32_e32 vcc, v11, v14
	v_cndmask_b32_e32 v11, v14, v11, vcc
	s_nop 1
	v_mov_b32_dpp v14, v11 row_half_mirror row_mask:0xf bank_mask:0xf
	v_cmp_gt_f32_e32 vcc, v11, v14
	v_cndmask_b32_e32 v11, v14, v11, vcc
	s_nop 1
	v_mov_b32_dpp v14, v11 row_mirror row_mask:0xf bank_mask:0xf
	v_cmp_gt_f32_e32 vcc, v11, v14
	v_cndmask_b32_e32 v11, v14, v11, vcc
	s_nop 1
	v_mov_b32_dpp v14, v11 row_bcast:15 row_mask:0xa bank_mask:0xf
	v_cmp_gt_f32_e32 vcc, v11, v14
	v_cndmask_b32_e32 v11, v14, v11, vcc
	ds_bpermute_b32 v11, v10, v11
.LBB89_15:
	s_cbranch_execnz .LBB89_18
.LBB89_16:
	s_cmp_eq_u32 s2, 16
	s_waitcnt lgkmcnt(0)
	v_mov_b32_e32 v11, v13
	s_cbranch_scc0 .LBB89_18
; %bb.17:
	v_mov_b32_dpp v10, v13 quad_perm:[1,0,3,2] row_mask:0xf bank_mask:0xf
	v_cmp_gt_f32_e32 vcc, v13, v10
	v_cndmask_b32_e32 v10, v10, v13, vcc
	s_nop 1
	v_mov_b32_dpp v11, v10 quad_perm:[2,3,0,1] row_mask:0xf bank_mask:0xf
	v_cmp_gt_f32_e32 vcc, v10, v11
	v_cndmask_b32_e32 v10, v11, v10, vcc
	s_nop 1
	v_mov_b32_dpp v11, v10 row_half_mirror row_mask:0xf bank_mask:0xf
	v_cmp_gt_f32_e32 vcc, v10, v11
	v_cndmask_b32_e32 v10, v11, v10, vcc
	s_nop 1
	v_mov_b32_dpp v11, v10 row_mirror row_mask:0xf bank_mask:0xf
	v_cmp_gt_f32_e32 vcc, v10, v11
	v_cndmask_b32_e32 v11, v11, v10, vcc
.LBB89_18:
	s_cbranch_execnz .LBB89_31
.LBB89_19:
	s_cmp_lt_i32 s2, 4
	s_cbranch_scc1 .LBB89_23
; %bb.20:
	s_cmp_lt_i32 s2, 8
	s_cbranch_scc1 .LBB89_24
; %bb.21:
	s_cmp_eq_u32 s2, 8
	s_waitcnt lgkmcnt(0)
	v_mov_b32_e32 v11, v13
	s_cbranch_scc0 .LBB89_25
; %bb.22:
	v_mov_b32_dpp v10, v13 quad_perm:[1,0,3,2] row_mask:0xf bank_mask:0xf
	v_cmp_gt_f32_e32 vcc, v13, v10
	v_cndmask_b32_e32 v10, v10, v13, vcc
	s_nop 1
	v_mov_b32_dpp v11, v10 quad_perm:[2,3,0,1] row_mask:0xf bank_mask:0xf
	v_cmp_gt_f32_e32 vcc, v10, v11
	v_cndmask_b32_e32 v10, v11, v10, vcc
	s_nop 1
	v_mov_b32_dpp v11, v10 row_half_mirror row_mask:0xf bank_mask:0xf
	v_cmp_gt_f32_e32 vcc, v10, v11
	v_cndmask_b32_e32 v11, v11, v10, vcc
	s_cbranch_execz .LBB89_26
	s_branch .LBB89_28
.LBB89_23:
                                        ; implicit-def: $vgpr11
	s_branch .LBB89_29
.LBB89_24:
                                        ; implicit-def: $vgpr11
	s_branch .LBB89_26
.LBB89_25:
	s_cbranch_execnz .LBB89_28
.LBB89_26:
	s_cmp_eq_u32 s2, 4
	s_waitcnt lgkmcnt(0)
	v_mov_b32_e32 v11, v13
	s_cbranch_scc0 .LBB89_28
; %bb.27:
	v_mov_b32_dpp v10, v13 quad_perm:[1,0,3,2] row_mask:0xf bank_mask:0xf
	v_cmp_gt_f32_e32 vcc, v13, v10
	v_cndmask_b32_e32 v10, v10, v13, vcc
	s_nop 1
	v_mov_b32_dpp v11, v10 quad_perm:[2,3,0,1] row_mask:0xf bank_mask:0xf
	v_cmp_gt_f32_e32 vcc, v10, v11
	v_cndmask_b32_e32 v11, v11, v10, vcc
.LBB89_28:
	s_cbranch_execnz .LBB89_31
.LBB89_29:
	s_cmp_lg_u32 s2, 2
	s_waitcnt lgkmcnt(0)
	v_mov_b32_e32 v11, v13
	s_cbranch_scc1 .LBB89_31
; %bb.30:
	v_mov_b32_dpp v10, v13 quad_perm:[1,0,3,2] row_mask:0xf bank_mask:0xf
	v_cmp_gt_f32_e32 vcc, v13, v10
	v_cndmask_b32_e32 v11, v10, v13, vcc
.LBB89_31:
	v_cvt_f32_u32_e32 v10, s2
	s_sub_i32 s0, 0, s2
	s_waitcnt lgkmcnt(0)
	v_mul_f32_e32 v14, 0x3c010204, v11
	v_cmp_gt_u32_e32 vcc, s9, v1
	v_rcp_iflag_f32_e32 v10, v10
	s_mov_b64 s[14:15], 0
	v_mul_f32_e32 v10, 0x4f7ffffe, v10
	v_cvt_u32_f32_e32 v10, v10
	v_mul_lo_u32 v11, s0, v10
	v_mul_hi_u32 v11, v10, v11
	v_add_u32_e32 v10, v10, v11
	v_mul_hi_u32 v10, v0, v10
	v_mul_lo_u32 v11, v10, s2
	v_sub_u32_e32 v11, v0, v11
	v_add_u32_e32 v15, 1, v10
	v_cmp_le_u32_e64 s[0:1], s2, v11
	v_cndmask_b32_e64 v10, v10, v15, s[0:1]
	v_subrev_u32_e32 v15, s2, v11
	v_cndmask_b32_e64 v11, v11, v15, s[0:1]
	v_add_u32_e32 v15, 1, v10
	v_cmp_le_u32_e64 s[0:1], s2, v11
	v_cndmask_b32_e64 v15, v10, v15, s[0:1]
	v_mul_lo_u32 v10, v15, s2
	v_sub_u32_e32 v10, v0, v10
	v_cmp_eq_u32_e64 s[0:1], 0, v10
	s_and_b64 s[16:17], s[0:1], vcc
	s_mov_b64 s[0:1], 0
                                        ; implicit-def: $vgpr10_vgpr11
	s_and_saveexec_b64 s[20:21], s[16:17]
	s_xor_b64 s[16:17], exec, s[20:21]
	s_cbranch_execz .LBB89_40
; %bb.32:
	s_bitcmp0_b32 s18, 0
	s_cbranch_scc0 .LBB89_37
; %bb.33:
	s_ashr_i32 s0, s9, 31
	s_mul_hi_u32 s1, s9, s6
	s_mul_i32 s0, s0, s6
	s_add_i32 s19, s1, s0
	s_mul_i32 s18, s9, s6
	s_mov_b32 s2, s11
	s_or_b64 s[0:1], s[18:19], s[2:3]
	s_mov_b32 s0, 0
	s_cmp_lg_u64 s[0:1], 0
	s_cbranch_scc0 .LBB89_46
; %bb.34:
	s_add_u32 s0, s2, s3
	s_mov_b32 s22, s3
	s_mov_b32 s23, s3
	s_addc_u32 s1, s3, s3
	s_xor_b64 s[24:25], s[0:1], s[22:23]
	v_cvt_f32_u32_e32 v10, s24
	v_cvt_f32_u32_e32 v11, s25
	s_sub_u32 s0, 0, s24
	s_subb_u32 s1, 0, s25
	v_madmk_f32 v10, v11, 0x4f800000, v10
	v_rcp_f32_e32 v10, v10
	v_mul_f32_e32 v10, 0x5f7ffffc, v10
	v_mul_f32_e32 v11, 0x2f800000, v10
	v_trunc_f32_e32 v11, v11
	v_madmk_f32 v10, v11, 0xcf800000, v10
	v_cvt_u32_f32_e32 v11, v11
	v_cvt_u32_f32_e32 v10, v10
	v_readfirstlane_b32 s3, v11
	v_readfirstlane_b32 s11, v10
	s_mul_i32 s26, s0, s3
	s_mul_hi_u32 s28, s0, s11
	s_mul_i32 s27, s1, s11
	s_add_i32 s26, s28, s26
	s_add_i32 s26, s26, s27
	s_mul_i32 s29, s0, s11
	s_mul_hi_u32 s27, s11, s26
	s_mul_i32 s28, s11, s26
	s_mul_hi_u32 s11, s11, s29
	s_add_u32 s11, s11, s28
	s_addc_u32 s27, 0, s27
	s_mul_hi_u32 s30, s3, s29
	s_mul_i32 s29, s3, s29
	s_add_u32 s11, s11, s29
	s_mul_hi_u32 s28, s3, s26
	s_addc_u32 s11, s27, s30
	s_addc_u32 s27, s28, 0
	s_mul_i32 s26, s3, s26
	s_add_u32 s11, s11, s26
	s_addc_u32 s26, 0, s27
	v_add_co_u32_e32 v10, vcc, s11, v10
	s_cmp_lg_u64 vcc, 0
	s_addc_u32 s3, s3, s26
	v_readfirstlane_b32 s26, v10
	s_mul_i32 s11, s0, s3
	s_mul_hi_u32 s27, s0, s26
	s_add_i32 s11, s27, s11
	s_mul_i32 s1, s1, s26
	s_add_i32 s11, s11, s1
	s_mul_i32 s0, s0, s26
	s_mul_hi_u32 s27, s3, s0
	s_mul_i32 s28, s3, s0
	s_mul_i32 s30, s26, s11
	s_mul_hi_u32 s0, s26, s0
	s_mul_hi_u32 s29, s26, s11
	s_add_u32 s0, s0, s30
	s_addc_u32 s26, 0, s29
	s_add_u32 s0, s0, s28
	s_mul_hi_u32 s1, s3, s11
	s_addc_u32 s0, s26, s27
	s_addc_u32 s1, s1, 0
	s_mul_i32 s11, s3, s11
	s_add_u32 s0, s0, s11
	s_addc_u32 s1, 0, s1
	v_add_co_u32_e32 v10, vcc, s0, v10
	s_cmp_lg_u64 vcc, 0
	s_addc_u32 s3, s3, s1
	s_ashr_i32 s26, s19, 31
	s_add_u32 s0, s18, s26
	s_mov_b32 s27, s26
	s_addc_u32 s1, s19, s26
	s_xor_b64 s[28:29], s[0:1], s[26:27]
	v_readfirstlane_b32 s11, v10
	s_mul_i32 s1, s28, s3
	s_mul_hi_u32 s19, s28, s11
	s_mul_hi_u32 s0, s28, s3
	s_add_u32 s1, s19, s1
	s_addc_u32 s0, 0, s0
	s_mul_hi_u32 s30, s29, s11
	s_mul_i32 s11, s29, s11
	s_add_u32 s1, s1, s11
	s_mul_hi_u32 s19, s29, s3
	s_addc_u32 s0, s0, s30
	s_addc_u32 s1, s19, 0
	s_mul_i32 s3, s29, s3
	s_add_u32 s3, s0, s3
	s_addc_u32 s11, 0, s1
	s_mul_i32 s0, s24, s11
	s_mul_hi_u32 s1, s24, s3
	s_add_i32 s0, s1, s0
	s_mul_i32 s1, s25, s3
	s_add_i32 s19, s0, s1
	s_mul_i32 s1, s24, s3
	v_mov_b32_e32 v10, s1
	s_sub_i32 s0, s29, s19
	v_sub_co_u32_e32 v10, vcc, s28, v10
	s_cmp_lg_u64 vcc, 0
	s_subb_u32 s28, s0, s25
	v_subrev_co_u32_e64 v11, s[0:1], s24, v10
	s_cmp_lg_u64 s[0:1], 0
	s_subb_u32 s28, s28, 0
	s_cmp_ge_u32 s28, s25
	s_cselect_b32 s30, -1, 0
	v_cmp_le_u32_e64 s[0:1], s24, v11
	s_cmp_eq_u32 s28, s25
	v_cndmask_b32_e64 v11, 0, -1, s[0:1]
	v_mov_b32_e32 v16, s30
	s_cselect_b64 s[0:1], -1, 0
	v_cndmask_b32_e64 v11, v16, v11, s[0:1]
	s_add_u32 s0, s3, 1
	s_addc_u32 s28, s11, 0
	s_add_u32 s1, s3, 2
	s_addc_u32 s30, s11, 0
	v_mov_b32_e32 v16, s0
	v_mov_b32_e32 v17, s1
	v_cmp_ne_u32_e64 s[0:1], 0, v11
	v_cndmask_b32_e64 v11, v16, v17, s[0:1]
	v_mov_b32_e32 v16, s28
	v_mov_b32_e32 v17, s30
	s_cmp_lg_u64 vcc, 0
	v_cndmask_b32_e64 v16, v16, v17, s[0:1]
	s_subb_u32 s0, s29, s19
	s_cmp_ge_u32 s0, s25
	s_cselect_b32 s1, -1, 0
	v_cmp_le_u32_e32 vcc, s24, v10
	s_cmp_eq_u32 s0, s25
	v_cndmask_b32_e64 v10, 0, -1, vcc
	v_mov_b32_e32 v17, s1
	s_cselect_b64 vcc, -1, 0
	v_cndmask_b32_e32 v10, v17, v10, vcc
	v_mov_b32_e32 v17, s11
	v_cmp_ne_u32_e32 vcc, 0, v10
	v_cndmask_b32_e32 v10, v17, v16, vcc
	v_mov_b32_e32 v16, s3
	v_cndmask_b32_e32 v11, v16, v11, vcc
	s_xor_b64 s[0:1], s[26:27], s[22:23]
	v_xor_b32_e32 v11, s0, v11
	v_xor_b32_e32 v16, s1, v10
	v_mov_b32_e32 v17, s1
	v_subrev_co_u32_e32 v10, vcc, s0, v11
	v_subb_co_u32_e32 v11, vcc, v16, v17, vcc
	s_cbranch_execnz .LBB89_36
.LBB89_35:
	v_cvt_f32_u32_e32 v10, s2
	s_sub_i32 s0, 0, s2
	s_mov_b32 s1, 0
	v_rcp_iflag_f32_e32 v10, v10
	v_mul_f32_e32 v10, 0x4f7ffffe, v10
	v_cvt_u32_f32_e32 v10, v10
	v_readfirstlane_b32 s3, v10
	s_mul_i32 s0, s0, s3
	s_mul_hi_u32 s0, s3, s0
	s_add_i32 s3, s3, s0
	s_mul_hi_u32 s0, s18, s3
	s_mul_i32 s11, s0, s2
	s_sub_i32 s11, s18, s11
	s_add_i32 s3, s0, 1
	s_sub_i32 s18, s11, s2
	s_cmp_ge_u32 s11, s2
	s_cselect_b32 s0, s3, s0
	s_cselect_b32 s11, s18, s11
	s_add_i32 s3, s0, 1
	s_cmp_ge_u32 s11, s2
	s_cselect_b32 s0, s3, s0
	v_pk_mov_b32 v[10:11], s[0:1], s[0:1] op_sel:[0,1]
.LBB89_36:
	v_add_co_u32_e32 v10, vcc, v10, v15
	v_addc_co_u32_e32 v11, vcc, 0, v11, vcc
	s_branch .LBB89_39
.LBB89_37:
                                        ; implicit-def: $vgpr10_vgpr11
	s_cbranch_execz .LBB89_39
; %bb.38:
	v_mul_lo_u32 v10, v15, s8
	v_ashrrev_i32_e32 v11, 31, v10
	v_mov_b32_e32 v15, s7
	v_add_co_u32_e32 v10, vcc, s6, v10
	v_addc_co_u32_e32 v11, vcc, v11, v15, vcc
.LBB89_39:
	s_mov_b64 s[0:1], exec
.LBB89_40:
	s_or_b64 exec, exec, s[16:17]
	s_and_b64 vcc, exec, s[14:15]
	s_cbranch_vccz .LBB89_42
.LBB89_41:
	v_mov_b32_dpp v10, v13 quad_perm:[1,0,3,2] row_mask:0xf bank_mask:0xf
	v_cmp_gt_f32_e32 vcc, v13, v10
	v_cndmask_b32_e32 v10, v10, v13, vcc
	s_andn2_b64 s[0:1], s[0:1], exec
	s_nop 0
	v_mov_b32_dpp v11, v10 quad_perm:[2,3,0,1] row_mask:0xf bank_mask:0xf
	v_cmp_gt_f32_e32 vcc, v10, v11
	v_cndmask_b32_e32 v10, v11, v10, vcc
	s_nop 1
	v_mov_b32_dpp v11, v10 row_half_mirror row_mask:0xf bank_mask:0xf
	v_cmp_gt_f32_e32 vcc, v10, v11
	v_cndmask_b32_e32 v10, v11, v10, vcc
	s_nop 1
	v_mov_b32_dpp v11, v10 row_mirror row_mask:0xf bank_mask:0xf
	v_cmp_gt_f32_e32 vcc, v10, v11
	v_cndmask_b32_e32 v10, v11, v10, vcc
	s_nop 1
	v_mov_b32_dpp v11, v10 row_bcast:15 row_mask:0xf bank_mask:0xf
	v_cmp_gt_f32_e32 vcc, v10, v11
	v_cndmask_b32_e32 v10, v11, v10, vcc
	s_nop 1
	v_mov_b32_dpp v11, v10 row_bcast:31 row_mask:0xf bank_mask:0xf
	v_cmp_gt_f32_e32 vcc, v10, v11
	v_cndmask_b32_e32 v10, v11, v10, vcc
	ds_bpermute_b32 v10, v12, v10
	v_cmp_eq_u32_e32 vcc, 0, v0
	s_and_b64 s[2:3], vcc, exec
	s_or_b64 s[0:1], s[0:1], s[2:3]
	s_waitcnt lgkmcnt(0)
	v_mul_f32_e32 v14, 0x3c010204, v10
	v_pk_mov_b32 v[10:11], s[6:7], s[6:7] op_sel:[0,1]
.LBB89_42:
	s_and_saveexec_b64 s[2:3], s[0:1]
	s_cbranch_execz .LBB89_44
; %bb.43:
	v_lshlrev_b64 v[10:11], 2, v[10:11]
	v_mov_b32_e32 v0, s13
	v_add_co_u32_e32 v10, vcc, s12, v10
	v_addc_co_u32_e32 v11, vcc, v0, v11, vcc
	global_store_dword v[10:11], v14, off
.LBB89_44:
	s_or_b64 exec, exec, s[2:3]
	s_add_i32 s2, s9, 3
	s_load_dwordx2 s[0:1], s[4:5], 0x0
	s_ashr_i32 s3, s2, 31
	;;#ASMSTART
	v_rcp_f32 v10, v14
	;;#ASMEND
	v_mov_b32_e32 v11, v10
	;;#ASMSTART
	v_pk_mul_f32 v[8:9], v[8:9], v[10:11]
	;;#ASMEND
	;;#ASMSTART
	v_pk_mul_f32 v[6:7], v[6:7], v[10:11]
	;;#ASMEND
	s_lshr_b32 s3, s3, 30
	v_cvt_i32_f32_e32 v0, v8
	v_cvt_i32_f32_sdwa v8, v9 dst_sel:BYTE_1 dst_unused:UNUSED_PAD src0_sel:DWORD
	v_cvt_i32_f32_e32 v6, v6
	v_cvt_i32_f32_sdwa v7, v7 dst_sel:BYTE_1 dst_unused:UNUSED_PAD src0_sel:DWORD
	;;#ASMSTART
	v_pk_mul_f32 v[4:5], v[4:5], v[10:11]
	;;#ASMEND
	;;#ASMSTART
	v_pk_mul_f32 v[2:3], v[2:3], v[10:11]
	;;#ASMEND
	s_add_i32 s2, s2, s3
	s_ashr_i32 s3, s10, 31
	v_cvt_i32_f32_e32 v4, v4
	v_cvt_i32_f32_sdwa v5, v5 dst_sel:BYTE_1 dst_unused:UNUSED_PAD src0_sel:DWORD
	v_cvt_i32_f32_e32 v9, v2
	v_cvt_i32_f32_sdwa v3, v3 dst_sel:BYTE_1 dst_unused:UNUSED_PAD src0_sel:DWORD
	s_mul_hi_u32 s4, s10, s6
	s_mul_i32 s3, s3, s6
	s_and_b32 s2, s2, -4
	s_add_i32 s4, s4, s3
	s_mul_i32 s3, s10, s6
	s_waitcnt lgkmcnt(0)
	s_add_u32 s0, s0, s3
	v_or_b32_sdwa v0, v0, v8 dst_sel:DWORD dst_unused:UNUSED_PAD src0_sel:BYTE_0 src1_sel:DWORD
	v_or_b32_sdwa v2, v6, v7 dst_sel:WORD_1 dst_unused:UNUSED_PAD src0_sel:BYTE_0 src1_sel:DWORD
	s_addc_u32 s1, s1, s4
	v_or_b32_sdwa v2, v0, v2 dst_sel:DWORD dst_unused:UNUSED_PAD src0_sel:WORD_0 src1_sel:DWORD
	v_or_b32_sdwa v0, v4, v5 dst_sel:DWORD dst_unused:UNUSED_PAD src0_sel:BYTE_0 src1_sel:DWORD
	v_or_b32_sdwa v3, v9, v3 dst_sel:WORD_1 dst_unused:UNUSED_PAD src0_sel:BYTE_0 src1_sel:DWORD
	s_and_b32 s1, s1, 0xffff
	s_mov_b32 s3, 0x20000
	v_or_b32_sdwa v3, v0, v3 dst_sel:DWORD dst_unused:UNUSED_PAD src0_sel:WORD_0 src1_sel:DWORD
	buffer_store_dwordx2 v[2:3], v1, s[0:3], 0 offen
	;;#ASMSTART
	s_nop 0
	;;#ASMEND
.LBB89_45:
	s_endpgm
.LBB89_46:
                                        ; implicit-def: $vgpr10_vgpr11
	s_branch .LBB89_35
	.section	.rodata,"a",@progbits
	.p2align	6, 0x0
	.amdhsa_kernel _ZN5aiter24add_rmsnorm_quant_kernelIDF16_aLi64ELi8ELb0ELb1ELb1ELi1EEEvPT0_PT_PfS4_S4_S4_diiiiiiib
		.amdhsa_group_segment_fixed_size 0
		.amdhsa_private_segment_fixed_size 0
		.amdhsa_kernarg_size 88
		.amdhsa_user_sgpr_count 6
		.amdhsa_user_sgpr_private_segment_buffer 1
		.amdhsa_user_sgpr_dispatch_ptr 0
		.amdhsa_user_sgpr_queue_ptr 0
		.amdhsa_user_sgpr_kernarg_segment_ptr 1
		.amdhsa_user_sgpr_dispatch_id 0
		.amdhsa_user_sgpr_flat_scratch_init 0
		.amdhsa_user_sgpr_kernarg_preload_length 0
		.amdhsa_user_sgpr_kernarg_preload_offset 0
		.amdhsa_user_sgpr_private_segment_size 0
		.amdhsa_uses_dynamic_stack 0
		.amdhsa_system_sgpr_private_segment_wavefront_offset 0
		.amdhsa_system_sgpr_workgroup_id_x 1
		.amdhsa_system_sgpr_workgroup_id_y 0
		.amdhsa_system_sgpr_workgroup_id_z 0
		.amdhsa_system_sgpr_workgroup_info 0
		.amdhsa_system_vgpr_workitem_id 0
		.amdhsa_next_free_vgpr 28
		.amdhsa_next_free_sgpr 31
		.amdhsa_accum_offset 28
		.amdhsa_reserve_vcc 1
		.amdhsa_reserve_flat_scratch 0
		.amdhsa_float_round_mode_32 0
		.amdhsa_float_round_mode_16_64 0
		.amdhsa_float_denorm_mode_32 3
		.amdhsa_float_denorm_mode_16_64 3
		.amdhsa_dx10_clamp 1
		.amdhsa_ieee_mode 1
		.amdhsa_fp16_overflow 0
		.amdhsa_tg_split 0
		.amdhsa_exception_fp_ieee_invalid_op 0
		.amdhsa_exception_fp_denorm_src 0
		.amdhsa_exception_fp_ieee_div_zero 0
		.amdhsa_exception_fp_ieee_overflow 0
		.amdhsa_exception_fp_ieee_underflow 0
		.amdhsa_exception_fp_ieee_inexact 0
		.amdhsa_exception_int_div_zero 0
	.end_amdhsa_kernel
	.section	.text._ZN5aiter24add_rmsnorm_quant_kernelIDF16_aLi64ELi8ELb0ELb1ELb1ELi1EEEvPT0_PT_PfS4_S4_S4_diiiiiiib,"axG",@progbits,_ZN5aiter24add_rmsnorm_quant_kernelIDF16_aLi64ELi8ELb0ELb1ELb1ELi1EEEvPT0_PT_PfS4_S4_S4_diiiiiiib,comdat
.Lfunc_end89:
	.size	_ZN5aiter24add_rmsnorm_quant_kernelIDF16_aLi64ELi8ELb0ELb1ELb1ELi1EEEvPT0_PT_PfS4_S4_S4_diiiiiiib, .Lfunc_end89-_ZN5aiter24add_rmsnorm_quant_kernelIDF16_aLi64ELi8ELb0ELb1ELb1ELi1EEEvPT0_PT_PfS4_S4_S4_diiiiiiib
                                        ; -- End function
	.section	.AMDGPU.csdata,"",@progbits
; Kernel info:
; codeLenInByte = 2872
; NumSgprs: 35
; NumVgprs: 28
; NumAgprs: 0
; TotalNumVgprs: 28
; ScratchSize: 0
; MemoryBound: 0
; FloatMode: 240
; IeeeMode: 1
; LDSByteSize: 0 bytes/workgroup (compile time only)
; SGPRBlocks: 4
; VGPRBlocks: 3
; NumSGPRsForWavesPerEU: 35
; NumVGPRsForWavesPerEU: 28
; AccumOffset: 28
; Occupancy: 8
; WaveLimiterHint : 0
; COMPUTE_PGM_RSRC2:SCRATCH_EN: 0
; COMPUTE_PGM_RSRC2:USER_SGPR: 6
; COMPUTE_PGM_RSRC2:TRAP_HANDLER: 0
; COMPUTE_PGM_RSRC2:TGID_X_EN: 1
; COMPUTE_PGM_RSRC2:TGID_Y_EN: 0
; COMPUTE_PGM_RSRC2:TGID_Z_EN: 0
; COMPUTE_PGM_RSRC2:TIDIG_COMP_CNT: 0
; COMPUTE_PGM_RSRC3_GFX90A:ACCUM_OFFSET: 6
; COMPUTE_PGM_RSRC3_GFX90A:TG_SPLIT: 0
	.section	.text._ZN5aiter24add_rmsnorm_quant_kernelItaLi64ELi8ELb0ELb1ELb1ELi1EEEvPT0_PT_PfS4_S4_S4_diiiiiiib,"axG",@progbits,_ZN5aiter24add_rmsnorm_quant_kernelItaLi64ELi8ELb0ELb1ELb1ELi1EEEvPT0_PT_PfS4_S4_S4_diiiiiiib,comdat
	.protected	_ZN5aiter24add_rmsnorm_quant_kernelItaLi64ELi8ELb0ELb1ELb1ELi1EEEvPT0_PT_PfS4_S4_S4_diiiiiiib ; -- Begin function _ZN5aiter24add_rmsnorm_quant_kernelItaLi64ELi8ELb0ELb1ELb1ELi1EEEvPT0_PT_PfS4_S4_S4_diiiiiiib
	.globl	_ZN5aiter24add_rmsnorm_quant_kernelItaLi64ELi8ELb0ELb1ELb1ELi1EEEvPT0_PT_PfS4_S4_S4_diiiiiiib
	.p2align	8
	.type	_ZN5aiter24add_rmsnorm_quant_kernelItaLi64ELi8ELb0ELb1ELb1ELi1EEEvPT0_PT_PfS4_S4_S4_diiiiiiib,@function
_ZN5aiter24add_rmsnorm_quant_kernelItaLi64ELi8ELb0ELb1ELb1ELi1EEEvPT0_PT_PfS4_S4_S4_diiiiiiib: ; @_ZN5aiter24add_rmsnorm_quant_kernelItaLi64ELi8ELb0ELb1ELb1ELi1EEEvPT0_PT_PfS4_S4_S4_diiiiiiib
; %bb.0:
	s_load_dwordx4 s[8:11], s[4:5], 0x38
	s_mov_b32 s7, 0
	s_waitcnt lgkmcnt(0)
	s_ashr_i32 s0, s8, 31
	v_mov_b32_e32 v2, s8
	v_mov_b32_e32 v3, s0
	v_cmp_ge_i64_e32 vcc, s[6:7], v[2:3]
	s_cbranch_vccnz .LBB90_45
; %bb.1:
	s_load_dwordx4 s[12:15], s[4:5], 0x10
	s_load_dwordx4 s[0:3], s[4:5], 0x28
	s_ashr_i32 s11, s10, 31
	s_mul_hi_u32 s16, s10, s6
	s_mul_i32 s11, s11, s6
	s_add_i32 s11, s16, s11
	s_mul_i32 s10, s10, s6
	s_lshl_b64 s[10:11], s[10:11], 1
	s_waitcnt lgkmcnt(0)
	s_add_u32 s16, s14, s10
	s_addc_u32 s10, s15, s11
	s_add_i32 s11, s9, 1
	s_lshr_b32 s14, s11, 31
	s_add_i32 s11, s11, s14
	s_lshl_b32 s11, s11, 1
	s_and_b32 s18, s11, -4
	s_and_b32 s17, s10, 0xffff
	s_mov_b32 s19, 0x20000
	v_lshlrev_b32_e32 v1, 4, v0
	buffer_load_dwordx4 v[6:9], v1, s[16:19], 0 offen glc slc
	s_and_b32 s17, s1, 0xffff
	s_mov_b32 s16, s0
	buffer_load_dwordx4 v[2:5], v1, s[16:19], 0 offen
	v_mbcnt_lo_u32_b32 v10, -1, 0
	v_mbcnt_hi_u32_b32 v10, -1, v10
	v_lshlrev_b32_e32 v10, 2, v10
	v_or_b32_e32 v12, 0xfc, v10
	v_cvt_f32_i32_e32 v11, s9
	s_mov_b32 s14, 0x800000
	s_load_dwordx2 s[10:11], s[4:5], 0x4c
	s_load_dword s18, s[4:5], 0x54
	v_mov_b32_e32 v13, 0x2edbe6ff
	v_lshlrev_b32_e32 v1, 3, v0
	s_waitcnt lgkmcnt(0)
	s_cmp_lg_u32 s11, 0
	s_waitcnt vmcnt(1)
	v_cvt_f32_u32_sdwa v15, v6 dst_sel:DWORD dst_unused:UNUSED_PAD src0_sel:WORD_1
	v_cvt_f32_u32_sdwa v14, v6 dst_sel:DWORD dst_unused:UNUSED_PAD src0_sel:WORD_0
	v_cvt_f32_u32_sdwa v17, v7 dst_sel:DWORD dst_unused:UNUSED_PAD src0_sel:WORD_1
	v_cvt_f32_u32_sdwa v16, v7 dst_sel:DWORD dst_unused:UNUSED_PAD src0_sel:WORD_0
	;; [unrolled: 2-line block ×3, first 2 shown]
	v_pk_mul_f32 v[20:21], v[14:15], v[14:15]
	v_cvt_f32_u32_sdwa v19, v9 dst_sel:DWORD dst_unused:UNUSED_PAD src0_sel:WORD_1
	v_cvt_f32_u32_sdwa v18, v9 dst_sel:DWORD dst_unused:UNUSED_PAD src0_sel:WORD_0
	v_pk_mul_f32 v[22:23], v[16:17], v[16:17]
	v_add_f32_e32 v8, v20, v21
	v_add_f32_e32 v8, v22, v8
	v_pk_mul_f32 v[24:25], v[6:7], v[6:7]
	v_add_f32_e32 v8, v23, v8
	v_add_f32_e32 v8, v24, v8
	;; [unrolled: 3-line block ×3, first 2 shown]
	v_add_f32_e32 v8, v27, v8
	s_waitcnt vmcnt(0)
	v_cvt_f32_u32_sdwa v9, v2 dst_sel:DWORD dst_unused:UNUSED_PAD src0_sel:WORD_1
	v_cvt_f32_u32_sdwa v21, v3 dst_sel:DWORD dst_unused:UNUSED_PAD src0_sel:WORD_1
	v_mov_b32_dpp v20, v8 quad_perm:[1,0,3,2] row_mask:0xf bank_mask:0xf
	v_add_f32_e32 v8, v8, v20
	s_nop 1
	v_mov_b32_dpp v20, v8 quad_perm:[2,3,0,1] row_mask:0xf bank_mask:0xf
	v_add_f32_e32 v8, v8, v20
	s_nop 1
	v_mov_b32_dpp v20, v8 row_half_mirror row_mask:0xf bank_mask:0xf
	v_add_f32_e32 v8, v8, v20
	s_nop 1
	v_mov_b32_dpp v20, v8 row_mirror row_mask:0xf bank_mask:0xf
	v_add_f32_e32 v8, v8, v20
	s_nop 1
	v_mov_b32_dpp v20, v8 row_bcast:15 row_mask:0xf bank_mask:0xf
	v_add_f32_e32 v8, v8, v20
	s_nop 1
	v_mov_b32_dpp v20, v8 row_bcast:31 row_mask:0xf bank_mask:0xf
	v_add_f32_e32 v8, v8, v20
	ds_bpermute_b32 v22, v12, v8
	v_cvt_f32_u32_sdwa v8, v2 dst_sel:DWORD dst_unused:UNUSED_PAD src0_sel:WORD_0
	v_cvt_f32_u32_sdwa v20, v3 dst_sel:DWORD dst_unused:UNUSED_PAD src0_sel:WORD_0
	v_cvt_f32_u32_sdwa v3, v4 dst_sel:DWORD dst_unused:UNUSED_PAD src0_sel:WORD_1
	s_waitcnt lgkmcnt(0)
	v_div_scale_f32 v2, s[0:1], v11, v11, v22
	v_rcp_f32_e32 v23, v2
	v_div_scale_f32 v24, vcc, v22, v11, v22
	v_fma_f32 v25, -v2, v23, 1.0
	v_fmac_f32_e32 v23, v25, v23
	v_mul_f32_e32 v25, v24, v23
	v_fma_f32 v26, -v2, v25, v24
	v_fmac_f32_e32 v25, v26, v23
	v_fma_f32 v2, -v2, v25, v24
	v_div_fmas_f32 v2, v2, v23, v25
	v_div_fixup_f32 v2, v2, v11, v22
	v_cvt_f64_f32_e32 v[22:23], v2
	v_add_f64 v[22:23], v[22:23], s[2:3]
	v_cvt_f32_f64_e32 v2, v[22:23]
	v_mul_f32_e32 v11, 0x4b800000, v2
	v_cmp_gt_f32_e32 vcc, s14, v2
	v_cndmask_b32_e32 v2, v2, v11, vcc
	v_rsq_f32_e32 v11, v2
	v_cvt_f32_u32_sdwa v2, v4 dst_sel:DWORD dst_unused:UNUSED_PAD src0_sel:WORD_0
	v_cvt_f32_u32_sdwa v23, v5 dst_sel:DWORD dst_unused:UNUSED_PAD src0_sel:WORD_1
	v_cvt_f32_u32_sdwa v22, v5 dst_sel:DWORD dst_unused:UNUSED_PAD src0_sel:WORD_0
	v_mul_f32_e32 v4, 0x45800000, v11
	v_cndmask_b32_e32 v4, v11, v4, vcc
	v_mov_b32_e32 v5, v4
	;;#ASMSTART
	v_pk_mul_f32 v[14:15], v[14:15], v[4:5]
	;;#ASMEND
	;;#ASMSTART
	v_pk_mul_f32 v[16:17], v[16:17], v[4:5]
	;;#ASMEND
	;; [unrolled: 3-line block ×5, first 2 shown]
	v_and_b32_e32 v11, 0x7fffffff, v8
	;;#ASMSTART
	v_pk_mul_f32 v[6:7], v[16:17], v[20:21]
	;;#ASMEND
	;;#ASMSTART
	v_pk_mul_f32 v[4:5], v[24:25], v[2:3]
	;;#ASMEND
	;; [unrolled: 3-line block ×3, first 2 shown]
	v_and_b32_e32 v14, 0x7fffffff, v9
	;;#ASMSTART
	v_max3_f32 v11, v13, v11, v14

	;;#ASMEND
	v_and_b32_e32 v15, 0x7fffffff, v6
	v_and_b32_e32 v16, 0x7fffffff, v7
	;;#ASMSTART
	v_max3_f32 v11, v11, v15, v16

	;;#ASMEND
	v_and_b32_e32 v17, 0x7fffffff, v4
	v_and_b32_e32 v18, 0x7fffffff, v5
	v_and_b32_e32 v19, 0x7fffffff, v2
	v_and_b32_e32 v20, 0x7fffffff, v3
	;;#ASMSTART
	v_max3_f32 v11, v11, v17, v18

	;;#ASMEND
	;;#ASMSTART
	v_max3_f32 v13, v11, v19, v20

	;;#ASMEND
	s_cbranch_scc0 .LBB90_8
; %bb.2:
	s_ashr_i32 s3, s11, 31
	s_lshr_b32 s0, s3, 29
	s_add_i32 s0, s11, s0
	s_ashr_i32 s2, s0, 3
	s_cmp_lt_i32 s2, 16
	s_cbranch_scc1 .LBB90_9
; %bb.3:
	s_cmp_lt_i32 s2, 32
	s_cbranch_scc1 .LBB90_10
; %bb.4:
	;; [unrolled: 3-line block ×3, first 2 shown]
	s_cmp_eq_u32 s2, 64
	v_mov_b32_e32 v11, v13
	s_cbranch_scc0 .LBB90_7
; %bb.6:
	s_nop 0
	v_mov_b32_dpp v11, v13 quad_perm:[1,0,3,2] row_mask:0xf bank_mask:0xf
	v_cmp_gt_f32_e32 vcc, v13, v11
	v_cndmask_b32_e32 v11, v11, v13, vcc
	s_nop 1
	v_mov_b32_dpp v14, v11 quad_perm:[2,3,0,1] row_mask:0xf bank_mask:0xf
	v_cmp_gt_f32_e32 vcc, v11, v14
	v_cndmask_b32_e32 v11, v14, v11, vcc
	s_nop 1
	v_mov_b32_dpp v14, v11 row_ror:4 row_mask:0xf bank_mask:0xf
	v_cmp_gt_f32_e32 vcc, v11, v14
	v_cndmask_b32_e32 v11, v14, v11, vcc
	s_nop 1
	v_mov_b32_dpp v14, v11 row_ror:8 row_mask:0xf bank_mask:0xf
	v_cmp_gt_f32_e32 vcc, v11, v14
	v_cndmask_b32_e32 v11, v14, v11, vcc
	s_nop 1
	v_mov_b32_dpp v14, v11 row_bcast:15 row_mask:0xf bank_mask:0xf
	v_cmp_gt_f32_e32 vcc, v11, v14
	v_cndmask_b32_e32 v11, v14, v11, vcc
	s_nop 1
	v_mov_b32_dpp v14, v11 row_bcast:31 row_mask:0xf bank_mask:0xf
	v_cmp_gt_f32_e32 vcc, v11, v14
	v_cndmask_b32_e32 v11, v14, v11, vcc
	ds_bpermute_b32 v11, v12, v11
.LBB90_7:
	s_mov_b64 s[0:1], 0
	s_branch .LBB90_12
.LBB90_8:
	s_mov_b64 s[0:1], 0
                                        ; implicit-def: $vgpr14
                                        ; implicit-def: $vgpr10_vgpr11
	s_cbranch_execnz .LBB90_41
	s_branch .LBB90_42
.LBB90_9:
                                        ; implicit-def: $vgpr11
	s_branch .LBB90_19
.LBB90_10:
                                        ; implicit-def: $vgpr11
	s_branch .LBB90_16
.LBB90_11:
	s_mov_b64 s[0:1], -1
                                        ; implicit-def: $vgpr11
.LBB90_12:
	s_andn2_b64 vcc, exec, s[0:1]
	s_cbranch_vccnz .LBB90_15
; %bb.13:
	s_cmp_eq_u32 s2, 32
	s_waitcnt lgkmcnt(0)
	v_mov_b32_e32 v11, v13
	s_cbranch_scc0 .LBB90_15
; %bb.14:
	s_nop 0
	v_mov_b32_dpp v11, v13 quad_perm:[1,0,3,2] row_mask:0xf bank_mask:0xf
	v_cmp_gt_f32_e32 vcc, v13, v11
	v_cndmask_b32_e32 v11, v11, v13, vcc
	v_or_b32_e32 v10, 0x7c, v10
	s_nop 0
	v_mov_b32_dpp v14, v11 quad_perm:[2,3,0,1] row_mask:0xf bank_mask:0xf
	v_cmp_gt_f32_e32 vcc, v11, v14
	v_cndmask_b32_e32 v11, v14, v11, vcc
	s_nop 1
	v_mov_b32_dpp v14, v11 row_half_mirror row_mask:0xf bank_mask:0xf
	v_cmp_gt_f32_e32 vcc, v11, v14
	v_cndmask_b32_e32 v11, v14, v11, vcc
	s_nop 1
	v_mov_b32_dpp v14, v11 row_mirror row_mask:0xf bank_mask:0xf
	v_cmp_gt_f32_e32 vcc, v11, v14
	v_cndmask_b32_e32 v11, v14, v11, vcc
	s_nop 1
	v_mov_b32_dpp v14, v11 row_bcast:15 row_mask:0xa bank_mask:0xf
	v_cmp_gt_f32_e32 vcc, v11, v14
	v_cndmask_b32_e32 v11, v14, v11, vcc
	ds_bpermute_b32 v11, v10, v11
.LBB90_15:
	s_cbranch_execnz .LBB90_18
.LBB90_16:
	s_cmp_eq_u32 s2, 16
	s_waitcnt lgkmcnt(0)
	v_mov_b32_e32 v11, v13
	s_cbranch_scc0 .LBB90_18
; %bb.17:
	v_mov_b32_dpp v10, v13 quad_perm:[1,0,3,2] row_mask:0xf bank_mask:0xf
	v_cmp_gt_f32_e32 vcc, v13, v10
	v_cndmask_b32_e32 v10, v10, v13, vcc
	s_nop 1
	v_mov_b32_dpp v11, v10 quad_perm:[2,3,0,1] row_mask:0xf bank_mask:0xf
	v_cmp_gt_f32_e32 vcc, v10, v11
	v_cndmask_b32_e32 v10, v11, v10, vcc
	s_nop 1
	v_mov_b32_dpp v11, v10 row_half_mirror row_mask:0xf bank_mask:0xf
	v_cmp_gt_f32_e32 vcc, v10, v11
	v_cndmask_b32_e32 v10, v11, v10, vcc
	s_nop 1
	v_mov_b32_dpp v11, v10 row_mirror row_mask:0xf bank_mask:0xf
	v_cmp_gt_f32_e32 vcc, v10, v11
	v_cndmask_b32_e32 v11, v11, v10, vcc
.LBB90_18:
	s_cbranch_execnz .LBB90_31
.LBB90_19:
	s_cmp_lt_i32 s2, 4
	s_cbranch_scc1 .LBB90_23
; %bb.20:
	s_cmp_lt_i32 s2, 8
	s_cbranch_scc1 .LBB90_24
; %bb.21:
	s_cmp_eq_u32 s2, 8
	s_waitcnt lgkmcnt(0)
	v_mov_b32_e32 v11, v13
	s_cbranch_scc0 .LBB90_25
; %bb.22:
	v_mov_b32_dpp v10, v13 quad_perm:[1,0,3,2] row_mask:0xf bank_mask:0xf
	v_cmp_gt_f32_e32 vcc, v13, v10
	v_cndmask_b32_e32 v10, v10, v13, vcc
	s_nop 1
	v_mov_b32_dpp v11, v10 quad_perm:[2,3,0,1] row_mask:0xf bank_mask:0xf
	v_cmp_gt_f32_e32 vcc, v10, v11
	v_cndmask_b32_e32 v10, v11, v10, vcc
	s_nop 1
	v_mov_b32_dpp v11, v10 row_half_mirror row_mask:0xf bank_mask:0xf
	v_cmp_gt_f32_e32 vcc, v10, v11
	v_cndmask_b32_e32 v11, v11, v10, vcc
	s_cbranch_execz .LBB90_26
	s_branch .LBB90_28
.LBB90_23:
                                        ; implicit-def: $vgpr11
	s_branch .LBB90_29
.LBB90_24:
                                        ; implicit-def: $vgpr11
	s_branch .LBB90_26
.LBB90_25:
	s_cbranch_execnz .LBB90_28
.LBB90_26:
	s_cmp_eq_u32 s2, 4
	s_waitcnt lgkmcnt(0)
	v_mov_b32_e32 v11, v13
	s_cbranch_scc0 .LBB90_28
; %bb.27:
	v_mov_b32_dpp v10, v13 quad_perm:[1,0,3,2] row_mask:0xf bank_mask:0xf
	v_cmp_gt_f32_e32 vcc, v13, v10
	v_cndmask_b32_e32 v10, v10, v13, vcc
	s_nop 1
	v_mov_b32_dpp v11, v10 quad_perm:[2,3,0,1] row_mask:0xf bank_mask:0xf
	v_cmp_gt_f32_e32 vcc, v10, v11
	v_cndmask_b32_e32 v11, v11, v10, vcc
.LBB90_28:
	s_cbranch_execnz .LBB90_31
.LBB90_29:
	s_cmp_lg_u32 s2, 2
	s_waitcnt lgkmcnt(0)
	v_mov_b32_e32 v11, v13
	s_cbranch_scc1 .LBB90_31
; %bb.30:
	v_mov_b32_dpp v10, v13 quad_perm:[1,0,3,2] row_mask:0xf bank_mask:0xf
	v_cmp_gt_f32_e32 vcc, v13, v10
	v_cndmask_b32_e32 v11, v10, v13, vcc
.LBB90_31:
	v_cvt_f32_u32_e32 v10, s2
	s_sub_i32 s0, 0, s2
	s_waitcnt lgkmcnt(0)
	v_mul_f32_e32 v14, 0x3c010204, v11
	v_cmp_gt_u32_e32 vcc, s9, v1
	v_rcp_iflag_f32_e32 v10, v10
	s_mov_b64 s[14:15], 0
	v_mul_f32_e32 v10, 0x4f7ffffe, v10
	v_cvt_u32_f32_e32 v10, v10
	v_mul_lo_u32 v11, s0, v10
	v_mul_hi_u32 v11, v10, v11
	v_add_u32_e32 v10, v10, v11
	v_mul_hi_u32 v10, v0, v10
	v_mul_lo_u32 v11, v10, s2
	v_sub_u32_e32 v11, v0, v11
	v_add_u32_e32 v15, 1, v10
	v_cmp_le_u32_e64 s[0:1], s2, v11
	v_cndmask_b32_e64 v10, v10, v15, s[0:1]
	v_subrev_u32_e32 v15, s2, v11
	v_cndmask_b32_e64 v11, v11, v15, s[0:1]
	v_add_u32_e32 v15, 1, v10
	v_cmp_le_u32_e64 s[0:1], s2, v11
	v_cndmask_b32_e64 v15, v10, v15, s[0:1]
	v_mul_lo_u32 v10, v15, s2
	v_sub_u32_e32 v10, v0, v10
	v_cmp_eq_u32_e64 s[0:1], 0, v10
	s_and_b64 s[16:17], s[0:1], vcc
	s_mov_b64 s[0:1], 0
                                        ; implicit-def: $vgpr10_vgpr11
	s_and_saveexec_b64 s[20:21], s[16:17]
	s_xor_b64 s[16:17], exec, s[20:21]
	s_cbranch_execz .LBB90_40
; %bb.32:
	s_bitcmp0_b32 s18, 0
	s_cbranch_scc0 .LBB90_37
; %bb.33:
	s_ashr_i32 s0, s9, 31
	s_mul_hi_u32 s1, s9, s6
	s_mul_i32 s0, s0, s6
	s_add_i32 s19, s1, s0
	s_mul_i32 s18, s9, s6
	s_mov_b32 s2, s11
	s_or_b64 s[0:1], s[18:19], s[2:3]
	s_mov_b32 s0, 0
	s_cmp_lg_u64 s[0:1], 0
	s_cbranch_scc0 .LBB90_46
; %bb.34:
	s_add_u32 s0, s2, s3
	s_mov_b32 s22, s3
	s_mov_b32 s23, s3
	s_addc_u32 s1, s3, s3
	s_xor_b64 s[24:25], s[0:1], s[22:23]
	v_cvt_f32_u32_e32 v10, s24
	v_cvt_f32_u32_e32 v11, s25
	s_sub_u32 s0, 0, s24
	s_subb_u32 s1, 0, s25
	v_madmk_f32 v10, v11, 0x4f800000, v10
	v_rcp_f32_e32 v10, v10
	v_mul_f32_e32 v10, 0x5f7ffffc, v10
	v_mul_f32_e32 v11, 0x2f800000, v10
	v_trunc_f32_e32 v11, v11
	v_madmk_f32 v10, v11, 0xcf800000, v10
	v_cvt_u32_f32_e32 v11, v11
	v_cvt_u32_f32_e32 v10, v10
	v_readfirstlane_b32 s3, v11
	v_readfirstlane_b32 s11, v10
	s_mul_i32 s26, s0, s3
	s_mul_hi_u32 s28, s0, s11
	s_mul_i32 s27, s1, s11
	s_add_i32 s26, s28, s26
	s_add_i32 s26, s26, s27
	s_mul_i32 s29, s0, s11
	s_mul_hi_u32 s27, s11, s26
	s_mul_i32 s28, s11, s26
	s_mul_hi_u32 s11, s11, s29
	s_add_u32 s11, s11, s28
	s_addc_u32 s27, 0, s27
	s_mul_hi_u32 s30, s3, s29
	s_mul_i32 s29, s3, s29
	s_add_u32 s11, s11, s29
	s_mul_hi_u32 s28, s3, s26
	s_addc_u32 s11, s27, s30
	s_addc_u32 s27, s28, 0
	s_mul_i32 s26, s3, s26
	s_add_u32 s11, s11, s26
	s_addc_u32 s26, 0, s27
	v_add_co_u32_e32 v10, vcc, s11, v10
	s_cmp_lg_u64 vcc, 0
	s_addc_u32 s3, s3, s26
	v_readfirstlane_b32 s26, v10
	s_mul_i32 s11, s0, s3
	s_mul_hi_u32 s27, s0, s26
	s_add_i32 s11, s27, s11
	s_mul_i32 s1, s1, s26
	s_add_i32 s11, s11, s1
	s_mul_i32 s0, s0, s26
	s_mul_hi_u32 s27, s3, s0
	s_mul_i32 s28, s3, s0
	s_mul_i32 s30, s26, s11
	s_mul_hi_u32 s0, s26, s0
	s_mul_hi_u32 s29, s26, s11
	s_add_u32 s0, s0, s30
	s_addc_u32 s26, 0, s29
	s_add_u32 s0, s0, s28
	s_mul_hi_u32 s1, s3, s11
	s_addc_u32 s0, s26, s27
	s_addc_u32 s1, s1, 0
	s_mul_i32 s11, s3, s11
	s_add_u32 s0, s0, s11
	s_addc_u32 s1, 0, s1
	v_add_co_u32_e32 v10, vcc, s0, v10
	s_cmp_lg_u64 vcc, 0
	s_addc_u32 s3, s3, s1
	s_ashr_i32 s26, s19, 31
	s_add_u32 s0, s18, s26
	s_mov_b32 s27, s26
	s_addc_u32 s1, s19, s26
	s_xor_b64 s[28:29], s[0:1], s[26:27]
	v_readfirstlane_b32 s11, v10
	s_mul_i32 s1, s28, s3
	s_mul_hi_u32 s19, s28, s11
	s_mul_hi_u32 s0, s28, s3
	s_add_u32 s1, s19, s1
	s_addc_u32 s0, 0, s0
	s_mul_hi_u32 s30, s29, s11
	s_mul_i32 s11, s29, s11
	s_add_u32 s1, s1, s11
	s_mul_hi_u32 s19, s29, s3
	s_addc_u32 s0, s0, s30
	s_addc_u32 s1, s19, 0
	s_mul_i32 s3, s29, s3
	s_add_u32 s3, s0, s3
	s_addc_u32 s11, 0, s1
	s_mul_i32 s0, s24, s11
	s_mul_hi_u32 s1, s24, s3
	s_add_i32 s0, s1, s0
	s_mul_i32 s1, s25, s3
	s_add_i32 s19, s0, s1
	s_mul_i32 s1, s24, s3
	v_mov_b32_e32 v10, s1
	s_sub_i32 s0, s29, s19
	v_sub_co_u32_e32 v10, vcc, s28, v10
	s_cmp_lg_u64 vcc, 0
	s_subb_u32 s28, s0, s25
	v_subrev_co_u32_e64 v11, s[0:1], s24, v10
	s_cmp_lg_u64 s[0:1], 0
	s_subb_u32 s28, s28, 0
	s_cmp_ge_u32 s28, s25
	s_cselect_b32 s30, -1, 0
	v_cmp_le_u32_e64 s[0:1], s24, v11
	s_cmp_eq_u32 s28, s25
	v_cndmask_b32_e64 v11, 0, -1, s[0:1]
	v_mov_b32_e32 v16, s30
	s_cselect_b64 s[0:1], -1, 0
	v_cndmask_b32_e64 v11, v16, v11, s[0:1]
	s_add_u32 s0, s3, 1
	s_addc_u32 s28, s11, 0
	s_add_u32 s1, s3, 2
	s_addc_u32 s30, s11, 0
	v_mov_b32_e32 v16, s0
	v_mov_b32_e32 v17, s1
	v_cmp_ne_u32_e64 s[0:1], 0, v11
	v_cndmask_b32_e64 v11, v16, v17, s[0:1]
	v_mov_b32_e32 v16, s28
	v_mov_b32_e32 v17, s30
	s_cmp_lg_u64 vcc, 0
	v_cndmask_b32_e64 v16, v16, v17, s[0:1]
	s_subb_u32 s0, s29, s19
	s_cmp_ge_u32 s0, s25
	s_cselect_b32 s1, -1, 0
	v_cmp_le_u32_e32 vcc, s24, v10
	s_cmp_eq_u32 s0, s25
	v_cndmask_b32_e64 v10, 0, -1, vcc
	v_mov_b32_e32 v17, s1
	s_cselect_b64 vcc, -1, 0
	v_cndmask_b32_e32 v10, v17, v10, vcc
	v_mov_b32_e32 v17, s11
	v_cmp_ne_u32_e32 vcc, 0, v10
	v_cndmask_b32_e32 v10, v17, v16, vcc
	v_mov_b32_e32 v16, s3
	v_cndmask_b32_e32 v11, v16, v11, vcc
	s_xor_b64 s[0:1], s[26:27], s[22:23]
	v_xor_b32_e32 v11, s0, v11
	v_xor_b32_e32 v16, s1, v10
	v_mov_b32_e32 v17, s1
	v_subrev_co_u32_e32 v10, vcc, s0, v11
	v_subb_co_u32_e32 v11, vcc, v16, v17, vcc
	s_cbranch_execnz .LBB90_36
.LBB90_35:
	v_cvt_f32_u32_e32 v10, s2
	s_sub_i32 s0, 0, s2
	s_mov_b32 s1, 0
	v_rcp_iflag_f32_e32 v10, v10
	v_mul_f32_e32 v10, 0x4f7ffffe, v10
	v_cvt_u32_f32_e32 v10, v10
	v_readfirstlane_b32 s3, v10
	s_mul_i32 s0, s0, s3
	s_mul_hi_u32 s0, s3, s0
	s_add_i32 s3, s3, s0
	s_mul_hi_u32 s0, s18, s3
	s_mul_i32 s11, s0, s2
	s_sub_i32 s11, s18, s11
	s_add_i32 s3, s0, 1
	s_sub_i32 s18, s11, s2
	s_cmp_ge_u32 s11, s2
	s_cselect_b32 s0, s3, s0
	s_cselect_b32 s11, s18, s11
	s_add_i32 s3, s0, 1
	s_cmp_ge_u32 s11, s2
	s_cselect_b32 s0, s3, s0
	v_pk_mov_b32 v[10:11], s[0:1], s[0:1] op_sel:[0,1]
.LBB90_36:
	v_add_co_u32_e32 v10, vcc, v10, v15
	v_addc_co_u32_e32 v11, vcc, 0, v11, vcc
	s_branch .LBB90_39
.LBB90_37:
                                        ; implicit-def: $vgpr10_vgpr11
	s_cbranch_execz .LBB90_39
; %bb.38:
	v_mul_lo_u32 v10, v15, s8
	v_ashrrev_i32_e32 v11, 31, v10
	v_mov_b32_e32 v15, s7
	v_add_co_u32_e32 v10, vcc, s6, v10
	v_addc_co_u32_e32 v11, vcc, v11, v15, vcc
.LBB90_39:
	s_mov_b64 s[0:1], exec
.LBB90_40:
	s_or_b64 exec, exec, s[16:17]
	s_and_b64 vcc, exec, s[14:15]
	s_cbranch_vccz .LBB90_42
.LBB90_41:
	v_mov_b32_dpp v10, v13 quad_perm:[1,0,3,2] row_mask:0xf bank_mask:0xf
	v_cmp_gt_f32_e32 vcc, v13, v10
	v_cndmask_b32_e32 v10, v10, v13, vcc
	s_andn2_b64 s[0:1], s[0:1], exec
	s_nop 0
	v_mov_b32_dpp v11, v10 quad_perm:[2,3,0,1] row_mask:0xf bank_mask:0xf
	v_cmp_gt_f32_e32 vcc, v10, v11
	v_cndmask_b32_e32 v10, v11, v10, vcc
	s_nop 1
	v_mov_b32_dpp v11, v10 row_half_mirror row_mask:0xf bank_mask:0xf
	v_cmp_gt_f32_e32 vcc, v10, v11
	v_cndmask_b32_e32 v10, v11, v10, vcc
	s_nop 1
	v_mov_b32_dpp v11, v10 row_mirror row_mask:0xf bank_mask:0xf
	v_cmp_gt_f32_e32 vcc, v10, v11
	v_cndmask_b32_e32 v10, v11, v10, vcc
	s_nop 1
	v_mov_b32_dpp v11, v10 row_bcast:15 row_mask:0xf bank_mask:0xf
	v_cmp_gt_f32_e32 vcc, v10, v11
	v_cndmask_b32_e32 v10, v11, v10, vcc
	s_nop 1
	v_mov_b32_dpp v11, v10 row_bcast:31 row_mask:0xf bank_mask:0xf
	v_cmp_gt_f32_e32 vcc, v10, v11
	v_cndmask_b32_e32 v10, v11, v10, vcc
	ds_bpermute_b32 v10, v12, v10
	v_cmp_eq_u32_e32 vcc, 0, v0
	s_and_b64 s[2:3], vcc, exec
	s_or_b64 s[0:1], s[0:1], s[2:3]
	s_waitcnt lgkmcnt(0)
	v_mul_f32_e32 v14, 0x3c010204, v10
	v_pk_mov_b32 v[10:11], s[6:7], s[6:7] op_sel:[0,1]
.LBB90_42:
	s_and_saveexec_b64 s[2:3], s[0:1]
	s_cbranch_execz .LBB90_44
; %bb.43:
	v_lshlrev_b64 v[10:11], 2, v[10:11]
	v_mov_b32_e32 v0, s13
	v_add_co_u32_e32 v10, vcc, s12, v10
	v_addc_co_u32_e32 v11, vcc, v0, v11, vcc
	global_store_dword v[10:11], v14, off
.LBB90_44:
	s_or_b64 exec, exec, s[2:3]
	s_add_i32 s2, s9, 3
	s_load_dwordx2 s[0:1], s[4:5], 0x0
	s_ashr_i32 s3, s2, 31
	;;#ASMSTART
	v_rcp_f32 v10, v14
	;;#ASMEND
	v_mov_b32_e32 v11, v10
	;;#ASMSTART
	v_pk_mul_f32 v[8:9], v[8:9], v[10:11]
	;;#ASMEND
	;;#ASMSTART
	v_pk_mul_f32 v[6:7], v[6:7], v[10:11]
	;;#ASMEND
	s_lshr_b32 s3, s3, 30
	v_cvt_i32_f32_e32 v0, v8
	v_cvt_i32_f32_sdwa v8, v9 dst_sel:BYTE_1 dst_unused:UNUSED_PAD src0_sel:DWORD
	v_cvt_i32_f32_e32 v6, v6
	v_cvt_i32_f32_sdwa v7, v7 dst_sel:BYTE_1 dst_unused:UNUSED_PAD src0_sel:DWORD
	;;#ASMSTART
	v_pk_mul_f32 v[4:5], v[4:5], v[10:11]
	;;#ASMEND
	;;#ASMSTART
	v_pk_mul_f32 v[2:3], v[2:3], v[10:11]
	;;#ASMEND
	s_add_i32 s2, s2, s3
	s_ashr_i32 s3, s10, 31
	v_cvt_i32_f32_e32 v4, v4
	v_cvt_i32_f32_sdwa v5, v5 dst_sel:BYTE_1 dst_unused:UNUSED_PAD src0_sel:DWORD
	v_cvt_i32_f32_e32 v9, v2
	v_cvt_i32_f32_sdwa v3, v3 dst_sel:BYTE_1 dst_unused:UNUSED_PAD src0_sel:DWORD
	s_mul_hi_u32 s4, s10, s6
	s_mul_i32 s3, s3, s6
	s_and_b32 s2, s2, -4
	s_add_i32 s4, s4, s3
	s_mul_i32 s3, s10, s6
	s_waitcnt lgkmcnt(0)
	s_add_u32 s0, s0, s3
	v_or_b32_sdwa v0, v0, v8 dst_sel:DWORD dst_unused:UNUSED_PAD src0_sel:BYTE_0 src1_sel:DWORD
	v_or_b32_sdwa v2, v6, v7 dst_sel:WORD_1 dst_unused:UNUSED_PAD src0_sel:BYTE_0 src1_sel:DWORD
	s_addc_u32 s1, s1, s4
	v_or_b32_sdwa v2, v0, v2 dst_sel:DWORD dst_unused:UNUSED_PAD src0_sel:WORD_0 src1_sel:DWORD
	v_or_b32_sdwa v0, v4, v5 dst_sel:DWORD dst_unused:UNUSED_PAD src0_sel:BYTE_0 src1_sel:DWORD
	v_or_b32_sdwa v3, v9, v3 dst_sel:WORD_1 dst_unused:UNUSED_PAD src0_sel:BYTE_0 src1_sel:DWORD
	s_and_b32 s1, s1, 0xffff
	s_mov_b32 s3, 0x20000
	v_or_b32_sdwa v3, v0, v3 dst_sel:DWORD dst_unused:UNUSED_PAD src0_sel:WORD_0 src1_sel:DWORD
	buffer_store_dwordx2 v[2:3], v1, s[0:3], 0 offen
	;;#ASMSTART
	s_nop 0
	;;#ASMEND
.LBB90_45:
	s_endpgm
.LBB90_46:
                                        ; implicit-def: $vgpr10_vgpr11
	s_branch .LBB90_35
	.section	.rodata,"a",@progbits
	.p2align	6, 0x0
	.amdhsa_kernel _ZN5aiter24add_rmsnorm_quant_kernelItaLi64ELi8ELb0ELb1ELb1ELi1EEEvPT0_PT_PfS4_S4_S4_diiiiiiib
		.amdhsa_group_segment_fixed_size 0
		.amdhsa_private_segment_fixed_size 0
		.amdhsa_kernarg_size 88
		.amdhsa_user_sgpr_count 6
		.amdhsa_user_sgpr_private_segment_buffer 1
		.amdhsa_user_sgpr_dispatch_ptr 0
		.amdhsa_user_sgpr_queue_ptr 0
		.amdhsa_user_sgpr_kernarg_segment_ptr 1
		.amdhsa_user_sgpr_dispatch_id 0
		.amdhsa_user_sgpr_flat_scratch_init 0
		.amdhsa_user_sgpr_kernarg_preload_length 0
		.amdhsa_user_sgpr_kernarg_preload_offset 0
		.amdhsa_user_sgpr_private_segment_size 0
		.amdhsa_uses_dynamic_stack 0
		.amdhsa_system_sgpr_private_segment_wavefront_offset 0
		.amdhsa_system_sgpr_workgroup_id_x 1
		.amdhsa_system_sgpr_workgroup_id_y 0
		.amdhsa_system_sgpr_workgroup_id_z 0
		.amdhsa_system_sgpr_workgroup_info 0
		.amdhsa_system_vgpr_workitem_id 0
		.amdhsa_next_free_vgpr 28
		.amdhsa_next_free_sgpr 31
		.amdhsa_accum_offset 28
		.amdhsa_reserve_vcc 1
		.amdhsa_reserve_flat_scratch 0
		.amdhsa_float_round_mode_32 0
		.amdhsa_float_round_mode_16_64 0
		.amdhsa_float_denorm_mode_32 3
		.amdhsa_float_denorm_mode_16_64 3
		.amdhsa_dx10_clamp 1
		.amdhsa_ieee_mode 1
		.amdhsa_fp16_overflow 0
		.amdhsa_tg_split 0
		.amdhsa_exception_fp_ieee_invalid_op 0
		.amdhsa_exception_fp_denorm_src 0
		.amdhsa_exception_fp_ieee_div_zero 0
		.amdhsa_exception_fp_ieee_overflow 0
		.amdhsa_exception_fp_ieee_underflow 0
		.amdhsa_exception_fp_ieee_inexact 0
		.amdhsa_exception_int_div_zero 0
	.end_amdhsa_kernel
	.section	.text._ZN5aiter24add_rmsnorm_quant_kernelItaLi64ELi8ELb0ELb1ELb1ELi1EEEvPT0_PT_PfS4_S4_S4_diiiiiiib,"axG",@progbits,_ZN5aiter24add_rmsnorm_quant_kernelItaLi64ELi8ELb0ELb1ELb1ELi1EEEvPT0_PT_PfS4_S4_S4_diiiiiiib,comdat
.Lfunc_end90:
	.size	_ZN5aiter24add_rmsnorm_quant_kernelItaLi64ELi8ELb0ELb1ELb1ELi1EEEvPT0_PT_PfS4_S4_S4_diiiiiiib, .Lfunc_end90-_ZN5aiter24add_rmsnorm_quant_kernelItaLi64ELi8ELb0ELb1ELb1ELi1EEEvPT0_PT_PfS4_S4_S4_diiiiiiib
                                        ; -- End function
	.section	.AMDGPU.csdata,"",@progbits
; Kernel info:
; codeLenInByte = 2904
; NumSgprs: 35
; NumVgprs: 28
; NumAgprs: 0
; TotalNumVgprs: 28
; ScratchSize: 0
; MemoryBound: 0
; FloatMode: 240
; IeeeMode: 1
; LDSByteSize: 0 bytes/workgroup (compile time only)
; SGPRBlocks: 4
; VGPRBlocks: 3
; NumSGPRsForWavesPerEU: 35
; NumVGPRsForWavesPerEU: 28
; AccumOffset: 28
; Occupancy: 8
; WaveLimiterHint : 0
; COMPUTE_PGM_RSRC2:SCRATCH_EN: 0
; COMPUTE_PGM_RSRC2:USER_SGPR: 6
; COMPUTE_PGM_RSRC2:TRAP_HANDLER: 0
; COMPUTE_PGM_RSRC2:TGID_X_EN: 1
; COMPUTE_PGM_RSRC2:TGID_Y_EN: 0
; COMPUTE_PGM_RSRC2:TGID_Z_EN: 0
; COMPUTE_PGM_RSRC2:TIDIG_COMP_CNT: 0
; COMPUTE_PGM_RSRC3_GFX90A:ACCUM_OFFSET: 6
; COMPUTE_PGM_RSRC3_GFX90A:TG_SPLIT: 0
	.section	.text._ZN5aiter24add_rmsnorm_quant_kernelIDF16_aLi64ELi8ELb0ELb1ELb0ELi1EEEvPT0_PT_PfS4_S4_S4_diiiiiiib,"axG",@progbits,_ZN5aiter24add_rmsnorm_quant_kernelIDF16_aLi64ELi8ELb0ELb1ELb0ELi1EEEvPT0_PT_PfS4_S4_S4_diiiiiiib,comdat
	.protected	_ZN5aiter24add_rmsnorm_quant_kernelIDF16_aLi64ELi8ELb0ELb1ELb0ELi1EEEvPT0_PT_PfS4_S4_S4_diiiiiiib ; -- Begin function _ZN5aiter24add_rmsnorm_quant_kernelIDF16_aLi64ELi8ELb0ELb1ELb0ELi1EEEvPT0_PT_PfS4_S4_S4_diiiiiiib
	.globl	_ZN5aiter24add_rmsnorm_quant_kernelIDF16_aLi64ELi8ELb0ELb1ELb0ELi1EEEvPT0_PT_PfS4_S4_S4_diiiiiiib
	.p2align	8
	.type	_ZN5aiter24add_rmsnorm_quant_kernelIDF16_aLi64ELi8ELb0ELb1ELb0ELi1EEEvPT0_PT_PfS4_S4_S4_diiiiiiib,@function
_ZN5aiter24add_rmsnorm_quant_kernelIDF16_aLi64ELi8ELb0ELb1ELb0ELi1EEEvPT0_PT_PfS4_S4_S4_diiiiiiib: ; @_ZN5aiter24add_rmsnorm_quant_kernelIDF16_aLi64ELi8ELb0ELb1ELb0ELi1EEEvPT0_PT_PfS4_S4_S4_diiiiiiib
; %bb.0:
	s_load_dwordx4 s[8:11], s[4:5], 0x38
	s_mov_b32 s7, 0
	s_waitcnt lgkmcnt(0)
	s_ashr_i32 s0, s8, 31
	v_mov_b32_e32 v2, s8
	v_mov_b32_e32 v3, s0
	v_cmp_ge_i64_e32 vcc, s[6:7], v[2:3]
	s_cbranch_vccnz .LBB91_45
; %bb.1:
	s_load_dwordx4 s[12:15], s[4:5], 0x10
	s_load_dwordx4 s[0:3], s[4:5], 0x28
	s_ashr_i32 s11, s10, 31
	s_mul_hi_u32 s16, s10, s6
	s_mul_i32 s11, s11, s6
	s_add_i32 s11, s16, s11
	s_mul_i32 s10, s10, s6
	s_lshl_b64 s[10:11], s[10:11], 1
	s_waitcnt lgkmcnt(0)
	s_add_u32 s16, s14, s10
	s_addc_u32 s10, s15, s11
	s_add_i32 s11, s9, 1
	s_lshr_b32 s14, s11, 31
	s_add_i32 s11, s11, s14
	s_lshl_b32 s11, s11, 1
	s_and_b32 s18, s11, -4
	s_and_b32 s17, s10, 0xffff
	s_mov_b32 s19, 0x20000
	v_lshlrev_b32_e32 v1, 4, v0
	buffer_load_dwordx4 v[6:9], v1, s[16:19], 0 offen glc slc
	s_and_b32 s17, s1, 0xffff
	s_mov_b32 s16, s0
	buffer_load_dwordx4 v[2:5], v1, s[16:19], 0 offen
	v_mbcnt_lo_u32_b32 v10, -1, 0
	v_mbcnt_hi_u32_b32 v10, -1, v10
	v_lshlrev_b32_e32 v10, 2, v10
	v_or_b32_e32 v12, 0xfc, v10
	v_cvt_f32_i32_e32 v11, s9
	s_mov_b32 s14, 0x800000
	s_load_dwordx2 s[10:11], s[4:5], 0x4c
	s_load_dword s18, s[4:5], 0x54
	v_mov_b32_e32 v13, 0x2edbe6ff
	v_lshlrev_b32_e32 v1, 3, v0
	s_waitcnt lgkmcnt(0)
	s_cmp_lg_u32 s11, 0
	s_waitcnt vmcnt(1)
	v_cvt_f32_f16_e32 v14, v6
	v_cvt_f32_f16_sdwa v15, v6 dst_sel:DWORD dst_unused:UNUSED_PAD src0_sel:WORD_1
	v_cvt_f32_f16_e32 v6, v7
	v_cvt_f32_f16_sdwa v7, v7 dst_sel:DWORD dst_unused:UNUSED_PAD src0_sel:WORD_1
	;; [unrolled: 2-line block ×3, first 2 shown]
	v_pk_mul_f32 v[20:21], v[14:15], v[14:15]
	v_cvt_f32_f16_e32 v8, v9
	v_cvt_f32_f16_sdwa v9, v9 dst_sel:DWORD dst_unused:UNUSED_PAD src0_sel:WORD_1
	v_pk_mul_f32 v[22:23], v[6:7], v[6:7]
	v_add_f32_e32 v19, v20, v21
	v_add_f32_e32 v19, v22, v19
	v_pk_mul_f32 v[24:25], v[16:17], v[16:17]
	v_add_f32_e32 v19, v23, v19
	v_add_f32_e32 v19, v24, v19
	;; [unrolled: 3-line block ×3, first 2 shown]
	v_add_f32_e32 v19, v27, v19
	s_waitcnt vmcnt(0)
	v_cvt_f32_f16_e32 v18, v2
	v_mov_b32_dpp v20, v19 quad_perm:[1,0,3,2] row_mask:0xf bank_mask:0xf
	v_add_f32_e32 v19, v19, v20
	s_nop 1
	v_mov_b32_dpp v20, v19 quad_perm:[2,3,0,1] row_mask:0xf bank_mask:0xf
	v_add_f32_e32 v19, v19, v20
	s_nop 1
	v_mov_b32_dpp v20, v19 row_half_mirror row_mask:0xf bank_mask:0xf
	v_add_f32_e32 v19, v19, v20
	s_nop 1
	v_mov_b32_dpp v20, v19 row_mirror row_mask:0xf bank_mask:0xf
	v_add_f32_e32 v19, v19, v20
	s_nop 1
	v_mov_b32_dpp v20, v19 row_bcast:15 row_mask:0xf bank_mask:0xf
	v_add_f32_e32 v19, v19, v20
	s_nop 1
	v_mov_b32_dpp v20, v19 row_bcast:31 row_mask:0xf bank_mask:0xf
	v_add_f32_e32 v19, v19, v20
	ds_bpermute_b32 v21, v12, v19
	v_cvt_f32_f16_e32 v20, v4
	v_cvt_f32_f16_sdwa v19, v2 dst_sel:DWORD dst_unused:UNUSED_PAD src0_sel:WORD_1
	v_cvt_f32_f16_e32 v2, v3
	v_cvt_f32_f16_sdwa v3, v3 dst_sel:DWORD dst_unused:UNUSED_PAD src0_sel:WORD_1
	s_waitcnt lgkmcnt(0)
	v_div_scale_f32 v22, s[0:1], v11, v11, v21
	v_rcp_f32_e32 v23, v22
	v_div_scale_f32 v24, vcc, v21, v11, v21
	v_fma_f32 v25, -v22, v23, 1.0
	v_fmac_f32_e32 v23, v25, v23
	v_mul_f32_e32 v25, v24, v23
	v_fma_f32 v26, -v22, v25, v24
	v_fmac_f32_e32 v25, v26, v23
	v_fma_f32 v22, -v22, v25, v24
	v_div_fmas_f32 v22, v22, v23, v25
	v_div_fixup_f32 v11, v22, v11, v21
	v_cvt_f64_f32_e32 v[22:23], v11
	v_add_f64 v[22:23], v[22:23], s[2:3]
	v_cvt_f32_f64_e32 v11, v[22:23]
	v_mul_f32_e32 v21, 0x4b800000, v11
	v_cmp_gt_f32_e32 vcc, s14, v11
	v_cndmask_b32_e32 v11, v11, v21, vcc
	v_rsq_f32_e32 v11, v11
	v_cvt_f32_f16_sdwa v21, v4 dst_sel:DWORD dst_unused:UNUSED_PAD src0_sel:WORD_1
	v_cvt_f32_f16_e32 v22, v5
	v_cvt_f32_f16_sdwa v23, v5 dst_sel:DWORD dst_unused:UNUSED_PAD src0_sel:WORD_1
	v_mul_f32_e32 v4, 0x45800000, v11
	v_cndmask_b32_e32 v4, v11, v4, vcc
	v_mov_b32_e32 v5, v4
	;;#ASMSTART
	v_pk_mul_f32 v[14:15], v[14:15], v[4:5]
	;;#ASMEND
	;;#ASMSTART
	v_pk_mul_f32 v[6:7], v[6:7], v[4:5]
	;;#ASMEND
	;; [unrolled: 3-line block ×5, first 2 shown]
	v_and_b32_e32 v11, 0x7fffffff, v8
	;;#ASMSTART
	v_pk_mul_f32 v[6:7], v[6:7], v[2:3]
	;;#ASMEND
	;;#ASMSTART
	v_pk_mul_f32 v[4:5], v[16:17], v[20:21]
	;;#ASMEND
	;; [unrolled: 3-line block ×3, first 2 shown]
	v_and_b32_e32 v14, 0x7fffffff, v9
	;;#ASMSTART
	v_max3_f32 v11, v13, v11, v14

	;;#ASMEND
	v_and_b32_e32 v15, 0x7fffffff, v6
	v_and_b32_e32 v16, 0x7fffffff, v7
	;;#ASMSTART
	v_max3_f32 v11, v11, v15, v16

	;;#ASMEND
	v_and_b32_e32 v17, 0x7fffffff, v4
	v_and_b32_e32 v18, 0x7fffffff, v5
	;; [unrolled: 1-line block ×4, first 2 shown]
	;;#ASMSTART
	v_max3_f32 v11, v11, v17, v18

	;;#ASMEND
	;;#ASMSTART
	v_max3_f32 v13, v11, v19, v20

	;;#ASMEND
	s_cbranch_scc0 .LBB91_8
; %bb.2:
	s_ashr_i32 s3, s11, 31
	s_lshr_b32 s0, s3, 29
	s_add_i32 s0, s11, s0
	s_ashr_i32 s2, s0, 3
	s_cmp_lt_i32 s2, 16
	s_cbranch_scc1 .LBB91_9
; %bb.3:
	s_cmp_lt_i32 s2, 32
	s_cbranch_scc1 .LBB91_10
; %bb.4:
	s_cmp_lt_i32 s2, 64
	s_cbranch_scc1 .LBB91_11
; %bb.5:
	s_cmp_eq_u32 s2, 64
	v_mov_b32_e32 v11, v13
	s_cbranch_scc0 .LBB91_7
; %bb.6:
	s_nop 0
	v_mov_b32_dpp v11, v13 quad_perm:[1,0,3,2] row_mask:0xf bank_mask:0xf
	v_cmp_gt_f32_e32 vcc, v13, v11
	v_cndmask_b32_e32 v11, v11, v13, vcc
	s_nop 1
	v_mov_b32_dpp v14, v11 quad_perm:[2,3,0,1] row_mask:0xf bank_mask:0xf
	v_cmp_gt_f32_e32 vcc, v11, v14
	v_cndmask_b32_e32 v11, v14, v11, vcc
	s_nop 1
	v_mov_b32_dpp v14, v11 row_ror:4 row_mask:0xf bank_mask:0xf
	v_cmp_gt_f32_e32 vcc, v11, v14
	v_cndmask_b32_e32 v11, v14, v11, vcc
	s_nop 1
	v_mov_b32_dpp v14, v11 row_ror:8 row_mask:0xf bank_mask:0xf
	v_cmp_gt_f32_e32 vcc, v11, v14
	v_cndmask_b32_e32 v11, v14, v11, vcc
	s_nop 1
	v_mov_b32_dpp v14, v11 row_bcast:15 row_mask:0xf bank_mask:0xf
	v_cmp_gt_f32_e32 vcc, v11, v14
	v_cndmask_b32_e32 v11, v14, v11, vcc
	s_nop 1
	v_mov_b32_dpp v14, v11 row_bcast:31 row_mask:0xf bank_mask:0xf
	v_cmp_gt_f32_e32 vcc, v11, v14
	v_cndmask_b32_e32 v11, v14, v11, vcc
	ds_bpermute_b32 v11, v12, v11
.LBB91_7:
	s_mov_b64 s[0:1], 0
	s_branch .LBB91_12
.LBB91_8:
	s_mov_b64 s[0:1], 0
                                        ; implicit-def: $vgpr14
                                        ; implicit-def: $vgpr10_vgpr11
	s_cbranch_execnz .LBB91_41
	s_branch .LBB91_42
.LBB91_9:
                                        ; implicit-def: $vgpr11
	s_branch .LBB91_19
.LBB91_10:
                                        ; implicit-def: $vgpr11
	s_branch .LBB91_16
.LBB91_11:
	s_mov_b64 s[0:1], -1
                                        ; implicit-def: $vgpr11
.LBB91_12:
	s_andn2_b64 vcc, exec, s[0:1]
	s_cbranch_vccnz .LBB91_15
; %bb.13:
	s_cmp_eq_u32 s2, 32
	s_waitcnt lgkmcnt(0)
	v_mov_b32_e32 v11, v13
	s_cbranch_scc0 .LBB91_15
; %bb.14:
	s_nop 0
	v_mov_b32_dpp v11, v13 quad_perm:[1,0,3,2] row_mask:0xf bank_mask:0xf
	v_cmp_gt_f32_e32 vcc, v13, v11
	v_cndmask_b32_e32 v11, v11, v13, vcc
	v_or_b32_e32 v10, 0x7c, v10
	s_nop 0
	v_mov_b32_dpp v14, v11 quad_perm:[2,3,0,1] row_mask:0xf bank_mask:0xf
	v_cmp_gt_f32_e32 vcc, v11, v14
	v_cndmask_b32_e32 v11, v14, v11, vcc
	s_nop 1
	v_mov_b32_dpp v14, v11 row_half_mirror row_mask:0xf bank_mask:0xf
	v_cmp_gt_f32_e32 vcc, v11, v14
	v_cndmask_b32_e32 v11, v14, v11, vcc
	s_nop 1
	v_mov_b32_dpp v14, v11 row_mirror row_mask:0xf bank_mask:0xf
	v_cmp_gt_f32_e32 vcc, v11, v14
	v_cndmask_b32_e32 v11, v14, v11, vcc
	s_nop 1
	v_mov_b32_dpp v14, v11 row_bcast:15 row_mask:0xa bank_mask:0xf
	v_cmp_gt_f32_e32 vcc, v11, v14
	v_cndmask_b32_e32 v11, v14, v11, vcc
	ds_bpermute_b32 v11, v10, v11
.LBB91_15:
	s_cbranch_execnz .LBB91_18
.LBB91_16:
	s_cmp_eq_u32 s2, 16
	s_waitcnt lgkmcnt(0)
	v_mov_b32_e32 v11, v13
	s_cbranch_scc0 .LBB91_18
; %bb.17:
	v_mov_b32_dpp v10, v13 quad_perm:[1,0,3,2] row_mask:0xf bank_mask:0xf
	v_cmp_gt_f32_e32 vcc, v13, v10
	v_cndmask_b32_e32 v10, v10, v13, vcc
	s_nop 1
	v_mov_b32_dpp v11, v10 quad_perm:[2,3,0,1] row_mask:0xf bank_mask:0xf
	v_cmp_gt_f32_e32 vcc, v10, v11
	v_cndmask_b32_e32 v10, v11, v10, vcc
	s_nop 1
	v_mov_b32_dpp v11, v10 row_half_mirror row_mask:0xf bank_mask:0xf
	v_cmp_gt_f32_e32 vcc, v10, v11
	v_cndmask_b32_e32 v10, v11, v10, vcc
	s_nop 1
	v_mov_b32_dpp v11, v10 row_mirror row_mask:0xf bank_mask:0xf
	v_cmp_gt_f32_e32 vcc, v10, v11
	v_cndmask_b32_e32 v11, v11, v10, vcc
.LBB91_18:
	s_cbranch_execnz .LBB91_31
.LBB91_19:
	s_cmp_lt_i32 s2, 4
	s_cbranch_scc1 .LBB91_23
; %bb.20:
	s_cmp_lt_i32 s2, 8
	s_cbranch_scc1 .LBB91_24
; %bb.21:
	s_cmp_eq_u32 s2, 8
	s_waitcnt lgkmcnt(0)
	v_mov_b32_e32 v11, v13
	s_cbranch_scc0 .LBB91_25
; %bb.22:
	v_mov_b32_dpp v10, v13 quad_perm:[1,0,3,2] row_mask:0xf bank_mask:0xf
	v_cmp_gt_f32_e32 vcc, v13, v10
	v_cndmask_b32_e32 v10, v10, v13, vcc
	s_nop 1
	v_mov_b32_dpp v11, v10 quad_perm:[2,3,0,1] row_mask:0xf bank_mask:0xf
	v_cmp_gt_f32_e32 vcc, v10, v11
	v_cndmask_b32_e32 v10, v11, v10, vcc
	s_nop 1
	v_mov_b32_dpp v11, v10 row_half_mirror row_mask:0xf bank_mask:0xf
	v_cmp_gt_f32_e32 vcc, v10, v11
	v_cndmask_b32_e32 v11, v11, v10, vcc
	s_cbranch_execz .LBB91_26
	s_branch .LBB91_28
.LBB91_23:
                                        ; implicit-def: $vgpr11
	s_branch .LBB91_29
.LBB91_24:
                                        ; implicit-def: $vgpr11
	s_branch .LBB91_26
.LBB91_25:
	s_cbranch_execnz .LBB91_28
.LBB91_26:
	s_cmp_eq_u32 s2, 4
	s_waitcnt lgkmcnt(0)
	v_mov_b32_e32 v11, v13
	s_cbranch_scc0 .LBB91_28
; %bb.27:
	v_mov_b32_dpp v10, v13 quad_perm:[1,0,3,2] row_mask:0xf bank_mask:0xf
	v_cmp_gt_f32_e32 vcc, v13, v10
	v_cndmask_b32_e32 v10, v10, v13, vcc
	s_nop 1
	v_mov_b32_dpp v11, v10 quad_perm:[2,3,0,1] row_mask:0xf bank_mask:0xf
	v_cmp_gt_f32_e32 vcc, v10, v11
	v_cndmask_b32_e32 v11, v11, v10, vcc
.LBB91_28:
	s_cbranch_execnz .LBB91_31
.LBB91_29:
	s_cmp_lg_u32 s2, 2
	s_waitcnt lgkmcnt(0)
	v_mov_b32_e32 v11, v13
	s_cbranch_scc1 .LBB91_31
; %bb.30:
	v_mov_b32_dpp v10, v13 quad_perm:[1,0,3,2] row_mask:0xf bank_mask:0xf
	v_cmp_gt_f32_e32 vcc, v13, v10
	v_cndmask_b32_e32 v11, v10, v13, vcc
.LBB91_31:
	v_cvt_f32_u32_e32 v10, s2
	s_sub_i32 s0, 0, s2
	s_waitcnt lgkmcnt(0)
	v_mul_f32_e32 v14, 0x3c010204, v11
	v_cmp_gt_u32_e32 vcc, s9, v1
	v_rcp_iflag_f32_e32 v10, v10
	s_mov_b64 s[14:15], 0
	v_mul_f32_e32 v10, 0x4f7ffffe, v10
	v_cvt_u32_f32_e32 v10, v10
	v_mul_lo_u32 v11, s0, v10
	v_mul_hi_u32 v11, v10, v11
	v_add_u32_e32 v10, v10, v11
	v_mul_hi_u32 v10, v0, v10
	v_mul_lo_u32 v11, v10, s2
	v_sub_u32_e32 v11, v0, v11
	v_add_u32_e32 v15, 1, v10
	v_cmp_le_u32_e64 s[0:1], s2, v11
	v_cndmask_b32_e64 v10, v10, v15, s[0:1]
	v_subrev_u32_e32 v15, s2, v11
	v_cndmask_b32_e64 v11, v11, v15, s[0:1]
	v_add_u32_e32 v15, 1, v10
	v_cmp_le_u32_e64 s[0:1], s2, v11
	v_cndmask_b32_e64 v15, v10, v15, s[0:1]
	v_mul_lo_u32 v10, v15, s2
	v_sub_u32_e32 v10, v0, v10
	v_cmp_eq_u32_e64 s[0:1], 0, v10
	s_and_b64 s[16:17], s[0:1], vcc
	s_mov_b64 s[0:1], 0
                                        ; implicit-def: $vgpr10_vgpr11
	s_and_saveexec_b64 s[20:21], s[16:17]
	s_xor_b64 s[16:17], exec, s[20:21]
	s_cbranch_execz .LBB91_40
; %bb.32:
	s_bitcmp0_b32 s18, 0
	s_cbranch_scc0 .LBB91_37
; %bb.33:
	s_ashr_i32 s0, s9, 31
	s_mul_hi_u32 s1, s9, s6
	s_mul_i32 s0, s0, s6
	s_add_i32 s19, s1, s0
	s_mul_i32 s18, s9, s6
	s_mov_b32 s2, s11
	s_or_b64 s[0:1], s[18:19], s[2:3]
	s_mov_b32 s0, 0
	s_cmp_lg_u64 s[0:1], 0
	s_cbranch_scc0 .LBB91_46
; %bb.34:
	s_add_u32 s0, s2, s3
	s_mov_b32 s22, s3
	s_mov_b32 s23, s3
	s_addc_u32 s1, s3, s3
	s_xor_b64 s[24:25], s[0:1], s[22:23]
	v_cvt_f32_u32_e32 v10, s24
	v_cvt_f32_u32_e32 v11, s25
	s_sub_u32 s0, 0, s24
	s_subb_u32 s1, 0, s25
	v_madmk_f32 v10, v11, 0x4f800000, v10
	v_rcp_f32_e32 v10, v10
	v_mul_f32_e32 v10, 0x5f7ffffc, v10
	v_mul_f32_e32 v11, 0x2f800000, v10
	v_trunc_f32_e32 v11, v11
	v_madmk_f32 v10, v11, 0xcf800000, v10
	v_cvt_u32_f32_e32 v11, v11
	v_cvt_u32_f32_e32 v10, v10
	v_readfirstlane_b32 s3, v11
	v_readfirstlane_b32 s11, v10
	s_mul_i32 s26, s0, s3
	s_mul_hi_u32 s28, s0, s11
	s_mul_i32 s27, s1, s11
	s_add_i32 s26, s28, s26
	s_add_i32 s26, s26, s27
	s_mul_i32 s29, s0, s11
	s_mul_hi_u32 s27, s11, s26
	s_mul_i32 s28, s11, s26
	s_mul_hi_u32 s11, s11, s29
	s_add_u32 s11, s11, s28
	s_addc_u32 s27, 0, s27
	s_mul_hi_u32 s30, s3, s29
	s_mul_i32 s29, s3, s29
	s_add_u32 s11, s11, s29
	s_mul_hi_u32 s28, s3, s26
	s_addc_u32 s11, s27, s30
	s_addc_u32 s27, s28, 0
	s_mul_i32 s26, s3, s26
	s_add_u32 s11, s11, s26
	s_addc_u32 s26, 0, s27
	v_add_co_u32_e32 v10, vcc, s11, v10
	s_cmp_lg_u64 vcc, 0
	s_addc_u32 s3, s3, s26
	v_readfirstlane_b32 s26, v10
	s_mul_i32 s11, s0, s3
	s_mul_hi_u32 s27, s0, s26
	s_add_i32 s11, s27, s11
	s_mul_i32 s1, s1, s26
	s_add_i32 s11, s11, s1
	s_mul_i32 s0, s0, s26
	s_mul_hi_u32 s27, s3, s0
	s_mul_i32 s28, s3, s0
	s_mul_i32 s30, s26, s11
	s_mul_hi_u32 s0, s26, s0
	s_mul_hi_u32 s29, s26, s11
	s_add_u32 s0, s0, s30
	s_addc_u32 s26, 0, s29
	s_add_u32 s0, s0, s28
	s_mul_hi_u32 s1, s3, s11
	s_addc_u32 s0, s26, s27
	s_addc_u32 s1, s1, 0
	s_mul_i32 s11, s3, s11
	s_add_u32 s0, s0, s11
	s_addc_u32 s1, 0, s1
	v_add_co_u32_e32 v10, vcc, s0, v10
	s_cmp_lg_u64 vcc, 0
	s_addc_u32 s3, s3, s1
	s_ashr_i32 s26, s19, 31
	s_add_u32 s0, s18, s26
	s_mov_b32 s27, s26
	s_addc_u32 s1, s19, s26
	s_xor_b64 s[28:29], s[0:1], s[26:27]
	v_readfirstlane_b32 s11, v10
	s_mul_i32 s1, s28, s3
	s_mul_hi_u32 s19, s28, s11
	s_mul_hi_u32 s0, s28, s3
	s_add_u32 s1, s19, s1
	s_addc_u32 s0, 0, s0
	s_mul_hi_u32 s30, s29, s11
	s_mul_i32 s11, s29, s11
	s_add_u32 s1, s1, s11
	s_mul_hi_u32 s19, s29, s3
	s_addc_u32 s0, s0, s30
	s_addc_u32 s1, s19, 0
	s_mul_i32 s3, s29, s3
	s_add_u32 s3, s0, s3
	s_addc_u32 s11, 0, s1
	s_mul_i32 s0, s24, s11
	s_mul_hi_u32 s1, s24, s3
	s_add_i32 s0, s1, s0
	s_mul_i32 s1, s25, s3
	s_add_i32 s19, s0, s1
	s_mul_i32 s1, s24, s3
	v_mov_b32_e32 v10, s1
	s_sub_i32 s0, s29, s19
	v_sub_co_u32_e32 v10, vcc, s28, v10
	s_cmp_lg_u64 vcc, 0
	s_subb_u32 s28, s0, s25
	v_subrev_co_u32_e64 v11, s[0:1], s24, v10
	s_cmp_lg_u64 s[0:1], 0
	s_subb_u32 s28, s28, 0
	s_cmp_ge_u32 s28, s25
	s_cselect_b32 s30, -1, 0
	v_cmp_le_u32_e64 s[0:1], s24, v11
	s_cmp_eq_u32 s28, s25
	v_cndmask_b32_e64 v11, 0, -1, s[0:1]
	v_mov_b32_e32 v16, s30
	s_cselect_b64 s[0:1], -1, 0
	v_cndmask_b32_e64 v11, v16, v11, s[0:1]
	s_add_u32 s0, s3, 1
	s_addc_u32 s28, s11, 0
	s_add_u32 s1, s3, 2
	s_addc_u32 s30, s11, 0
	v_mov_b32_e32 v16, s0
	v_mov_b32_e32 v17, s1
	v_cmp_ne_u32_e64 s[0:1], 0, v11
	v_cndmask_b32_e64 v11, v16, v17, s[0:1]
	v_mov_b32_e32 v16, s28
	v_mov_b32_e32 v17, s30
	s_cmp_lg_u64 vcc, 0
	v_cndmask_b32_e64 v16, v16, v17, s[0:1]
	s_subb_u32 s0, s29, s19
	s_cmp_ge_u32 s0, s25
	s_cselect_b32 s1, -1, 0
	v_cmp_le_u32_e32 vcc, s24, v10
	s_cmp_eq_u32 s0, s25
	v_cndmask_b32_e64 v10, 0, -1, vcc
	v_mov_b32_e32 v17, s1
	s_cselect_b64 vcc, -1, 0
	v_cndmask_b32_e32 v10, v17, v10, vcc
	v_mov_b32_e32 v17, s11
	v_cmp_ne_u32_e32 vcc, 0, v10
	v_cndmask_b32_e32 v10, v17, v16, vcc
	v_mov_b32_e32 v16, s3
	v_cndmask_b32_e32 v11, v16, v11, vcc
	s_xor_b64 s[0:1], s[26:27], s[22:23]
	v_xor_b32_e32 v11, s0, v11
	v_xor_b32_e32 v16, s1, v10
	v_mov_b32_e32 v17, s1
	v_subrev_co_u32_e32 v10, vcc, s0, v11
	v_subb_co_u32_e32 v11, vcc, v16, v17, vcc
	s_cbranch_execnz .LBB91_36
.LBB91_35:
	v_cvt_f32_u32_e32 v10, s2
	s_sub_i32 s0, 0, s2
	s_mov_b32 s1, 0
	v_rcp_iflag_f32_e32 v10, v10
	v_mul_f32_e32 v10, 0x4f7ffffe, v10
	v_cvt_u32_f32_e32 v10, v10
	v_readfirstlane_b32 s3, v10
	s_mul_i32 s0, s0, s3
	s_mul_hi_u32 s0, s3, s0
	s_add_i32 s3, s3, s0
	s_mul_hi_u32 s0, s18, s3
	s_mul_i32 s11, s0, s2
	s_sub_i32 s11, s18, s11
	s_add_i32 s3, s0, 1
	s_sub_i32 s18, s11, s2
	s_cmp_ge_u32 s11, s2
	s_cselect_b32 s0, s3, s0
	s_cselect_b32 s11, s18, s11
	s_add_i32 s3, s0, 1
	s_cmp_ge_u32 s11, s2
	s_cselect_b32 s0, s3, s0
	v_pk_mov_b32 v[10:11], s[0:1], s[0:1] op_sel:[0,1]
.LBB91_36:
	v_add_co_u32_e32 v10, vcc, v10, v15
	v_addc_co_u32_e32 v11, vcc, 0, v11, vcc
	s_branch .LBB91_39
.LBB91_37:
                                        ; implicit-def: $vgpr10_vgpr11
	s_cbranch_execz .LBB91_39
; %bb.38:
	v_mul_lo_u32 v10, v15, s8
	v_ashrrev_i32_e32 v11, 31, v10
	v_mov_b32_e32 v15, s7
	v_add_co_u32_e32 v10, vcc, s6, v10
	v_addc_co_u32_e32 v11, vcc, v11, v15, vcc
.LBB91_39:
	s_mov_b64 s[0:1], exec
.LBB91_40:
	s_or_b64 exec, exec, s[16:17]
	s_and_b64 vcc, exec, s[14:15]
	s_cbranch_vccz .LBB91_42
.LBB91_41:
	v_mov_b32_dpp v10, v13 quad_perm:[1,0,3,2] row_mask:0xf bank_mask:0xf
	v_cmp_gt_f32_e32 vcc, v13, v10
	v_cndmask_b32_e32 v10, v10, v13, vcc
	s_andn2_b64 s[0:1], s[0:1], exec
	s_nop 0
	v_mov_b32_dpp v11, v10 quad_perm:[2,3,0,1] row_mask:0xf bank_mask:0xf
	v_cmp_gt_f32_e32 vcc, v10, v11
	v_cndmask_b32_e32 v10, v11, v10, vcc
	s_nop 1
	v_mov_b32_dpp v11, v10 row_half_mirror row_mask:0xf bank_mask:0xf
	v_cmp_gt_f32_e32 vcc, v10, v11
	v_cndmask_b32_e32 v10, v11, v10, vcc
	s_nop 1
	v_mov_b32_dpp v11, v10 row_mirror row_mask:0xf bank_mask:0xf
	v_cmp_gt_f32_e32 vcc, v10, v11
	v_cndmask_b32_e32 v10, v11, v10, vcc
	s_nop 1
	v_mov_b32_dpp v11, v10 row_bcast:15 row_mask:0xf bank_mask:0xf
	v_cmp_gt_f32_e32 vcc, v10, v11
	v_cndmask_b32_e32 v10, v11, v10, vcc
	s_nop 1
	v_mov_b32_dpp v11, v10 row_bcast:31 row_mask:0xf bank_mask:0xf
	v_cmp_gt_f32_e32 vcc, v10, v11
	v_cndmask_b32_e32 v10, v11, v10, vcc
	ds_bpermute_b32 v10, v12, v10
	v_cmp_eq_u32_e32 vcc, 0, v0
	s_and_b64 s[2:3], vcc, exec
	s_or_b64 s[0:1], s[0:1], s[2:3]
	s_waitcnt lgkmcnt(0)
	v_mul_f32_e32 v14, 0x3c010204, v10
	v_pk_mov_b32 v[10:11], s[6:7], s[6:7] op_sel:[0,1]
.LBB91_42:
	s_and_saveexec_b64 s[2:3], s[0:1]
	s_cbranch_execz .LBB91_44
; %bb.43:
	v_lshlrev_b64 v[10:11], 2, v[10:11]
	v_mov_b32_e32 v0, s13
	v_add_co_u32_e32 v10, vcc, s12, v10
	v_addc_co_u32_e32 v11, vcc, v0, v11, vcc
	global_store_dword v[10:11], v14, off
.LBB91_44:
	s_or_b64 exec, exec, s[2:3]
	s_add_i32 s2, s9, 3
	s_load_dwordx2 s[0:1], s[4:5], 0x0
	s_ashr_i32 s3, s2, 31
	;;#ASMSTART
	v_rcp_f32 v10, v14
	;;#ASMEND
	v_mov_b32_e32 v11, v10
	;;#ASMSTART
	v_pk_mul_f32 v[8:9], v[8:9], v[10:11]
	;;#ASMEND
	;;#ASMSTART
	v_pk_mul_f32 v[6:7], v[6:7], v[10:11]
	;;#ASMEND
	s_lshr_b32 s3, s3, 30
	v_cvt_i32_f32_e32 v0, v8
	v_cvt_i32_f32_sdwa v8, v9 dst_sel:BYTE_1 dst_unused:UNUSED_PAD src0_sel:DWORD
	v_cvt_i32_f32_e32 v6, v6
	v_cvt_i32_f32_sdwa v7, v7 dst_sel:BYTE_1 dst_unused:UNUSED_PAD src0_sel:DWORD
	;;#ASMSTART
	v_pk_mul_f32 v[4:5], v[4:5], v[10:11]
	;;#ASMEND
	;;#ASMSTART
	v_pk_mul_f32 v[2:3], v[2:3], v[10:11]
	;;#ASMEND
	s_add_i32 s2, s2, s3
	s_ashr_i32 s3, s10, 31
	v_cvt_i32_f32_e32 v4, v4
	v_cvt_i32_f32_sdwa v5, v5 dst_sel:BYTE_1 dst_unused:UNUSED_PAD src0_sel:DWORD
	v_cvt_i32_f32_e32 v9, v2
	v_cvt_i32_f32_sdwa v3, v3 dst_sel:BYTE_1 dst_unused:UNUSED_PAD src0_sel:DWORD
	s_mul_hi_u32 s4, s10, s6
	s_mul_i32 s3, s3, s6
	s_and_b32 s2, s2, -4
	s_add_i32 s4, s4, s3
	s_mul_i32 s3, s10, s6
	s_waitcnt lgkmcnt(0)
	s_add_u32 s0, s0, s3
	v_or_b32_sdwa v0, v0, v8 dst_sel:DWORD dst_unused:UNUSED_PAD src0_sel:BYTE_0 src1_sel:DWORD
	v_or_b32_sdwa v2, v6, v7 dst_sel:WORD_1 dst_unused:UNUSED_PAD src0_sel:BYTE_0 src1_sel:DWORD
	s_addc_u32 s1, s1, s4
	v_or_b32_sdwa v2, v0, v2 dst_sel:DWORD dst_unused:UNUSED_PAD src0_sel:WORD_0 src1_sel:DWORD
	v_or_b32_sdwa v0, v4, v5 dst_sel:DWORD dst_unused:UNUSED_PAD src0_sel:BYTE_0 src1_sel:DWORD
	v_or_b32_sdwa v3, v9, v3 dst_sel:WORD_1 dst_unused:UNUSED_PAD src0_sel:BYTE_0 src1_sel:DWORD
	s_and_b32 s1, s1, 0xffff
	s_mov_b32 s3, 0x20000
	v_or_b32_sdwa v3, v0, v3 dst_sel:DWORD dst_unused:UNUSED_PAD src0_sel:WORD_0 src1_sel:DWORD
	buffer_store_dwordx2 v[2:3], v1, s[0:3], 0 offen
	;;#ASMSTART
	s_nop 0
	;;#ASMEND
.LBB91_45:
	s_endpgm
.LBB91_46:
                                        ; implicit-def: $vgpr10_vgpr11
	s_branch .LBB91_35
	.section	.rodata,"a",@progbits
	.p2align	6, 0x0
	.amdhsa_kernel _ZN5aiter24add_rmsnorm_quant_kernelIDF16_aLi64ELi8ELb0ELb1ELb0ELi1EEEvPT0_PT_PfS4_S4_S4_diiiiiiib
		.amdhsa_group_segment_fixed_size 0
		.amdhsa_private_segment_fixed_size 0
		.amdhsa_kernarg_size 88
		.amdhsa_user_sgpr_count 6
		.amdhsa_user_sgpr_private_segment_buffer 1
		.amdhsa_user_sgpr_dispatch_ptr 0
		.amdhsa_user_sgpr_queue_ptr 0
		.amdhsa_user_sgpr_kernarg_segment_ptr 1
		.amdhsa_user_sgpr_dispatch_id 0
		.amdhsa_user_sgpr_flat_scratch_init 0
		.amdhsa_user_sgpr_kernarg_preload_length 0
		.amdhsa_user_sgpr_kernarg_preload_offset 0
		.amdhsa_user_sgpr_private_segment_size 0
		.amdhsa_uses_dynamic_stack 0
		.amdhsa_system_sgpr_private_segment_wavefront_offset 0
		.amdhsa_system_sgpr_workgroup_id_x 1
		.amdhsa_system_sgpr_workgroup_id_y 0
		.amdhsa_system_sgpr_workgroup_id_z 0
		.amdhsa_system_sgpr_workgroup_info 0
		.amdhsa_system_vgpr_workitem_id 0
		.amdhsa_next_free_vgpr 28
		.amdhsa_next_free_sgpr 31
		.amdhsa_accum_offset 28
		.amdhsa_reserve_vcc 1
		.amdhsa_reserve_flat_scratch 0
		.amdhsa_float_round_mode_32 0
		.amdhsa_float_round_mode_16_64 0
		.amdhsa_float_denorm_mode_32 3
		.amdhsa_float_denorm_mode_16_64 3
		.amdhsa_dx10_clamp 1
		.amdhsa_ieee_mode 1
		.amdhsa_fp16_overflow 0
		.amdhsa_tg_split 0
		.amdhsa_exception_fp_ieee_invalid_op 0
		.amdhsa_exception_fp_denorm_src 0
		.amdhsa_exception_fp_ieee_div_zero 0
		.amdhsa_exception_fp_ieee_overflow 0
		.amdhsa_exception_fp_ieee_underflow 0
		.amdhsa_exception_fp_ieee_inexact 0
		.amdhsa_exception_int_div_zero 0
	.end_amdhsa_kernel
	.section	.text._ZN5aiter24add_rmsnorm_quant_kernelIDF16_aLi64ELi8ELb0ELb1ELb0ELi1EEEvPT0_PT_PfS4_S4_S4_diiiiiiib,"axG",@progbits,_ZN5aiter24add_rmsnorm_quant_kernelIDF16_aLi64ELi8ELb0ELb1ELb0ELi1EEEvPT0_PT_PfS4_S4_S4_diiiiiiib,comdat
.Lfunc_end91:
	.size	_ZN5aiter24add_rmsnorm_quant_kernelIDF16_aLi64ELi8ELb0ELb1ELb0ELi1EEEvPT0_PT_PfS4_S4_S4_diiiiiiib, .Lfunc_end91-_ZN5aiter24add_rmsnorm_quant_kernelIDF16_aLi64ELi8ELb0ELb1ELb0ELi1EEEvPT0_PT_PfS4_S4_S4_diiiiiiib
                                        ; -- End function
	.section	.AMDGPU.csdata,"",@progbits
; Kernel info:
; codeLenInByte = 2872
; NumSgprs: 35
; NumVgprs: 28
; NumAgprs: 0
; TotalNumVgprs: 28
; ScratchSize: 0
; MemoryBound: 0
; FloatMode: 240
; IeeeMode: 1
; LDSByteSize: 0 bytes/workgroup (compile time only)
; SGPRBlocks: 4
; VGPRBlocks: 3
; NumSGPRsForWavesPerEU: 35
; NumVGPRsForWavesPerEU: 28
; AccumOffset: 28
; Occupancy: 8
; WaveLimiterHint : 0
; COMPUTE_PGM_RSRC2:SCRATCH_EN: 0
; COMPUTE_PGM_RSRC2:USER_SGPR: 6
; COMPUTE_PGM_RSRC2:TRAP_HANDLER: 0
; COMPUTE_PGM_RSRC2:TGID_X_EN: 1
; COMPUTE_PGM_RSRC2:TGID_Y_EN: 0
; COMPUTE_PGM_RSRC2:TGID_Z_EN: 0
; COMPUTE_PGM_RSRC2:TIDIG_COMP_CNT: 0
; COMPUTE_PGM_RSRC3_GFX90A:ACCUM_OFFSET: 6
; COMPUTE_PGM_RSRC3_GFX90A:TG_SPLIT: 0
	.section	.text._ZN5aiter24add_rmsnorm_quant_kernelItaLi64ELi8ELb0ELb1ELb0ELi1EEEvPT0_PT_PfS4_S4_S4_diiiiiiib,"axG",@progbits,_ZN5aiter24add_rmsnorm_quant_kernelItaLi64ELi8ELb0ELb1ELb0ELi1EEEvPT0_PT_PfS4_S4_S4_diiiiiiib,comdat
	.protected	_ZN5aiter24add_rmsnorm_quant_kernelItaLi64ELi8ELb0ELb1ELb0ELi1EEEvPT0_PT_PfS4_S4_S4_diiiiiiib ; -- Begin function _ZN5aiter24add_rmsnorm_quant_kernelItaLi64ELi8ELb0ELb1ELb0ELi1EEEvPT0_PT_PfS4_S4_S4_diiiiiiib
	.globl	_ZN5aiter24add_rmsnorm_quant_kernelItaLi64ELi8ELb0ELb1ELb0ELi1EEEvPT0_PT_PfS4_S4_S4_diiiiiiib
	.p2align	8
	.type	_ZN5aiter24add_rmsnorm_quant_kernelItaLi64ELi8ELb0ELb1ELb0ELi1EEEvPT0_PT_PfS4_S4_S4_diiiiiiib,@function
_ZN5aiter24add_rmsnorm_quant_kernelItaLi64ELi8ELb0ELb1ELb0ELi1EEEvPT0_PT_PfS4_S4_S4_diiiiiiib: ; @_ZN5aiter24add_rmsnorm_quant_kernelItaLi64ELi8ELb0ELb1ELb0ELi1EEEvPT0_PT_PfS4_S4_S4_diiiiiiib
; %bb.0:
	s_load_dwordx4 s[8:11], s[4:5], 0x38
	s_mov_b32 s7, 0
	s_waitcnt lgkmcnt(0)
	s_ashr_i32 s0, s8, 31
	v_mov_b32_e32 v2, s8
	v_mov_b32_e32 v3, s0
	v_cmp_ge_i64_e32 vcc, s[6:7], v[2:3]
	s_cbranch_vccnz .LBB92_45
; %bb.1:
	s_load_dwordx4 s[12:15], s[4:5], 0x10
	s_load_dwordx4 s[0:3], s[4:5], 0x28
	s_ashr_i32 s11, s10, 31
	s_mul_hi_u32 s16, s10, s6
	s_mul_i32 s11, s11, s6
	s_add_i32 s11, s16, s11
	s_mul_i32 s10, s10, s6
	s_lshl_b64 s[10:11], s[10:11], 1
	s_waitcnt lgkmcnt(0)
	s_add_u32 s16, s14, s10
	s_addc_u32 s10, s15, s11
	s_add_i32 s11, s9, 1
	s_lshr_b32 s14, s11, 31
	s_add_i32 s11, s11, s14
	s_lshl_b32 s11, s11, 1
	s_and_b32 s18, s11, -4
	s_and_b32 s17, s10, 0xffff
	s_mov_b32 s19, 0x20000
	v_lshlrev_b32_e32 v1, 4, v0
	buffer_load_dwordx4 v[6:9], v1, s[16:19], 0 offen glc slc
	s_and_b32 s17, s1, 0xffff
	s_mov_b32 s16, s0
	buffer_load_dwordx4 v[2:5], v1, s[16:19], 0 offen
	v_mbcnt_lo_u32_b32 v10, -1, 0
	v_mbcnt_hi_u32_b32 v10, -1, v10
	v_lshlrev_b32_e32 v10, 2, v10
	v_or_b32_e32 v12, 0xfc, v10
	v_cvt_f32_i32_e32 v11, s9
	s_mov_b32 s14, 0x800000
	s_load_dwordx2 s[10:11], s[4:5], 0x4c
	s_load_dword s18, s[4:5], 0x54
	v_mov_b32_e32 v13, 0x2edbe6ff
	v_lshlrev_b32_e32 v1, 3, v0
	s_waitcnt lgkmcnt(0)
	s_cmp_lg_u32 s11, 0
	s_waitcnt vmcnt(1)
	v_cvt_f32_u32_sdwa v15, v6 dst_sel:DWORD dst_unused:UNUSED_PAD src0_sel:WORD_1
	v_cvt_f32_u32_sdwa v14, v6 dst_sel:DWORD dst_unused:UNUSED_PAD src0_sel:WORD_0
	v_cvt_f32_u32_sdwa v17, v7 dst_sel:DWORD dst_unused:UNUSED_PAD src0_sel:WORD_1
	v_cvt_f32_u32_sdwa v16, v7 dst_sel:DWORD dst_unused:UNUSED_PAD src0_sel:WORD_0
	;; [unrolled: 2-line block ×3, first 2 shown]
	v_pk_mul_f32 v[20:21], v[14:15], v[14:15]
	v_cvt_f32_u32_sdwa v19, v9 dst_sel:DWORD dst_unused:UNUSED_PAD src0_sel:WORD_1
	v_cvt_f32_u32_sdwa v18, v9 dst_sel:DWORD dst_unused:UNUSED_PAD src0_sel:WORD_0
	v_pk_mul_f32 v[22:23], v[16:17], v[16:17]
	v_add_f32_e32 v8, v20, v21
	v_add_f32_e32 v8, v22, v8
	v_pk_mul_f32 v[24:25], v[6:7], v[6:7]
	v_add_f32_e32 v8, v23, v8
	v_add_f32_e32 v8, v24, v8
	;; [unrolled: 3-line block ×3, first 2 shown]
	v_add_f32_e32 v8, v27, v8
	s_waitcnt vmcnt(0)
	v_cvt_f32_u32_sdwa v9, v2 dst_sel:DWORD dst_unused:UNUSED_PAD src0_sel:WORD_1
	v_cvt_f32_u32_sdwa v21, v3 dst_sel:DWORD dst_unused:UNUSED_PAD src0_sel:WORD_1
	v_mov_b32_dpp v20, v8 quad_perm:[1,0,3,2] row_mask:0xf bank_mask:0xf
	v_add_f32_e32 v8, v8, v20
	s_nop 1
	v_mov_b32_dpp v20, v8 quad_perm:[2,3,0,1] row_mask:0xf bank_mask:0xf
	v_add_f32_e32 v8, v8, v20
	s_nop 1
	v_mov_b32_dpp v20, v8 row_half_mirror row_mask:0xf bank_mask:0xf
	v_add_f32_e32 v8, v8, v20
	s_nop 1
	v_mov_b32_dpp v20, v8 row_mirror row_mask:0xf bank_mask:0xf
	v_add_f32_e32 v8, v8, v20
	s_nop 1
	v_mov_b32_dpp v20, v8 row_bcast:15 row_mask:0xf bank_mask:0xf
	v_add_f32_e32 v8, v8, v20
	s_nop 1
	v_mov_b32_dpp v20, v8 row_bcast:31 row_mask:0xf bank_mask:0xf
	v_add_f32_e32 v8, v8, v20
	ds_bpermute_b32 v22, v12, v8
	v_cvt_f32_u32_sdwa v8, v2 dst_sel:DWORD dst_unused:UNUSED_PAD src0_sel:WORD_0
	v_cvt_f32_u32_sdwa v20, v3 dst_sel:DWORD dst_unused:UNUSED_PAD src0_sel:WORD_0
	v_cvt_f32_u32_sdwa v3, v4 dst_sel:DWORD dst_unused:UNUSED_PAD src0_sel:WORD_1
	s_waitcnt lgkmcnt(0)
	v_div_scale_f32 v2, s[0:1], v11, v11, v22
	v_rcp_f32_e32 v23, v2
	v_div_scale_f32 v24, vcc, v22, v11, v22
	v_fma_f32 v25, -v2, v23, 1.0
	v_fmac_f32_e32 v23, v25, v23
	v_mul_f32_e32 v25, v24, v23
	v_fma_f32 v26, -v2, v25, v24
	v_fmac_f32_e32 v25, v26, v23
	v_fma_f32 v2, -v2, v25, v24
	v_div_fmas_f32 v2, v2, v23, v25
	v_div_fixup_f32 v2, v2, v11, v22
	v_cvt_f64_f32_e32 v[22:23], v2
	v_add_f64 v[22:23], v[22:23], s[2:3]
	v_cvt_f32_f64_e32 v2, v[22:23]
	v_mul_f32_e32 v11, 0x4b800000, v2
	v_cmp_gt_f32_e32 vcc, s14, v2
	v_cndmask_b32_e32 v2, v2, v11, vcc
	v_rsq_f32_e32 v11, v2
	v_cvt_f32_u32_sdwa v2, v4 dst_sel:DWORD dst_unused:UNUSED_PAD src0_sel:WORD_0
	v_cvt_f32_u32_sdwa v23, v5 dst_sel:DWORD dst_unused:UNUSED_PAD src0_sel:WORD_1
	v_cvt_f32_u32_sdwa v22, v5 dst_sel:DWORD dst_unused:UNUSED_PAD src0_sel:WORD_0
	v_mul_f32_e32 v4, 0x45800000, v11
	v_cndmask_b32_e32 v4, v11, v4, vcc
	v_mov_b32_e32 v5, v4
	;;#ASMSTART
	v_pk_mul_f32 v[14:15], v[14:15], v[4:5]
	;;#ASMEND
	;;#ASMSTART
	v_pk_mul_f32 v[16:17], v[16:17], v[4:5]
	;;#ASMEND
	;; [unrolled: 3-line block ×5, first 2 shown]
	v_and_b32_e32 v11, 0x7fffffff, v8
	;;#ASMSTART
	v_pk_mul_f32 v[6:7], v[16:17], v[20:21]
	;;#ASMEND
	;;#ASMSTART
	v_pk_mul_f32 v[4:5], v[24:25], v[2:3]
	;;#ASMEND
	;; [unrolled: 3-line block ×3, first 2 shown]
	v_and_b32_e32 v14, 0x7fffffff, v9
	;;#ASMSTART
	v_max3_f32 v11, v13, v11, v14

	;;#ASMEND
	v_and_b32_e32 v15, 0x7fffffff, v6
	v_and_b32_e32 v16, 0x7fffffff, v7
	;;#ASMSTART
	v_max3_f32 v11, v11, v15, v16

	;;#ASMEND
	v_and_b32_e32 v17, 0x7fffffff, v4
	v_and_b32_e32 v18, 0x7fffffff, v5
	;; [unrolled: 1-line block ×4, first 2 shown]
	;;#ASMSTART
	v_max3_f32 v11, v11, v17, v18

	;;#ASMEND
	;;#ASMSTART
	v_max3_f32 v13, v11, v19, v20

	;;#ASMEND
	s_cbranch_scc0 .LBB92_8
; %bb.2:
	s_ashr_i32 s3, s11, 31
	s_lshr_b32 s0, s3, 29
	s_add_i32 s0, s11, s0
	s_ashr_i32 s2, s0, 3
	s_cmp_lt_i32 s2, 16
	s_cbranch_scc1 .LBB92_9
; %bb.3:
	s_cmp_lt_i32 s2, 32
	s_cbranch_scc1 .LBB92_10
; %bb.4:
	;; [unrolled: 3-line block ×3, first 2 shown]
	s_cmp_eq_u32 s2, 64
	v_mov_b32_e32 v11, v13
	s_cbranch_scc0 .LBB92_7
; %bb.6:
	s_nop 0
	v_mov_b32_dpp v11, v13 quad_perm:[1,0,3,2] row_mask:0xf bank_mask:0xf
	v_cmp_gt_f32_e32 vcc, v13, v11
	v_cndmask_b32_e32 v11, v11, v13, vcc
	s_nop 1
	v_mov_b32_dpp v14, v11 quad_perm:[2,3,0,1] row_mask:0xf bank_mask:0xf
	v_cmp_gt_f32_e32 vcc, v11, v14
	v_cndmask_b32_e32 v11, v14, v11, vcc
	s_nop 1
	v_mov_b32_dpp v14, v11 row_ror:4 row_mask:0xf bank_mask:0xf
	v_cmp_gt_f32_e32 vcc, v11, v14
	v_cndmask_b32_e32 v11, v14, v11, vcc
	s_nop 1
	v_mov_b32_dpp v14, v11 row_ror:8 row_mask:0xf bank_mask:0xf
	v_cmp_gt_f32_e32 vcc, v11, v14
	v_cndmask_b32_e32 v11, v14, v11, vcc
	s_nop 1
	v_mov_b32_dpp v14, v11 row_bcast:15 row_mask:0xf bank_mask:0xf
	v_cmp_gt_f32_e32 vcc, v11, v14
	v_cndmask_b32_e32 v11, v14, v11, vcc
	s_nop 1
	v_mov_b32_dpp v14, v11 row_bcast:31 row_mask:0xf bank_mask:0xf
	v_cmp_gt_f32_e32 vcc, v11, v14
	v_cndmask_b32_e32 v11, v14, v11, vcc
	ds_bpermute_b32 v11, v12, v11
.LBB92_7:
	s_mov_b64 s[0:1], 0
	s_branch .LBB92_12
.LBB92_8:
	s_mov_b64 s[0:1], 0
                                        ; implicit-def: $vgpr14
                                        ; implicit-def: $vgpr10_vgpr11
	s_cbranch_execnz .LBB92_41
	s_branch .LBB92_42
.LBB92_9:
                                        ; implicit-def: $vgpr11
	s_branch .LBB92_19
.LBB92_10:
                                        ; implicit-def: $vgpr11
	s_branch .LBB92_16
.LBB92_11:
	s_mov_b64 s[0:1], -1
                                        ; implicit-def: $vgpr11
.LBB92_12:
	s_andn2_b64 vcc, exec, s[0:1]
	s_cbranch_vccnz .LBB92_15
; %bb.13:
	s_cmp_eq_u32 s2, 32
	s_waitcnt lgkmcnt(0)
	v_mov_b32_e32 v11, v13
	s_cbranch_scc0 .LBB92_15
; %bb.14:
	s_nop 0
	v_mov_b32_dpp v11, v13 quad_perm:[1,0,3,2] row_mask:0xf bank_mask:0xf
	v_cmp_gt_f32_e32 vcc, v13, v11
	v_cndmask_b32_e32 v11, v11, v13, vcc
	v_or_b32_e32 v10, 0x7c, v10
	s_nop 0
	v_mov_b32_dpp v14, v11 quad_perm:[2,3,0,1] row_mask:0xf bank_mask:0xf
	v_cmp_gt_f32_e32 vcc, v11, v14
	v_cndmask_b32_e32 v11, v14, v11, vcc
	s_nop 1
	v_mov_b32_dpp v14, v11 row_half_mirror row_mask:0xf bank_mask:0xf
	v_cmp_gt_f32_e32 vcc, v11, v14
	v_cndmask_b32_e32 v11, v14, v11, vcc
	s_nop 1
	v_mov_b32_dpp v14, v11 row_mirror row_mask:0xf bank_mask:0xf
	v_cmp_gt_f32_e32 vcc, v11, v14
	v_cndmask_b32_e32 v11, v14, v11, vcc
	s_nop 1
	v_mov_b32_dpp v14, v11 row_bcast:15 row_mask:0xa bank_mask:0xf
	v_cmp_gt_f32_e32 vcc, v11, v14
	v_cndmask_b32_e32 v11, v14, v11, vcc
	ds_bpermute_b32 v11, v10, v11
.LBB92_15:
	s_cbranch_execnz .LBB92_18
.LBB92_16:
	s_cmp_eq_u32 s2, 16
	s_waitcnt lgkmcnt(0)
	v_mov_b32_e32 v11, v13
	s_cbranch_scc0 .LBB92_18
; %bb.17:
	v_mov_b32_dpp v10, v13 quad_perm:[1,0,3,2] row_mask:0xf bank_mask:0xf
	v_cmp_gt_f32_e32 vcc, v13, v10
	v_cndmask_b32_e32 v10, v10, v13, vcc
	s_nop 1
	v_mov_b32_dpp v11, v10 quad_perm:[2,3,0,1] row_mask:0xf bank_mask:0xf
	v_cmp_gt_f32_e32 vcc, v10, v11
	v_cndmask_b32_e32 v10, v11, v10, vcc
	s_nop 1
	v_mov_b32_dpp v11, v10 row_half_mirror row_mask:0xf bank_mask:0xf
	v_cmp_gt_f32_e32 vcc, v10, v11
	v_cndmask_b32_e32 v10, v11, v10, vcc
	s_nop 1
	v_mov_b32_dpp v11, v10 row_mirror row_mask:0xf bank_mask:0xf
	v_cmp_gt_f32_e32 vcc, v10, v11
	v_cndmask_b32_e32 v11, v11, v10, vcc
.LBB92_18:
	s_cbranch_execnz .LBB92_31
.LBB92_19:
	s_cmp_lt_i32 s2, 4
	s_cbranch_scc1 .LBB92_23
; %bb.20:
	s_cmp_lt_i32 s2, 8
	s_cbranch_scc1 .LBB92_24
; %bb.21:
	s_cmp_eq_u32 s2, 8
	s_waitcnt lgkmcnt(0)
	v_mov_b32_e32 v11, v13
	s_cbranch_scc0 .LBB92_25
; %bb.22:
	v_mov_b32_dpp v10, v13 quad_perm:[1,0,3,2] row_mask:0xf bank_mask:0xf
	v_cmp_gt_f32_e32 vcc, v13, v10
	v_cndmask_b32_e32 v10, v10, v13, vcc
	s_nop 1
	v_mov_b32_dpp v11, v10 quad_perm:[2,3,0,1] row_mask:0xf bank_mask:0xf
	v_cmp_gt_f32_e32 vcc, v10, v11
	v_cndmask_b32_e32 v10, v11, v10, vcc
	s_nop 1
	v_mov_b32_dpp v11, v10 row_half_mirror row_mask:0xf bank_mask:0xf
	v_cmp_gt_f32_e32 vcc, v10, v11
	v_cndmask_b32_e32 v11, v11, v10, vcc
	s_cbranch_execz .LBB92_26
	s_branch .LBB92_28
.LBB92_23:
                                        ; implicit-def: $vgpr11
	s_branch .LBB92_29
.LBB92_24:
                                        ; implicit-def: $vgpr11
	s_branch .LBB92_26
.LBB92_25:
	s_cbranch_execnz .LBB92_28
.LBB92_26:
	s_cmp_eq_u32 s2, 4
	s_waitcnt lgkmcnt(0)
	v_mov_b32_e32 v11, v13
	s_cbranch_scc0 .LBB92_28
; %bb.27:
	v_mov_b32_dpp v10, v13 quad_perm:[1,0,3,2] row_mask:0xf bank_mask:0xf
	v_cmp_gt_f32_e32 vcc, v13, v10
	v_cndmask_b32_e32 v10, v10, v13, vcc
	s_nop 1
	v_mov_b32_dpp v11, v10 quad_perm:[2,3,0,1] row_mask:0xf bank_mask:0xf
	v_cmp_gt_f32_e32 vcc, v10, v11
	v_cndmask_b32_e32 v11, v11, v10, vcc
.LBB92_28:
	s_cbranch_execnz .LBB92_31
.LBB92_29:
	s_cmp_lg_u32 s2, 2
	s_waitcnt lgkmcnt(0)
	v_mov_b32_e32 v11, v13
	s_cbranch_scc1 .LBB92_31
; %bb.30:
	v_mov_b32_dpp v10, v13 quad_perm:[1,0,3,2] row_mask:0xf bank_mask:0xf
	v_cmp_gt_f32_e32 vcc, v13, v10
	v_cndmask_b32_e32 v11, v10, v13, vcc
.LBB92_31:
	v_cvt_f32_u32_e32 v10, s2
	s_sub_i32 s0, 0, s2
	s_waitcnt lgkmcnt(0)
	v_mul_f32_e32 v14, 0x3c010204, v11
	v_cmp_gt_u32_e32 vcc, s9, v1
	v_rcp_iflag_f32_e32 v10, v10
	s_mov_b64 s[14:15], 0
	v_mul_f32_e32 v10, 0x4f7ffffe, v10
	v_cvt_u32_f32_e32 v10, v10
	v_mul_lo_u32 v11, s0, v10
	v_mul_hi_u32 v11, v10, v11
	v_add_u32_e32 v10, v10, v11
	v_mul_hi_u32 v10, v0, v10
	v_mul_lo_u32 v11, v10, s2
	v_sub_u32_e32 v11, v0, v11
	v_add_u32_e32 v15, 1, v10
	v_cmp_le_u32_e64 s[0:1], s2, v11
	v_cndmask_b32_e64 v10, v10, v15, s[0:1]
	v_subrev_u32_e32 v15, s2, v11
	v_cndmask_b32_e64 v11, v11, v15, s[0:1]
	v_add_u32_e32 v15, 1, v10
	v_cmp_le_u32_e64 s[0:1], s2, v11
	v_cndmask_b32_e64 v15, v10, v15, s[0:1]
	v_mul_lo_u32 v10, v15, s2
	v_sub_u32_e32 v10, v0, v10
	v_cmp_eq_u32_e64 s[0:1], 0, v10
	s_and_b64 s[16:17], s[0:1], vcc
	s_mov_b64 s[0:1], 0
                                        ; implicit-def: $vgpr10_vgpr11
	s_and_saveexec_b64 s[20:21], s[16:17]
	s_xor_b64 s[16:17], exec, s[20:21]
	s_cbranch_execz .LBB92_40
; %bb.32:
	s_bitcmp0_b32 s18, 0
	s_cbranch_scc0 .LBB92_37
; %bb.33:
	s_ashr_i32 s0, s9, 31
	s_mul_hi_u32 s1, s9, s6
	s_mul_i32 s0, s0, s6
	s_add_i32 s19, s1, s0
	s_mul_i32 s18, s9, s6
	s_mov_b32 s2, s11
	s_or_b64 s[0:1], s[18:19], s[2:3]
	s_mov_b32 s0, 0
	s_cmp_lg_u64 s[0:1], 0
	s_cbranch_scc0 .LBB92_46
; %bb.34:
	s_add_u32 s0, s2, s3
	s_mov_b32 s22, s3
	s_mov_b32 s23, s3
	s_addc_u32 s1, s3, s3
	s_xor_b64 s[24:25], s[0:1], s[22:23]
	v_cvt_f32_u32_e32 v10, s24
	v_cvt_f32_u32_e32 v11, s25
	s_sub_u32 s0, 0, s24
	s_subb_u32 s1, 0, s25
	v_madmk_f32 v10, v11, 0x4f800000, v10
	v_rcp_f32_e32 v10, v10
	v_mul_f32_e32 v10, 0x5f7ffffc, v10
	v_mul_f32_e32 v11, 0x2f800000, v10
	v_trunc_f32_e32 v11, v11
	v_madmk_f32 v10, v11, 0xcf800000, v10
	v_cvt_u32_f32_e32 v11, v11
	v_cvt_u32_f32_e32 v10, v10
	v_readfirstlane_b32 s3, v11
	v_readfirstlane_b32 s11, v10
	s_mul_i32 s26, s0, s3
	s_mul_hi_u32 s28, s0, s11
	s_mul_i32 s27, s1, s11
	s_add_i32 s26, s28, s26
	s_add_i32 s26, s26, s27
	s_mul_i32 s29, s0, s11
	s_mul_hi_u32 s27, s11, s26
	s_mul_i32 s28, s11, s26
	s_mul_hi_u32 s11, s11, s29
	s_add_u32 s11, s11, s28
	s_addc_u32 s27, 0, s27
	s_mul_hi_u32 s30, s3, s29
	s_mul_i32 s29, s3, s29
	s_add_u32 s11, s11, s29
	s_mul_hi_u32 s28, s3, s26
	s_addc_u32 s11, s27, s30
	s_addc_u32 s27, s28, 0
	s_mul_i32 s26, s3, s26
	s_add_u32 s11, s11, s26
	s_addc_u32 s26, 0, s27
	v_add_co_u32_e32 v10, vcc, s11, v10
	s_cmp_lg_u64 vcc, 0
	s_addc_u32 s3, s3, s26
	v_readfirstlane_b32 s26, v10
	s_mul_i32 s11, s0, s3
	s_mul_hi_u32 s27, s0, s26
	s_add_i32 s11, s27, s11
	s_mul_i32 s1, s1, s26
	s_add_i32 s11, s11, s1
	s_mul_i32 s0, s0, s26
	s_mul_hi_u32 s27, s3, s0
	s_mul_i32 s28, s3, s0
	s_mul_i32 s30, s26, s11
	s_mul_hi_u32 s0, s26, s0
	s_mul_hi_u32 s29, s26, s11
	s_add_u32 s0, s0, s30
	s_addc_u32 s26, 0, s29
	s_add_u32 s0, s0, s28
	s_mul_hi_u32 s1, s3, s11
	s_addc_u32 s0, s26, s27
	s_addc_u32 s1, s1, 0
	s_mul_i32 s11, s3, s11
	s_add_u32 s0, s0, s11
	s_addc_u32 s1, 0, s1
	v_add_co_u32_e32 v10, vcc, s0, v10
	s_cmp_lg_u64 vcc, 0
	s_addc_u32 s3, s3, s1
	s_ashr_i32 s26, s19, 31
	s_add_u32 s0, s18, s26
	s_mov_b32 s27, s26
	s_addc_u32 s1, s19, s26
	s_xor_b64 s[28:29], s[0:1], s[26:27]
	v_readfirstlane_b32 s11, v10
	s_mul_i32 s1, s28, s3
	s_mul_hi_u32 s19, s28, s11
	s_mul_hi_u32 s0, s28, s3
	s_add_u32 s1, s19, s1
	s_addc_u32 s0, 0, s0
	s_mul_hi_u32 s30, s29, s11
	s_mul_i32 s11, s29, s11
	s_add_u32 s1, s1, s11
	s_mul_hi_u32 s19, s29, s3
	s_addc_u32 s0, s0, s30
	s_addc_u32 s1, s19, 0
	s_mul_i32 s3, s29, s3
	s_add_u32 s3, s0, s3
	s_addc_u32 s11, 0, s1
	s_mul_i32 s0, s24, s11
	s_mul_hi_u32 s1, s24, s3
	s_add_i32 s0, s1, s0
	s_mul_i32 s1, s25, s3
	s_add_i32 s19, s0, s1
	s_mul_i32 s1, s24, s3
	v_mov_b32_e32 v10, s1
	s_sub_i32 s0, s29, s19
	v_sub_co_u32_e32 v10, vcc, s28, v10
	s_cmp_lg_u64 vcc, 0
	s_subb_u32 s28, s0, s25
	v_subrev_co_u32_e64 v11, s[0:1], s24, v10
	s_cmp_lg_u64 s[0:1], 0
	s_subb_u32 s28, s28, 0
	s_cmp_ge_u32 s28, s25
	s_cselect_b32 s30, -1, 0
	v_cmp_le_u32_e64 s[0:1], s24, v11
	s_cmp_eq_u32 s28, s25
	v_cndmask_b32_e64 v11, 0, -1, s[0:1]
	v_mov_b32_e32 v16, s30
	s_cselect_b64 s[0:1], -1, 0
	v_cndmask_b32_e64 v11, v16, v11, s[0:1]
	s_add_u32 s0, s3, 1
	s_addc_u32 s28, s11, 0
	s_add_u32 s1, s3, 2
	s_addc_u32 s30, s11, 0
	v_mov_b32_e32 v16, s0
	v_mov_b32_e32 v17, s1
	v_cmp_ne_u32_e64 s[0:1], 0, v11
	v_cndmask_b32_e64 v11, v16, v17, s[0:1]
	v_mov_b32_e32 v16, s28
	v_mov_b32_e32 v17, s30
	s_cmp_lg_u64 vcc, 0
	v_cndmask_b32_e64 v16, v16, v17, s[0:1]
	s_subb_u32 s0, s29, s19
	s_cmp_ge_u32 s0, s25
	s_cselect_b32 s1, -1, 0
	v_cmp_le_u32_e32 vcc, s24, v10
	s_cmp_eq_u32 s0, s25
	v_cndmask_b32_e64 v10, 0, -1, vcc
	v_mov_b32_e32 v17, s1
	s_cselect_b64 vcc, -1, 0
	v_cndmask_b32_e32 v10, v17, v10, vcc
	v_mov_b32_e32 v17, s11
	v_cmp_ne_u32_e32 vcc, 0, v10
	v_cndmask_b32_e32 v10, v17, v16, vcc
	v_mov_b32_e32 v16, s3
	v_cndmask_b32_e32 v11, v16, v11, vcc
	s_xor_b64 s[0:1], s[26:27], s[22:23]
	v_xor_b32_e32 v11, s0, v11
	v_xor_b32_e32 v16, s1, v10
	v_mov_b32_e32 v17, s1
	v_subrev_co_u32_e32 v10, vcc, s0, v11
	v_subb_co_u32_e32 v11, vcc, v16, v17, vcc
	s_cbranch_execnz .LBB92_36
.LBB92_35:
	v_cvt_f32_u32_e32 v10, s2
	s_sub_i32 s0, 0, s2
	s_mov_b32 s1, 0
	v_rcp_iflag_f32_e32 v10, v10
	v_mul_f32_e32 v10, 0x4f7ffffe, v10
	v_cvt_u32_f32_e32 v10, v10
	v_readfirstlane_b32 s3, v10
	s_mul_i32 s0, s0, s3
	s_mul_hi_u32 s0, s3, s0
	s_add_i32 s3, s3, s0
	s_mul_hi_u32 s0, s18, s3
	s_mul_i32 s11, s0, s2
	s_sub_i32 s11, s18, s11
	s_add_i32 s3, s0, 1
	s_sub_i32 s18, s11, s2
	s_cmp_ge_u32 s11, s2
	s_cselect_b32 s0, s3, s0
	s_cselect_b32 s11, s18, s11
	s_add_i32 s3, s0, 1
	s_cmp_ge_u32 s11, s2
	s_cselect_b32 s0, s3, s0
	v_pk_mov_b32 v[10:11], s[0:1], s[0:1] op_sel:[0,1]
.LBB92_36:
	v_add_co_u32_e32 v10, vcc, v10, v15
	v_addc_co_u32_e32 v11, vcc, 0, v11, vcc
	s_branch .LBB92_39
.LBB92_37:
                                        ; implicit-def: $vgpr10_vgpr11
	s_cbranch_execz .LBB92_39
; %bb.38:
	v_mul_lo_u32 v10, v15, s8
	v_ashrrev_i32_e32 v11, 31, v10
	v_mov_b32_e32 v15, s7
	v_add_co_u32_e32 v10, vcc, s6, v10
	v_addc_co_u32_e32 v11, vcc, v11, v15, vcc
.LBB92_39:
	s_mov_b64 s[0:1], exec
.LBB92_40:
	s_or_b64 exec, exec, s[16:17]
	s_and_b64 vcc, exec, s[14:15]
	s_cbranch_vccz .LBB92_42
.LBB92_41:
	v_mov_b32_dpp v10, v13 quad_perm:[1,0,3,2] row_mask:0xf bank_mask:0xf
	v_cmp_gt_f32_e32 vcc, v13, v10
	v_cndmask_b32_e32 v10, v10, v13, vcc
	s_andn2_b64 s[0:1], s[0:1], exec
	s_nop 0
	v_mov_b32_dpp v11, v10 quad_perm:[2,3,0,1] row_mask:0xf bank_mask:0xf
	v_cmp_gt_f32_e32 vcc, v10, v11
	v_cndmask_b32_e32 v10, v11, v10, vcc
	s_nop 1
	v_mov_b32_dpp v11, v10 row_half_mirror row_mask:0xf bank_mask:0xf
	v_cmp_gt_f32_e32 vcc, v10, v11
	v_cndmask_b32_e32 v10, v11, v10, vcc
	s_nop 1
	v_mov_b32_dpp v11, v10 row_mirror row_mask:0xf bank_mask:0xf
	v_cmp_gt_f32_e32 vcc, v10, v11
	v_cndmask_b32_e32 v10, v11, v10, vcc
	s_nop 1
	v_mov_b32_dpp v11, v10 row_bcast:15 row_mask:0xf bank_mask:0xf
	v_cmp_gt_f32_e32 vcc, v10, v11
	v_cndmask_b32_e32 v10, v11, v10, vcc
	s_nop 1
	v_mov_b32_dpp v11, v10 row_bcast:31 row_mask:0xf bank_mask:0xf
	v_cmp_gt_f32_e32 vcc, v10, v11
	v_cndmask_b32_e32 v10, v11, v10, vcc
	ds_bpermute_b32 v10, v12, v10
	v_cmp_eq_u32_e32 vcc, 0, v0
	s_and_b64 s[2:3], vcc, exec
	s_or_b64 s[0:1], s[0:1], s[2:3]
	s_waitcnt lgkmcnt(0)
	v_mul_f32_e32 v14, 0x3c010204, v10
	v_pk_mov_b32 v[10:11], s[6:7], s[6:7] op_sel:[0,1]
.LBB92_42:
	s_and_saveexec_b64 s[2:3], s[0:1]
	s_cbranch_execz .LBB92_44
; %bb.43:
	v_lshlrev_b64 v[10:11], 2, v[10:11]
	v_mov_b32_e32 v0, s13
	v_add_co_u32_e32 v10, vcc, s12, v10
	v_addc_co_u32_e32 v11, vcc, v0, v11, vcc
	global_store_dword v[10:11], v14, off
.LBB92_44:
	s_or_b64 exec, exec, s[2:3]
	s_add_i32 s2, s9, 3
	s_load_dwordx2 s[0:1], s[4:5], 0x0
	s_ashr_i32 s3, s2, 31
	;;#ASMSTART
	v_rcp_f32 v10, v14
	;;#ASMEND
	v_mov_b32_e32 v11, v10
	;;#ASMSTART
	v_pk_mul_f32 v[8:9], v[8:9], v[10:11]
	;;#ASMEND
	;;#ASMSTART
	v_pk_mul_f32 v[6:7], v[6:7], v[10:11]
	;;#ASMEND
	s_lshr_b32 s3, s3, 30
	v_cvt_i32_f32_e32 v0, v8
	v_cvt_i32_f32_sdwa v8, v9 dst_sel:BYTE_1 dst_unused:UNUSED_PAD src0_sel:DWORD
	v_cvt_i32_f32_e32 v6, v6
	v_cvt_i32_f32_sdwa v7, v7 dst_sel:BYTE_1 dst_unused:UNUSED_PAD src0_sel:DWORD
	;;#ASMSTART
	v_pk_mul_f32 v[4:5], v[4:5], v[10:11]
	;;#ASMEND
	;;#ASMSTART
	v_pk_mul_f32 v[2:3], v[2:3], v[10:11]
	;;#ASMEND
	s_add_i32 s2, s2, s3
	s_ashr_i32 s3, s10, 31
	v_cvt_i32_f32_e32 v4, v4
	v_cvt_i32_f32_sdwa v5, v5 dst_sel:BYTE_1 dst_unused:UNUSED_PAD src0_sel:DWORD
	v_cvt_i32_f32_e32 v9, v2
	v_cvt_i32_f32_sdwa v3, v3 dst_sel:BYTE_1 dst_unused:UNUSED_PAD src0_sel:DWORD
	s_mul_hi_u32 s4, s10, s6
	s_mul_i32 s3, s3, s6
	s_and_b32 s2, s2, -4
	s_add_i32 s4, s4, s3
	s_mul_i32 s3, s10, s6
	s_waitcnt lgkmcnt(0)
	s_add_u32 s0, s0, s3
	v_or_b32_sdwa v0, v0, v8 dst_sel:DWORD dst_unused:UNUSED_PAD src0_sel:BYTE_0 src1_sel:DWORD
	v_or_b32_sdwa v2, v6, v7 dst_sel:WORD_1 dst_unused:UNUSED_PAD src0_sel:BYTE_0 src1_sel:DWORD
	s_addc_u32 s1, s1, s4
	v_or_b32_sdwa v2, v0, v2 dst_sel:DWORD dst_unused:UNUSED_PAD src0_sel:WORD_0 src1_sel:DWORD
	v_or_b32_sdwa v0, v4, v5 dst_sel:DWORD dst_unused:UNUSED_PAD src0_sel:BYTE_0 src1_sel:DWORD
	v_or_b32_sdwa v3, v9, v3 dst_sel:WORD_1 dst_unused:UNUSED_PAD src0_sel:BYTE_0 src1_sel:DWORD
	s_and_b32 s1, s1, 0xffff
	s_mov_b32 s3, 0x20000
	v_or_b32_sdwa v3, v0, v3 dst_sel:DWORD dst_unused:UNUSED_PAD src0_sel:WORD_0 src1_sel:DWORD
	buffer_store_dwordx2 v[2:3], v1, s[0:3], 0 offen
	;;#ASMSTART
	s_nop 0
	;;#ASMEND
.LBB92_45:
	s_endpgm
.LBB92_46:
                                        ; implicit-def: $vgpr10_vgpr11
	s_branch .LBB92_35
	.section	.rodata,"a",@progbits
	.p2align	6, 0x0
	.amdhsa_kernel _ZN5aiter24add_rmsnorm_quant_kernelItaLi64ELi8ELb0ELb1ELb0ELi1EEEvPT0_PT_PfS4_S4_S4_diiiiiiib
		.amdhsa_group_segment_fixed_size 0
		.amdhsa_private_segment_fixed_size 0
		.amdhsa_kernarg_size 88
		.amdhsa_user_sgpr_count 6
		.amdhsa_user_sgpr_private_segment_buffer 1
		.amdhsa_user_sgpr_dispatch_ptr 0
		.amdhsa_user_sgpr_queue_ptr 0
		.amdhsa_user_sgpr_kernarg_segment_ptr 1
		.amdhsa_user_sgpr_dispatch_id 0
		.amdhsa_user_sgpr_flat_scratch_init 0
		.amdhsa_user_sgpr_kernarg_preload_length 0
		.amdhsa_user_sgpr_kernarg_preload_offset 0
		.amdhsa_user_sgpr_private_segment_size 0
		.amdhsa_uses_dynamic_stack 0
		.amdhsa_system_sgpr_private_segment_wavefront_offset 0
		.amdhsa_system_sgpr_workgroup_id_x 1
		.amdhsa_system_sgpr_workgroup_id_y 0
		.amdhsa_system_sgpr_workgroup_id_z 0
		.amdhsa_system_sgpr_workgroup_info 0
		.amdhsa_system_vgpr_workitem_id 0
		.amdhsa_next_free_vgpr 28
		.amdhsa_next_free_sgpr 31
		.amdhsa_accum_offset 28
		.amdhsa_reserve_vcc 1
		.amdhsa_reserve_flat_scratch 0
		.amdhsa_float_round_mode_32 0
		.amdhsa_float_round_mode_16_64 0
		.amdhsa_float_denorm_mode_32 3
		.amdhsa_float_denorm_mode_16_64 3
		.amdhsa_dx10_clamp 1
		.amdhsa_ieee_mode 1
		.amdhsa_fp16_overflow 0
		.amdhsa_tg_split 0
		.amdhsa_exception_fp_ieee_invalid_op 0
		.amdhsa_exception_fp_denorm_src 0
		.amdhsa_exception_fp_ieee_div_zero 0
		.amdhsa_exception_fp_ieee_overflow 0
		.amdhsa_exception_fp_ieee_underflow 0
		.amdhsa_exception_fp_ieee_inexact 0
		.amdhsa_exception_int_div_zero 0
	.end_amdhsa_kernel
	.section	.text._ZN5aiter24add_rmsnorm_quant_kernelItaLi64ELi8ELb0ELb1ELb0ELi1EEEvPT0_PT_PfS4_S4_S4_diiiiiiib,"axG",@progbits,_ZN5aiter24add_rmsnorm_quant_kernelItaLi64ELi8ELb0ELb1ELb0ELi1EEEvPT0_PT_PfS4_S4_S4_diiiiiiib,comdat
.Lfunc_end92:
	.size	_ZN5aiter24add_rmsnorm_quant_kernelItaLi64ELi8ELb0ELb1ELb0ELi1EEEvPT0_PT_PfS4_S4_S4_diiiiiiib, .Lfunc_end92-_ZN5aiter24add_rmsnorm_quant_kernelItaLi64ELi8ELb0ELb1ELb0ELi1EEEvPT0_PT_PfS4_S4_S4_diiiiiiib
                                        ; -- End function
	.section	.AMDGPU.csdata,"",@progbits
; Kernel info:
; codeLenInByte = 2904
; NumSgprs: 35
; NumVgprs: 28
; NumAgprs: 0
; TotalNumVgprs: 28
; ScratchSize: 0
; MemoryBound: 0
; FloatMode: 240
; IeeeMode: 1
; LDSByteSize: 0 bytes/workgroup (compile time only)
; SGPRBlocks: 4
; VGPRBlocks: 3
; NumSGPRsForWavesPerEU: 35
; NumVGPRsForWavesPerEU: 28
; AccumOffset: 28
; Occupancy: 8
; WaveLimiterHint : 0
; COMPUTE_PGM_RSRC2:SCRATCH_EN: 0
; COMPUTE_PGM_RSRC2:USER_SGPR: 6
; COMPUTE_PGM_RSRC2:TRAP_HANDLER: 0
; COMPUTE_PGM_RSRC2:TGID_X_EN: 1
; COMPUTE_PGM_RSRC2:TGID_Y_EN: 0
; COMPUTE_PGM_RSRC2:TGID_Z_EN: 0
; COMPUTE_PGM_RSRC2:TIDIG_COMP_CNT: 0
; COMPUTE_PGM_RSRC3_GFX90A:ACCUM_OFFSET: 6
; COMPUTE_PGM_RSRC3_GFX90A:TG_SPLIT: 0
	.section	.text._ZN5aiter24add_rmsnorm_quant_kernelIDF16_aLi128ELi8ELb0ELb1ELb1ELi1EEEvPT0_PT_PfS4_S4_S4_diiiiiiib,"axG",@progbits,_ZN5aiter24add_rmsnorm_quant_kernelIDF16_aLi128ELi8ELb0ELb1ELb1ELi1EEEvPT0_PT_PfS4_S4_S4_diiiiiiib,comdat
	.protected	_ZN5aiter24add_rmsnorm_quant_kernelIDF16_aLi128ELi8ELb0ELb1ELb1ELi1EEEvPT0_PT_PfS4_S4_S4_diiiiiiib ; -- Begin function _ZN5aiter24add_rmsnorm_quant_kernelIDF16_aLi128ELi8ELb0ELb1ELb1ELi1EEEvPT0_PT_PfS4_S4_S4_diiiiiiib
	.globl	_ZN5aiter24add_rmsnorm_quant_kernelIDF16_aLi128ELi8ELb0ELb1ELb1ELi1EEEvPT0_PT_PfS4_S4_S4_diiiiiiib
	.p2align	8
	.type	_ZN5aiter24add_rmsnorm_quant_kernelIDF16_aLi128ELi8ELb0ELb1ELb1ELi1EEEvPT0_PT_PfS4_S4_S4_diiiiiiib,@function
_ZN5aiter24add_rmsnorm_quant_kernelIDF16_aLi128ELi8ELb0ELb1ELb1ELi1EEEvPT0_PT_PfS4_S4_S4_diiiiiiib: ; @_ZN5aiter24add_rmsnorm_quant_kernelIDF16_aLi128ELi8ELb0ELb1ELb1ELi1EEEvPT0_PT_PfS4_S4_S4_diiiiiiib
; %bb.0:
	s_load_dwordx4 s[8:11], s[4:5], 0x38
	s_mov_b32 s7, 0
	s_waitcnt lgkmcnt(0)
	s_ashr_i32 s0, s8, 31
	v_mov_b32_e32 v2, s8
	v_mov_b32_e32 v3, s0
	v_cmp_ge_i64_e32 vcc, s[6:7], v[2:3]
	s_cbranch_vccnz .LBB93_49
; %bb.1:
	s_load_dwordx4 s[12:15], s[4:5], 0x10
	s_load_dwordx4 s[0:3], s[4:5], 0x28
	s_ashr_i32 s11, s10, 31
	s_mul_hi_u32 s16, s10, s6
	s_mul_i32 s11, s11, s6
	s_add_i32 s11, s16, s11
	s_mul_i32 s10, s10, s6
	s_lshl_b64 s[10:11], s[10:11], 1
	s_waitcnt lgkmcnt(0)
	s_add_u32 s16, s14, s10
	s_addc_u32 s10, s15, s11
	s_add_i32 s11, s9, 1
	s_lshr_b32 s14, s11, 31
	s_add_i32 s11, s11, s14
	s_lshl_b32 s11, s11, 1
	s_and_b32 s18, s11, -4
	s_and_b32 s17, s10, 0xffff
	s_mov_b32 s19, 0x20000
	v_lshlrev_b32_e32 v1, 4, v0
	buffer_load_dwordx4 v[14:17], v1, s[16:19], 0 offen glc slc
	s_mov_b32 s16, s0
	s_and_b32 s17, s1, 0xffff
	buffer_load_dwordx4 v[2:5], v1, s[16:19], 0 offen
	v_and_b32_e32 v22, 63, v0
	v_cmp_eq_u32_e64 s[0:1], 63, v22
	s_waitcnt vmcnt(1)
	v_cvt_f32_f16_e32 v12, v14
	v_cvt_f32_f16_sdwa v13, v14 dst_sel:DWORD dst_unused:UNUSED_PAD src0_sel:WORD_1
	v_cvt_f32_f16_e32 v10, v15
	v_cvt_f32_f16_sdwa v11, v15 dst_sel:DWORD dst_unused:UNUSED_PAD src0_sel:WORD_1
	;; [unrolled: 2-line block ×3, first 2 shown]
	v_pk_mul_f32 v[14:15], v[12:13], v[12:13]
	v_cvt_f32_f16_e32 v6, v17
	v_cvt_f32_f16_sdwa v7, v17 dst_sel:DWORD dst_unused:UNUSED_PAD src0_sel:WORD_1
	v_pk_mul_f32 v[16:17], v[10:11], v[10:11]
	v_add_f32_e32 v1, v14, v15
	v_add_f32_e32 v1, v16, v1
	v_pk_mul_f32 v[18:19], v[8:9], v[8:9]
	v_add_f32_e32 v1, v17, v1
	v_add_f32_e32 v1, v18, v1
	;; [unrolled: 3-line block ×3, first 2 shown]
	v_add_f32_e32 v1, v21, v1
	s_nop 1
	v_mov_b32_dpp v14, v1 quad_perm:[1,0,3,2] row_mask:0xf bank_mask:0xf
	v_add_f32_e32 v1, v1, v14
	s_nop 1
	v_mov_b32_dpp v14, v1 quad_perm:[2,3,0,1] row_mask:0xf bank_mask:0xf
	v_add_f32_e32 v1, v1, v14
	s_nop 1
	v_mov_b32_dpp v14, v1 row_half_mirror row_mask:0xf bank_mask:0xf
	v_add_f32_e32 v1, v1, v14
	s_nop 1
	v_mov_b32_dpp v14, v1 row_mirror row_mask:0xf bank_mask:0xf
	v_add_f32_e32 v1, v1, v14
	s_nop 1
	v_mov_b32_dpp v14, v1 row_bcast:15 row_mask:0xf bank_mask:0xf
	v_add_f32_e32 v1, v1, v14
	s_nop 1
	v_mov_b32_dpp v14, v1 row_bcast:31 row_mask:0xf bank_mask:0xf
	s_and_saveexec_b64 s[10:11], s[0:1]
	s_cbranch_execz .LBB93_3
; %bb.2:
	v_lshrrev_b32_e32 v15, 4, v0
	v_and_b32_e32 v15, 60, v15
	v_add_f32_e32 v1, v1, v14
	ds_write_b32 v15, v1 offset:8
.LBB93_3:
	s_or_b64 exec, exec, s[10:11]
	v_and_b32_e32 v1, 1, v0
	v_lshlrev_b32_e32 v14, 2, v1
	s_waitcnt lgkmcnt(0)
	s_barrier
	ds_read_b32 v1, v14 offset:8
	v_cvt_f32_i32_e32 v15, s9
	s_waitcnt vmcnt(0)
	v_cvt_f32_f16_sdwa v21, v3 dst_sel:DWORD dst_unused:UNUSED_PAD src0_sel:WORD_1
	v_cvt_f32_f16_sdwa v23, v5 dst_sel:DWORD dst_unused:UNUSED_PAD src0_sel:WORD_1
	v_cvt_f32_f16_e32 v22, v5
	s_waitcnt lgkmcnt(0)
	v_mov_b32_dpp v16, v1 quad_perm:[1,0,3,2] row_mask:0xf bank_mask:0xf
	v_add_f32_e32 v1, v1, v16
	v_div_scale_f32 v16, s[10:11], v15, v15, v1
	v_rcp_f32_e32 v17, v16
	v_div_scale_f32 v18, vcc, v1, v15, v1
	s_load_dwordx2 s[10:11], s[4:5], 0x4c
	s_load_dword s14, s[4:5], 0x54
	v_fma_f32 v19, -v16, v17, 1.0
	v_fmac_f32_e32 v17, v19, v17
	v_mul_f32_e32 v19, v18, v17
	v_fma_f32 v20, -v16, v19, v18
	v_fmac_f32_e32 v19, v20, v17
	v_fma_f32 v16, -v16, v19, v18
	v_div_fmas_f32 v16, v16, v17, v19
	v_div_fixup_f32 v1, v16, v15, v1
	v_cvt_f64_f32_e32 v[16:17], v1
	v_add_f64 v[16:17], v[16:17], s[2:3]
	v_cvt_f32_f64_e32 v1, v[16:17]
	s_mov_b32 s2, 0x800000
	v_mul_f32_e32 v15, 0x4b800000, v1
	v_cmp_gt_f32_e32 vcc, s2, v1
	v_cndmask_b32_e32 v1, v1, v15, vcc
	v_rsq_f32_e32 v15, v1
	v_cvt_f32_f16_e32 v20, v3
	v_cvt_f32_f16_sdwa v3, v4 dst_sel:DWORD dst_unused:UNUSED_PAD src0_sel:WORD_1
	v_lshlrev_b32_e32 v1, 3, v0
	v_mul_f32_e32 v16, 0x45800000, v15
	v_cndmask_b32_e32 v16, v15, v16, vcc
	v_mov_b32_e32 v17, v16
	;;#ASMSTART
	v_pk_mul_f32 v[12:13], v[12:13], v[16:17]
	;;#ASMEND
	;;#ASMSTART
	v_pk_mul_f32 v[10:11], v[10:11], v[16:17]
	;;#ASMEND
	;; [unrolled: 3-line block ×4, first 2 shown]
	v_cvt_f32_f16_sdwa v7, v2 dst_sel:DWORD dst_unused:UNUSED_PAD src0_sel:WORD_1
	v_cvt_f32_f16_e32 v6, v2
	v_cvt_f32_f16_e32 v2, v4
	;;#ASMSTART
	v_pk_mul_f32 v[8:9], v[12:13], v[6:7]
	;;#ASMEND
	;;#ASMSTART
	v_pk_mul_f32 v[6:7], v[10:11], v[20:21]
	;;#ASMEND
	v_and_b32_e32 v10, 0x7fffffff, v8
	v_mov_b32_e32 v12, 0x2edbe6ff
	;;#ASMSTART
	v_pk_mul_f32 v[4:5], v[18:19], v[2:3]
	;;#ASMEND
	;;#ASMSTART
	v_pk_mul_f32 v[2:3], v[16:17], v[22:23]
	;;#ASMEND
	v_and_b32_e32 v11, 0x7fffffff, v9
	;;#ASMSTART
	v_max3_f32 v10, v12, v10, v11

	;;#ASMEND
	v_and_b32_e32 v12, 0x7fffffff, v7
	v_and_b32_e32 v11, 0x7fffffff, v6
	;;#ASMSTART
	v_max3_f32 v10, v10, v11, v12

	;;#ASMEND
	v_and_b32_e32 v12, 0x7fffffff, v5
	;; [unrolled: 6-line block ×3, first 2 shown]
	s_waitcnt lgkmcnt(0)
	s_cmp_lg_u32 s11, 0
	v_and_b32_e32 v11, 0x7fffffff, v2
	;;#ASMSTART
	v_max3_f32 v12, v10, v11, v12

	;;#ASMEND
	s_cbranch_scc0 .LBB93_10
; %bb.4:
	s_ashr_i32 s15, s11, 31
	s_lshr_b32 s2, s15, 29
	s_add_i32 s2, s11, s2
	s_ashr_i32 s18, s2, 3
	s_cmp_lt_i32 s18, 16
	s_cbranch_scc1 .LBB93_11
; %bb.5:
	s_cmp_lt_i32 s18, 32
	s_cbranch_scc1 .LBB93_12
; %bb.6:
	;; [unrolled: 3-line block ×3, first 2 shown]
	s_cmp_eq_u32 s18, 64
	v_mov_b32_e32 v10, v12
	s_cbranch_scc0 .LBB93_9
; %bb.8:
	s_nop 0
	v_mov_b32_dpp v10, v12 quad_perm:[1,0,3,2] row_mask:0xf bank_mask:0xf
	v_cmp_gt_f32_e32 vcc, v12, v10
	v_cndmask_b32_e32 v10, v10, v12, vcc
	v_bfrev_b32_e32 v13, 0.5
	s_nop 0
	v_mov_b32_dpp v11, v10 quad_perm:[2,3,0,1] row_mask:0xf bank_mask:0xf
	v_cmp_gt_f32_e32 vcc, v10, v11
	v_cndmask_b32_e32 v10, v11, v10, vcc
	s_nop 1
	v_mov_b32_dpp v11, v10 row_ror:4 row_mask:0xf bank_mask:0xf
	v_cmp_gt_f32_e32 vcc, v10, v11
	v_cndmask_b32_e32 v10, v11, v10, vcc
	s_nop 1
	v_mov_b32_dpp v11, v10 row_ror:8 row_mask:0xf bank_mask:0xf
	v_cmp_gt_f32_e32 vcc, v10, v11
	v_cndmask_b32_e32 v10, v11, v10, vcc
	s_nop 1
	v_mov_b32_dpp v11, v10 row_bcast:15 row_mask:0xf bank_mask:0xf
	v_cmp_gt_f32_e32 vcc, v10, v11
	v_cndmask_b32_e32 v10, v11, v10, vcc
	s_nop 1
	v_mov_b32_dpp v11, v10 row_bcast:31 row_mask:0xf bank_mask:0xf
	v_cmp_gt_f32_e32 vcc, v10, v11
	v_cndmask_b32_e32 v10, v11, v10, vcc
	v_mbcnt_lo_u32_b32 v11, -1, 0
	v_mbcnt_hi_u32_b32 v11, -1, v11
	v_lshl_or_b32 v11, v11, 2, v13
	ds_bpermute_b32 v10, v11, v10
.LBB93_9:
	s_mov_b64 s[2:3], 0
	s_branch .LBB93_14
.LBB93_10:
	s_mov_b64 s[2:3], 0
                                        ; implicit-def: $vgpr13
                                        ; implicit-def: $vgpr10_vgpr11
	s_cbranch_execnz .LBB93_43
	s_branch .LBB93_46
.LBB93_11:
                                        ; implicit-def: $vgpr10
	s_branch .LBB93_21
.LBB93_12:
                                        ; implicit-def: $vgpr10
	s_branch .LBB93_18
.LBB93_13:
	s_mov_b64 s[2:3], -1
                                        ; implicit-def: $vgpr10
.LBB93_14:
	s_andn2_b64 vcc, exec, s[2:3]
	s_cbranch_vccnz .LBB93_17
; %bb.15:
	s_cmp_eq_u32 s18, 32
	s_waitcnt lgkmcnt(0)
	v_mov_b32_e32 v10, v12
	s_cbranch_scc0 .LBB93_17
; %bb.16:
	s_nop 0
	v_mov_b32_dpp v10, v12 quad_perm:[1,0,3,2] row_mask:0xf bank_mask:0xf
	v_cmp_gt_f32_e32 vcc, v12, v10
	v_cndmask_b32_e32 v10, v10, v12, vcc
	v_mov_b32_e32 v13, 0x7c
	s_nop 0
	v_mov_b32_dpp v11, v10 quad_perm:[2,3,0,1] row_mask:0xf bank_mask:0xf
	v_cmp_gt_f32_e32 vcc, v10, v11
	v_cndmask_b32_e32 v10, v11, v10, vcc
	s_nop 1
	v_mov_b32_dpp v11, v10 row_half_mirror row_mask:0xf bank_mask:0xf
	v_cmp_gt_f32_e32 vcc, v10, v11
	v_cndmask_b32_e32 v10, v11, v10, vcc
	s_nop 1
	v_mov_b32_dpp v11, v10 row_mirror row_mask:0xf bank_mask:0xf
	v_cmp_gt_f32_e32 vcc, v10, v11
	v_cndmask_b32_e32 v10, v11, v10, vcc
	s_nop 1
	v_mov_b32_dpp v11, v10 row_bcast:15 row_mask:0xa bank_mask:0xf
	v_cmp_gt_f32_e32 vcc, v10, v11
	v_cndmask_b32_e32 v10, v11, v10, vcc
	v_mbcnt_lo_u32_b32 v11, -1, 0
	v_mbcnt_hi_u32_b32 v11, -1, v11
	v_lshl_or_b32 v11, v11, 2, v13
	ds_bpermute_b32 v10, v11, v10
.LBB93_17:
	s_cbranch_execnz .LBB93_20
.LBB93_18:
	s_cmp_eq_u32 s18, 16
	s_waitcnt lgkmcnt(0)
	v_mov_b32_e32 v10, v12
	s_cbranch_scc0 .LBB93_20
; %bb.19:
	s_nop 0
	v_mov_b32_dpp v10, v12 quad_perm:[1,0,3,2] row_mask:0xf bank_mask:0xf
	v_cmp_gt_f32_e32 vcc, v12, v10
	v_cndmask_b32_e32 v10, v10, v12, vcc
	s_nop 1
	v_mov_b32_dpp v11, v10 quad_perm:[2,3,0,1] row_mask:0xf bank_mask:0xf
	v_cmp_gt_f32_e32 vcc, v10, v11
	v_cndmask_b32_e32 v10, v11, v10, vcc
	s_nop 1
	v_mov_b32_dpp v11, v10 row_half_mirror row_mask:0xf bank_mask:0xf
	v_cmp_gt_f32_e32 vcc, v10, v11
	v_cndmask_b32_e32 v10, v11, v10, vcc
	s_nop 1
	v_mov_b32_dpp v11, v10 row_mirror row_mask:0xf bank_mask:0xf
	v_cmp_gt_f32_e32 vcc, v10, v11
	v_cndmask_b32_e32 v10, v11, v10, vcc
.LBB93_20:
	s_cbranch_execnz .LBB93_33
.LBB93_21:
	s_cmp_lt_i32 s18, 4
	s_cbranch_scc1 .LBB93_25
; %bb.22:
	s_cmp_lt_i32 s18, 8
	s_cbranch_scc1 .LBB93_26
; %bb.23:
	s_cmp_eq_u32 s18, 8
	s_waitcnt lgkmcnt(0)
	v_mov_b32_e32 v10, v12
	s_cbranch_scc0 .LBB93_27
; %bb.24:
	s_nop 0
	v_mov_b32_dpp v10, v12 quad_perm:[1,0,3,2] row_mask:0xf bank_mask:0xf
	v_cmp_gt_f32_e32 vcc, v12, v10
	v_cndmask_b32_e32 v10, v10, v12, vcc
	s_nop 1
	v_mov_b32_dpp v11, v10 quad_perm:[2,3,0,1] row_mask:0xf bank_mask:0xf
	v_cmp_gt_f32_e32 vcc, v10, v11
	v_cndmask_b32_e32 v10, v11, v10, vcc
	s_nop 1
	v_mov_b32_dpp v11, v10 row_half_mirror row_mask:0xf bank_mask:0xf
	v_cmp_gt_f32_e32 vcc, v10, v11
	v_cndmask_b32_e32 v10, v11, v10, vcc
	s_cbranch_execz .LBB93_28
	s_branch .LBB93_30
.LBB93_25:
                                        ; implicit-def: $vgpr10
	s_branch .LBB93_31
.LBB93_26:
                                        ; implicit-def: $vgpr10
	s_branch .LBB93_28
.LBB93_27:
	s_cbranch_execnz .LBB93_30
.LBB93_28:
	s_cmp_eq_u32 s18, 4
	s_waitcnt lgkmcnt(0)
	v_mov_b32_e32 v10, v12
	s_cbranch_scc0 .LBB93_30
; %bb.29:
	s_nop 0
	v_mov_b32_dpp v10, v12 quad_perm:[1,0,3,2] row_mask:0xf bank_mask:0xf
	v_cmp_gt_f32_e32 vcc, v12, v10
	v_cndmask_b32_e32 v10, v10, v12, vcc
	s_nop 1
	v_mov_b32_dpp v11, v10 quad_perm:[2,3,0,1] row_mask:0xf bank_mask:0xf
	v_cmp_gt_f32_e32 vcc, v10, v11
	v_cndmask_b32_e32 v10, v11, v10, vcc
.LBB93_30:
	s_cbranch_execnz .LBB93_33
.LBB93_31:
	s_cmp_lg_u32 s18, 2
	s_waitcnt lgkmcnt(0)
	v_mov_b32_e32 v10, v12
	s_cbranch_scc1 .LBB93_33
; %bb.32:
	s_nop 0
	v_mov_b32_dpp v10, v12 quad_perm:[1,0,3,2] row_mask:0xf bank_mask:0xf
	v_cmp_gt_f32_e32 vcc, v12, v10
	v_cndmask_b32_e32 v10, v10, v12, vcc
.LBB93_33:
	v_cvt_f32_u32_e32 v11, s18
	s_waitcnt lgkmcnt(0)
	v_mul_f32_e32 v13, 0x3c010204, v10
	s_sub_i32 s2, 0, s18
	v_cmp_gt_u32_e32 vcc, s9, v1
	v_rcp_iflag_f32_e32 v11, v11
	s_mov_b64 s[16:17], 0
	v_mul_f32_e32 v10, 0x4f7ffffe, v11
	v_cvt_u32_f32_e32 v10, v10
	v_mul_lo_u32 v11, s2, v10
	v_mul_hi_u32 v11, v10, v11
	v_add_u32_e32 v10, v10, v11
	v_mul_hi_u32 v10, v0, v10
	v_mul_lo_u32 v11, v10, s18
	v_sub_u32_e32 v11, v0, v11
	v_add_u32_e32 v15, 1, v10
	v_cmp_le_u32_e64 s[2:3], s18, v11
	v_cndmask_b32_e64 v10, v10, v15, s[2:3]
	v_subrev_u32_e32 v15, s18, v11
	v_cndmask_b32_e64 v11, v11, v15, s[2:3]
	v_add_u32_e32 v15, 1, v10
	v_cmp_le_u32_e64 s[2:3], s18, v11
	v_cndmask_b32_e64 v15, v10, v15, s[2:3]
	v_mul_lo_u32 v10, v15, s18
	v_sub_u32_e32 v10, v0, v10
	v_cmp_eq_u32_e64 s[2:3], 0, v10
	s_and_b64 s[18:19], s[2:3], vcc
	s_mov_b64 s[2:3], 0
                                        ; implicit-def: $vgpr10_vgpr11
	s_and_saveexec_b64 s[20:21], s[18:19]
	s_xor_b64 s[18:19], exec, s[20:21]
	s_cbranch_execz .LBB93_42
; %bb.34:
	s_bitcmp0_b32 s14, 0
	s_cbranch_scc0 .LBB93_39
; %bb.35:
	s_ashr_i32 s2, s9, 31
	s_mul_hi_u32 s3, s9, s6
	s_mul_i32 s2, s2, s6
	s_add_i32 s21, s3, s2
	s_mul_i32 s20, s9, s6
	s_mov_b32 s14, s11
	s_or_b64 s[2:3], s[20:21], s[14:15]
	s_mov_b32 s2, 0
	s_cmp_lg_u64 s[2:3], 0
	s_cbranch_scc0 .LBB93_50
; %bb.36:
	s_add_u32 s2, s14, s15
	s_mov_b32 s24, s15
	s_mov_b32 s25, s15
	s_addc_u32 s3, s15, s15
	s_xor_b64 s[26:27], s[2:3], s[24:25]
	v_cvt_f32_u32_e32 v10, s26
	v_cvt_f32_u32_e32 v11, s27
	s_sub_u32 s2, 0, s26
	s_subb_u32 s3, 0, s27
	v_madmk_f32 v10, v11, 0x4f800000, v10
	v_rcp_f32_e32 v10, v10
	v_mul_f32_e32 v10, 0x5f7ffffc, v10
	v_mul_f32_e32 v11, 0x2f800000, v10
	v_trunc_f32_e32 v11, v11
	v_madmk_f32 v10, v11, 0xcf800000, v10
	v_cvt_u32_f32_e32 v11, v11
	v_cvt_u32_f32_e32 v10, v10
	v_readfirstlane_b32 s11, v11
	v_readfirstlane_b32 s15, v10
	s_mul_i32 s28, s2, s11
	s_mul_hi_u32 s30, s2, s15
	s_mul_i32 s29, s3, s15
	s_add_i32 s28, s30, s28
	s_add_i32 s28, s28, s29
	s_mul_i32 s31, s2, s15
	s_mul_hi_u32 s29, s15, s28
	s_mul_i32 s30, s15, s28
	s_mul_hi_u32 s15, s15, s31
	s_add_u32 s15, s15, s30
	s_addc_u32 s29, 0, s29
	s_mul_hi_u32 s33, s11, s31
	s_mul_i32 s31, s11, s31
	s_add_u32 s15, s15, s31
	s_mul_hi_u32 s30, s11, s28
	s_addc_u32 s15, s29, s33
	s_addc_u32 s29, s30, 0
	s_mul_i32 s28, s11, s28
	s_add_u32 s15, s15, s28
	s_addc_u32 s28, 0, s29
	v_add_co_u32_e32 v10, vcc, s15, v10
	s_cmp_lg_u64 vcc, 0
	s_addc_u32 s11, s11, s28
	v_readfirstlane_b32 s28, v10
	s_mul_i32 s15, s2, s11
	s_mul_hi_u32 s29, s2, s28
	s_add_i32 s15, s29, s15
	s_mul_i32 s3, s3, s28
	s_add_i32 s15, s15, s3
	s_mul_i32 s2, s2, s28
	s_mul_hi_u32 s29, s11, s2
	s_mul_i32 s30, s11, s2
	s_mul_i32 s33, s28, s15
	s_mul_hi_u32 s2, s28, s2
	s_mul_hi_u32 s31, s28, s15
	s_add_u32 s2, s2, s33
	s_addc_u32 s28, 0, s31
	s_add_u32 s2, s2, s30
	s_mul_hi_u32 s3, s11, s15
	s_addc_u32 s2, s28, s29
	s_addc_u32 s3, s3, 0
	s_mul_i32 s15, s11, s15
	s_add_u32 s2, s2, s15
	s_addc_u32 s3, 0, s3
	v_add_co_u32_e32 v10, vcc, s2, v10
	s_cmp_lg_u64 vcc, 0
	s_addc_u32 s11, s11, s3
	s_ashr_i32 s28, s21, 31
	s_add_u32 s2, s20, s28
	s_mov_b32 s29, s28
	s_addc_u32 s3, s21, s28
	s_xor_b64 s[30:31], s[2:3], s[28:29]
	v_readfirstlane_b32 s15, v10
	s_mul_i32 s3, s30, s11
	s_mul_hi_u32 s21, s30, s15
	s_mul_hi_u32 s2, s30, s11
	s_add_u32 s3, s21, s3
	s_addc_u32 s2, 0, s2
	s_mul_hi_u32 s33, s31, s15
	s_mul_i32 s15, s31, s15
	s_add_u32 s3, s3, s15
	s_mul_hi_u32 s21, s31, s11
	s_addc_u32 s2, s2, s33
	s_addc_u32 s3, s21, 0
	s_mul_i32 s11, s31, s11
	s_add_u32 s11, s2, s11
	s_addc_u32 s15, 0, s3
	s_mul_i32 s2, s26, s15
	s_mul_hi_u32 s3, s26, s11
	s_add_i32 s2, s3, s2
	s_mul_i32 s3, s27, s11
	s_add_i32 s21, s2, s3
	s_mul_i32 s3, s26, s11
	v_mov_b32_e32 v10, s3
	s_sub_i32 s2, s31, s21
	v_sub_co_u32_e32 v10, vcc, s30, v10
	s_cmp_lg_u64 vcc, 0
	s_subb_u32 s30, s2, s27
	v_subrev_co_u32_e64 v11, s[2:3], s26, v10
	s_cmp_lg_u64 s[2:3], 0
	s_subb_u32 s30, s30, 0
	s_cmp_ge_u32 s30, s27
	s_cselect_b32 s33, -1, 0
	v_cmp_le_u32_e64 s[2:3], s26, v11
	s_cmp_eq_u32 s30, s27
	v_cndmask_b32_e64 v11, 0, -1, s[2:3]
	v_mov_b32_e32 v16, s33
	s_cselect_b64 s[2:3], -1, 0
	v_cndmask_b32_e64 v11, v16, v11, s[2:3]
	s_add_u32 s2, s11, 1
	s_addc_u32 s30, s15, 0
	s_add_u32 s3, s11, 2
	s_addc_u32 s33, s15, 0
	v_mov_b32_e32 v16, s2
	v_mov_b32_e32 v17, s3
	v_cmp_ne_u32_e64 s[2:3], 0, v11
	v_cndmask_b32_e64 v11, v16, v17, s[2:3]
	v_mov_b32_e32 v16, s30
	v_mov_b32_e32 v17, s33
	s_cmp_lg_u64 vcc, 0
	v_cndmask_b32_e64 v16, v16, v17, s[2:3]
	s_subb_u32 s2, s31, s21
	s_cmp_ge_u32 s2, s27
	s_cselect_b32 s3, -1, 0
	v_cmp_le_u32_e32 vcc, s26, v10
	s_cmp_eq_u32 s2, s27
	v_cndmask_b32_e64 v10, 0, -1, vcc
	v_mov_b32_e32 v17, s3
	s_cselect_b64 vcc, -1, 0
	v_cndmask_b32_e32 v10, v17, v10, vcc
	v_mov_b32_e32 v17, s15
	v_cmp_ne_u32_e32 vcc, 0, v10
	v_cndmask_b32_e32 v10, v17, v16, vcc
	v_mov_b32_e32 v16, s11
	v_cndmask_b32_e32 v11, v16, v11, vcc
	s_xor_b64 s[2:3], s[28:29], s[24:25]
	v_xor_b32_e32 v11, s2, v11
	v_xor_b32_e32 v16, s3, v10
	v_mov_b32_e32 v17, s3
	v_subrev_co_u32_e32 v10, vcc, s2, v11
	v_subb_co_u32_e32 v11, vcc, v16, v17, vcc
	s_cbranch_execnz .LBB93_38
.LBB93_37:
	v_cvt_f32_u32_e32 v10, s14
	s_sub_i32 s2, 0, s14
	s_mov_b32 s3, 0
	v_rcp_iflag_f32_e32 v10, v10
	v_mul_f32_e32 v10, 0x4f7ffffe, v10
	v_cvt_u32_f32_e32 v10, v10
	v_readfirstlane_b32 s11, v10
	s_mul_i32 s2, s2, s11
	s_mul_hi_u32 s2, s11, s2
	s_add_i32 s11, s11, s2
	s_mul_hi_u32 s2, s20, s11
	s_mul_i32 s15, s2, s14
	s_sub_i32 s15, s20, s15
	s_add_i32 s11, s2, 1
	s_sub_i32 s20, s15, s14
	s_cmp_ge_u32 s15, s14
	s_cselect_b32 s2, s11, s2
	s_cselect_b32 s15, s20, s15
	s_add_i32 s11, s2, 1
	s_cmp_ge_u32 s15, s14
	s_cselect_b32 s2, s11, s2
	v_pk_mov_b32 v[10:11], s[2:3], s[2:3] op_sel:[0,1]
.LBB93_38:
	v_add_co_u32_e32 v10, vcc, v10, v15
	v_addc_co_u32_e32 v11, vcc, 0, v11, vcc
	s_branch .LBB93_41
.LBB93_39:
                                        ; implicit-def: $vgpr10_vgpr11
	s_cbranch_execz .LBB93_41
; %bb.40:
	v_mul_lo_u32 v10, v15, s8
	v_ashrrev_i32_e32 v11, 31, v10
	v_mov_b32_e32 v15, s7
	v_add_co_u32_e32 v10, vcc, s6, v10
	v_addc_co_u32_e32 v11, vcc, v11, v15, vcc
.LBB93_41:
	s_mov_b64 s[2:3], exec
.LBB93_42:
	s_or_b64 exec, exec, s[18:19]
	s_and_b64 vcc, exec, s[16:17]
	s_cbranch_vccz .LBB93_46
.LBB93_43:
	v_mov_b32_dpp v10, v12 quad_perm:[1,0,3,2] row_mask:0xf bank_mask:0xf
	v_cmp_gt_f32_e32 vcc, v12, v10
	v_cndmask_b32_e32 v10, v10, v12, vcc
	s_nop 1
	v_mov_b32_dpp v11, v10 quad_perm:[2,3,0,1] row_mask:0xf bank_mask:0xf
	v_cmp_gt_f32_e32 vcc, v10, v11
	v_cndmask_b32_e32 v10, v11, v10, vcc
	s_nop 1
	v_mov_b32_dpp v11, v10 row_half_mirror row_mask:0xf bank_mask:0xf
	v_cmp_gt_f32_e32 vcc, v10, v11
	v_cndmask_b32_e32 v10, v11, v10, vcc
	s_nop 1
	v_mov_b32_dpp v11, v10 row_mirror row_mask:0xf bank_mask:0xf
	v_cmp_gt_f32_e32 vcc, v10, v11
	v_cndmask_b32_e32 v10, v11, v10, vcc
	s_nop 1
	v_mov_b32_dpp v11, v10 row_bcast:15 row_mask:0xf bank_mask:0xf
	v_cmp_gt_f32_e32 vcc, v10, v11
	v_cndmask_b32_e32 v10, v11, v10, vcc
	s_nop 1
	v_mov_b32_dpp v11, v10 row_bcast:31 row_mask:0xf bank_mask:0xf
	s_and_saveexec_b64 s[2:3], s[0:1]
	s_cbranch_execz .LBB93_45
; %bb.44:
	v_lshrrev_b32_e32 v12, 4, v0
	v_cmp_gt_f32_e32 vcc, v10, v11
	v_and_b32_e32 v12, 60, v12
	v_cndmask_b32_e32 v10, v11, v10, vcc
	ds_write_b32 v12, v10
.LBB93_45:
	s_or_b64 exec, exec, s[2:3]
	s_waitcnt lgkmcnt(0)
	s_barrier
	ds_read_b32 v10, v14
	v_cmp_eq_u32_e64 s[2:3], 0, v0
	s_waitcnt lgkmcnt(0)
	v_mov_b32_dpp v11, v10 quad_perm:[1,0,3,2] row_mask:0xf bank_mask:0xf
	v_cmp_gt_f32_e32 vcc, v10, v11
	v_cndmask_b32_e32 v10, v11, v10, vcc
	v_mul_f32_e32 v13, 0x3c010204, v10
	v_pk_mov_b32 v[10:11], s[6:7], s[6:7] op_sel:[0,1]
.LBB93_46:
	s_and_saveexec_b64 s[0:1], s[2:3]
	s_cbranch_execz .LBB93_48
; %bb.47:
	v_lshlrev_b64 v[10:11], 2, v[10:11]
	v_mov_b32_e32 v0, s13
	v_add_co_u32_e32 v10, vcc, s12, v10
	v_addc_co_u32_e32 v11, vcc, v0, v11, vcc
	global_store_dword v[10:11], v13, off
.LBB93_48:
	s_or_b64 exec, exec, s[0:1]
	s_add_i32 s2, s9, 3
	s_load_dwordx2 s[0:1], s[4:5], 0x0
	s_ashr_i32 s3, s2, 31
	;;#ASMSTART
	v_rcp_f32 v10, v13
	;;#ASMEND
	v_mov_b32_e32 v11, v10
	;;#ASMSTART
	v_pk_mul_f32 v[8:9], v[8:9], v[10:11]
	;;#ASMEND
	;;#ASMSTART
	v_pk_mul_f32 v[6:7], v[6:7], v[10:11]
	;;#ASMEND
	s_lshr_b32 s3, s3, 30
	v_cvt_i32_f32_e32 v0, v8
	v_cvt_i32_f32_sdwa v8, v9 dst_sel:BYTE_1 dst_unused:UNUSED_PAD src0_sel:DWORD
	v_cvt_i32_f32_e32 v6, v6
	v_cvt_i32_f32_sdwa v7, v7 dst_sel:BYTE_1 dst_unused:UNUSED_PAD src0_sel:DWORD
	;;#ASMSTART
	v_pk_mul_f32 v[4:5], v[4:5], v[10:11]
	;;#ASMEND
	;;#ASMSTART
	v_pk_mul_f32 v[2:3], v[2:3], v[10:11]
	;;#ASMEND
	s_add_i32 s2, s2, s3
	s_ashr_i32 s3, s10, 31
	v_cvt_i32_f32_e32 v4, v4
	v_cvt_i32_f32_sdwa v5, v5 dst_sel:BYTE_1 dst_unused:UNUSED_PAD src0_sel:DWORD
	v_cvt_i32_f32_e32 v9, v2
	v_cvt_i32_f32_sdwa v3, v3 dst_sel:BYTE_1 dst_unused:UNUSED_PAD src0_sel:DWORD
	s_mul_hi_u32 s4, s10, s6
	s_mul_i32 s3, s3, s6
	s_and_b32 s2, s2, -4
	s_add_i32 s4, s4, s3
	s_mul_i32 s3, s10, s6
	s_waitcnt lgkmcnt(0)
	s_add_u32 s0, s0, s3
	v_or_b32_sdwa v0, v0, v8 dst_sel:DWORD dst_unused:UNUSED_PAD src0_sel:BYTE_0 src1_sel:DWORD
	v_or_b32_sdwa v2, v6, v7 dst_sel:WORD_1 dst_unused:UNUSED_PAD src0_sel:BYTE_0 src1_sel:DWORD
	s_addc_u32 s1, s1, s4
	v_or_b32_sdwa v2, v0, v2 dst_sel:DWORD dst_unused:UNUSED_PAD src0_sel:WORD_0 src1_sel:DWORD
	v_or_b32_sdwa v0, v4, v5 dst_sel:DWORD dst_unused:UNUSED_PAD src0_sel:BYTE_0 src1_sel:DWORD
	v_or_b32_sdwa v3, v9, v3 dst_sel:WORD_1 dst_unused:UNUSED_PAD src0_sel:BYTE_0 src1_sel:DWORD
	s_and_b32 s1, s1, 0xffff
	s_mov_b32 s3, 0x20000
	v_or_b32_sdwa v3, v0, v3 dst_sel:DWORD dst_unused:UNUSED_PAD src0_sel:WORD_0 src1_sel:DWORD
	buffer_store_dwordx2 v[2:3], v1, s[0:3], 0 offen
	;;#ASMSTART
	s_nop 0
	;;#ASMEND
.LBB93_49:
	s_endpgm
.LBB93_50:
                                        ; implicit-def: $vgpr10_vgpr11
	s_branch .LBB93_37
	.section	.rodata,"a",@progbits
	.p2align	6, 0x0
	.amdhsa_kernel _ZN5aiter24add_rmsnorm_quant_kernelIDF16_aLi128ELi8ELb0ELb1ELb1ELi1EEEvPT0_PT_PfS4_S4_S4_diiiiiiib
		.amdhsa_group_segment_fixed_size 16
		.amdhsa_private_segment_fixed_size 0
		.amdhsa_kernarg_size 88
		.amdhsa_user_sgpr_count 6
		.amdhsa_user_sgpr_private_segment_buffer 1
		.amdhsa_user_sgpr_dispatch_ptr 0
		.amdhsa_user_sgpr_queue_ptr 0
		.amdhsa_user_sgpr_kernarg_segment_ptr 1
		.amdhsa_user_sgpr_dispatch_id 0
		.amdhsa_user_sgpr_flat_scratch_init 0
		.amdhsa_user_sgpr_kernarg_preload_length 0
		.amdhsa_user_sgpr_kernarg_preload_offset 0
		.amdhsa_user_sgpr_private_segment_size 0
		.amdhsa_uses_dynamic_stack 0
		.amdhsa_system_sgpr_private_segment_wavefront_offset 0
		.amdhsa_system_sgpr_workgroup_id_x 1
		.amdhsa_system_sgpr_workgroup_id_y 0
		.amdhsa_system_sgpr_workgroup_id_z 0
		.amdhsa_system_sgpr_workgroup_info 0
		.amdhsa_system_vgpr_workitem_id 0
		.amdhsa_next_free_vgpr 24
		.amdhsa_next_free_sgpr 34
		.amdhsa_accum_offset 24
		.amdhsa_reserve_vcc 1
		.amdhsa_reserve_flat_scratch 0
		.amdhsa_float_round_mode_32 0
		.amdhsa_float_round_mode_16_64 0
		.amdhsa_float_denorm_mode_32 3
		.amdhsa_float_denorm_mode_16_64 3
		.amdhsa_dx10_clamp 1
		.amdhsa_ieee_mode 1
		.amdhsa_fp16_overflow 0
		.amdhsa_tg_split 0
		.amdhsa_exception_fp_ieee_invalid_op 0
		.amdhsa_exception_fp_denorm_src 0
		.amdhsa_exception_fp_ieee_div_zero 0
		.amdhsa_exception_fp_ieee_overflow 0
		.amdhsa_exception_fp_ieee_underflow 0
		.amdhsa_exception_fp_ieee_inexact 0
		.amdhsa_exception_int_div_zero 0
	.end_amdhsa_kernel
	.section	.text._ZN5aiter24add_rmsnorm_quant_kernelIDF16_aLi128ELi8ELb0ELb1ELb1ELi1EEEvPT0_PT_PfS4_S4_S4_diiiiiiib,"axG",@progbits,_ZN5aiter24add_rmsnorm_quant_kernelIDF16_aLi128ELi8ELb0ELb1ELb1ELi1EEEvPT0_PT_PfS4_S4_S4_diiiiiiib,comdat
.Lfunc_end93:
	.size	_ZN5aiter24add_rmsnorm_quant_kernelIDF16_aLi128ELi8ELb0ELb1ELb1ELi1EEEvPT0_PT_PfS4_S4_S4_diiiiiiib, .Lfunc_end93-_ZN5aiter24add_rmsnorm_quant_kernelIDF16_aLi128ELi8ELb0ELb1ELb1ELi1EEEvPT0_PT_PfS4_S4_S4_diiiiiiib
                                        ; -- End function
	.section	.AMDGPU.csdata,"",@progbits
; Kernel info:
; codeLenInByte = 3028
; NumSgprs: 38
; NumVgprs: 24
; NumAgprs: 0
; TotalNumVgprs: 24
; ScratchSize: 0
; MemoryBound: 0
; FloatMode: 240
; IeeeMode: 1
; LDSByteSize: 16 bytes/workgroup (compile time only)
; SGPRBlocks: 4
; VGPRBlocks: 2
; NumSGPRsForWavesPerEU: 38
; NumVGPRsForWavesPerEU: 24
; AccumOffset: 24
; Occupancy: 8
; WaveLimiterHint : 0
; COMPUTE_PGM_RSRC2:SCRATCH_EN: 0
; COMPUTE_PGM_RSRC2:USER_SGPR: 6
; COMPUTE_PGM_RSRC2:TRAP_HANDLER: 0
; COMPUTE_PGM_RSRC2:TGID_X_EN: 1
; COMPUTE_PGM_RSRC2:TGID_Y_EN: 0
; COMPUTE_PGM_RSRC2:TGID_Z_EN: 0
; COMPUTE_PGM_RSRC2:TIDIG_COMP_CNT: 0
; COMPUTE_PGM_RSRC3_GFX90A:ACCUM_OFFSET: 5
; COMPUTE_PGM_RSRC3_GFX90A:TG_SPLIT: 0
	.section	.text._ZN5aiter24add_rmsnorm_quant_kernelItaLi128ELi8ELb0ELb1ELb1ELi1EEEvPT0_PT_PfS4_S4_S4_diiiiiiib,"axG",@progbits,_ZN5aiter24add_rmsnorm_quant_kernelItaLi128ELi8ELb0ELb1ELb1ELi1EEEvPT0_PT_PfS4_S4_S4_diiiiiiib,comdat
	.protected	_ZN5aiter24add_rmsnorm_quant_kernelItaLi128ELi8ELb0ELb1ELb1ELi1EEEvPT0_PT_PfS4_S4_S4_diiiiiiib ; -- Begin function _ZN5aiter24add_rmsnorm_quant_kernelItaLi128ELi8ELb0ELb1ELb1ELi1EEEvPT0_PT_PfS4_S4_S4_diiiiiiib
	.globl	_ZN5aiter24add_rmsnorm_quant_kernelItaLi128ELi8ELb0ELb1ELb1ELi1EEEvPT0_PT_PfS4_S4_S4_diiiiiiib
	.p2align	8
	.type	_ZN5aiter24add_rmsnorm_quant_kernelItaLi128ELi8ELb0ELb1ELb1ELi1EEEvPT0_PT_PfS4_S4_S4_diiiiiiib,@function
_ZN5aiter24add_rmsnorm_quant_kernelItaLi128ELi8ELb0ELb1ELb1ELi1EEEvPT0_PT_PfS4_S4_S4_diiiiiiib: ; @_ZN5aiter24add_rmsnorm_quant_kernelItaLi128ELi8ELb0ELb1ELb1ELi1EEEvPT0_PT_PfS4_S4_S4_diiiiiiib
; %bb.0:
	s_load_dwordx4 s[8:11], s[4:5], 0x38
	s_mov_b32 s7, 0
	s_waitcnt lgkmcnt(0)
	s_ashr_i32 s0, s8, 31
	v_mov_b32_e32 v2, s8
	v_mov_b32_e32 v3, s0
	v_cmp_ge_i64_e32 vcc, s[6:7], v[2:3]
	s_cbranch_vccnz .LBB94_49
; %bb.1:
	s_load_dwordx4 s[12:15], s[4:5], 0x10
	s_load_dwordx4 s[0:3], s[4:5], 0x28
	s_ashr_i32 s11, s10, 31
	s_mul_hi_u32 s16, s10, s6
	s_mul_i32 s11, s11, s6
	s_add_i32 s11, s16, s11
	s_mul_i32 s10, s10, s6
	s_lshl_b64 s[10:11], s[10:11], 1
	s_waitcnt lgkmcnt(0)
	s_add_u32 s16, s14, s10
	s_addc_u32 s10, s15, s11
	s_add_i32 s11, s9, 1
	s_lshr_b32 s14, s11, 31
	s_add_i32 s11, s11, s14
	s_lshl_b32 s11, s11, 1
	s_and_b32 s18, s11, -4
	s_and_b32 s17, s10, 0xffff
	s_mov_b32 s19, 0x20000
	v_lshlrev_b32_e32 v1, 4, v0
	buffer_load_dwordx4 v[14:17], v1, s[16:19], 0 offen glc slc
	s_mov_b32 s16, s0
	s_and_b32 s17, s1, 0xffff
	buffer_load_dwordx4 v[2:5], v1, s[16:19], 0 offen
	v_and_b32_e32 v22, 63, v0
	v_cmp_eq_u32_e64 s[0:1], 63, v22
	s_waitcnt vmcnt(1)
	v_cvt_f32_u32_sdwa v13, v14 dst_sel:DWORD dst_unused:UNUSED_PAD src0_sel:WORD_1
	v_cvt_f32_u32_sdwa v12, v14 dst_sel:DWORD dst_unused:UNUSED_PAD src0_sel:WORD_0
	v_cvt_f32_u32_sdwa v11, v15 dst_sel:DWORD dst_unused:UNUSED_PAD src0_sel:WORD_1
	v_cvt_f32_u32_sdwa v10, v15 dst_sel:DWORD dst_unused:UNUSED_PAD src0_sel:WORD_0
	;; [unrolled: 2-line block ×3, first 2 shown]
	v_pk_mul_f32 v[14:15], v[12:13], v[12:13]
	v_cvt_f32_u32_sdwa v7, v17 dst_sel:DWORD dst_unused:UNUSED_PAD src0_sel:WORD_1
	v_cvt_f32_u32_sdwa v6, v17 dst_sel:DWORD dst_unused:UNUSED_PAD src0_sel:WORD_0
	v_pk_mul_f32 v[16:17], v[10:11], v[10:11]
	v_add_f32_e32 v1, v14, v15
	v_add_f32_e32 v1, v16, v1
	v_pk_mul_f32 v[18:19], v[8:9], v[8:9]
	v_add_f32_e32 v1, v17, v1
	v_add_f32_e32 v1, v18, v1
	v_pk_mul_f32 v[20:21], v[6:7], v[6:7]
	v_add_f32_e32 v1, v19, v1
	v_add_f32_e32 v1, v20, v1
	v_add_f32_e32 v1, v21, v1
	s_nop 1
	v_mov_b32_dpp v14, v1 quad_perm:[1,0,3,2] row_mask:0xf bank_mask:0xf
	v_add_f32_e32 v1, v1, v14
	s_nop 1
	v_mov_b32_dpp v14, v1 quad_perm:[2,3,0,1] row_mask:0xf bank_mask:0xf
	v_add_f32_e32 v1, v1, v14
	s_nop 1
	v_mov_b32_dpp v14, v1 row_half_mirror row_mask:0xf bank_mask:0xf
	v_add_f32_e32 v1, v1, v14
	s_nop 1
	v_mov_b32_dpp v14, v1 row_mirror row_mask:0xf bank_mask:0xf
	v_add_f32_e32 v1, v1, v14
	s_nop 1
	v_mov_b32_dpp v14, v1 row_bcast:15 row_mask:0xf bank_mask:0xf
	v_add_f32_e32 v1, v1, v14
	s_nop 1
	v_mov_b32_dpp v14, v1 row_bcast:31 row_mask:0xf bank_mask:0xf
	s_and_saveexec_b64 s[10:11], s[0:1]
	s_cbranch_execz .LBB94_3
; %bb.2:
	v_lshrrev_b32_e32 v15, 4, v0
	v_and_b32_e32 v15, 60, v15
	v_add_f32_e32 v1, v1, v14
	ds_write_b32 v15, v1 offset:8
.LBB94_3:
	s_or_b64 exec, exec, s[10:11]
	v_and_b32_e32 v1, 1, v0
	v_lshlrev_b32_e32 v14, 2, v1
	s_waitcnt lgkmcnt(0)
	s_barrier
	ds_read_b32 v1, v14 offset:8
	v_cvt_f32_i32_e32 v15, s9
	s_waitcnt vmcnt(0)
	v_cvt_f32_u32_sdwa v21, v3 dst_sel:DWORD dst_unused:UNUSED_PAD src0_sel:WORD_1
	v_cvt_f32_u32_sdwa v23, v5 dst_sel:DWORD dst_unused:UNUSED_PAD src0_sel:WORD_1
	v_cvt_f32_u32_sdwa v22, v5 dst_sel:DWORD dst_unused:UNUSED_PAD src0_sel:WORD_0
	s_waitcnt lgkmcnt(0)
	v_mov_b32_dpp v16, v1 quad_perm:[1,0,3,2] row_mask:0xf bank_mask:0xf
	v_add_f32_e32 v1, v1, v16
	v_div_scale_f32 v16, s[10:11], v15, v15, v1
	v_rcp_f32_e32 v17, v16
	v_div_scale_f32 v18, vcc, v1, v15, v1
	s_load_dwordx2 s[10:11], s[4:5], 0x4c
	s_load_dword s14, s[4:5], 0x54
	v_fma_f32 v19, -v16, v17, 1.0
	v_fmac_f32_e32 v17, v19, v17
	v_mul_f32_e32 v19, v18, v17
	v_fma_f32 v20, -v16, v19, v18
	v_fmac_f32_e32 v19, v20, v17
	v_fma_f32 v16, -v16, v19, v18
	v_div_fmas_f32 v16, v16, v17, v19
	v_div_fixup_f32 v1, v16, v15, v1
	v_cvt_f64_f32_e32 v[16:17], v1
	v_add_f64 v[16:17], v[16:17], s[2:3]
	v_cvt_f32_f64_e32 v1, v[16:17]
	s_mov_b32 s2, 0x800000
	v_mul_f32_e32 v15, 0x4b800000, v1
	v_cmp_gt_f32_e32 vcc, s2, v1
	v_cndmask_b32_e32 v1, v1, v15, vcc
	v_rsq_f32_e32 v15, v1
	v_cvt_f32_u32_sdwa v20, v3 dst_sel:DWORD dst_unused:UNUSED_PAD src0_sel:WORD_0
	v_cvt_f32_u32_sdwa v3, v4 dst_sel:DWORD dst_unused:UNUSED_PAD src0_sel:WORD_1
	v_lshlrev_b32_e32 v1, 3, v0
	v_mul_f32_e32 v16, 0x45800000, v15
	v_cndmask_b32_e32 v16, v15, v16, vcc
	v_mov_b32_e32 v17, v16
	;;#ASMSTART
	v_pk_mul_f32 v[12:13], v[12:13], v[16:17]
	;;#ASMEND
	;;#ASMSTART
	v_pk_mul_f32 v[10:11], v[10:11], v[16:17]
	;;#ASMEND
	;; [unrolled: 3-line block ×4, first 2 shown]
	v_cvt_f32_u32_sdwa v7, v2 dst_sel:DWORD dst_unused:UNUSED_PAD src0_sel:WORD_1
	v_cvt_f32_u32_sdwa v6, v2 dst_sel:DWORD dst_unused:UNUSED_PAD src0_sel:WORD_0
	v_cvt_f32_u32_sdwa v2, v4 dst_sel:DWORD dst_unused:UNUSED_PAD src0_sel:WORD_0
	;;#ASMSTART
	v_pk_mul_f32 v[8:9], v[12:13], v[6:7]
	;;#ASMEND
	;;#ASMSTART
	v_pk_mul_f32 v[6:7], v[10:11], v[20:21]
	;;#ASMEND
	v_and_b32_e32 v10, 0x7fffffff, v8
	v_mov_b32_e32 v12, 0x2edbe6ff
	;;#ASMSTART
	v_pk_mul_f32 v[4:5], v[18:19], v[2:3]
	;;#ASMEND
	;;#ASMSTART
	v_pk_mul_f32 v[2:3], v[16:17], v[22:23]
	;;#ASMEND
	v_and_b32_e32 v11, 0x7fffffff, v9
	;;#ASMSTART
	v_max3_f32 v10, v12, v10, v11

	;;#ASMEND
	v_and_b32_e32 v12, 0x7fffffff, v7
	v_and_b32_e32 v11, 0x7fffffff, v6
	;;#ASMSTART
	v_max3_f32 v10, v10, v11, v12

	;;#ASMEND
	v_and_b32_e32 v12, 0x7fffffff, v5
	;; [unrolled: 6-line block ×3, first 2 shown]
	s_waitcnt lgkmcnt(0)
	s_cmp_lg_u32 s11, 0
	v_and_b32_e32 v11, 0x7fffffff, v2
	;;#ASMSTART
	v_max3_f32 v12, v10, v11, v12

	;;#ASMEND
	s_cbranch_scc0 .LBB94_10
; %bb.4:
	s_ashr_i32 s15, s11, 31
	s_lshr_b32 s2, s15, 29
	s_add_i32 s2, s11, s2
	s_ashr_i32 s18, s2, 3
	s_cmp_lt_i32 s18, 16
	s_cbranch_scc1 .LBB94_11
; %bb.5:
	s_cmp_lt_i32 s18, 32
	s_cbranch_scc1 .LBB94_12
; %bb.6:
	;; [unrolled: 3-line block ×3, first 2 shown]
	s_cmp_eq_u32 s18, 64
	v_mov_b32_e32 v10, v12
	s_cbranch_scc0 .LBB94_9
; %bb.8:
	s_nop 0
	v_mov_b32_dpp v10, v12 quad_perm:[1,0,3,2] row_mask:0xf bank_mask:0xf
	v_cmp_gt_f32_e32 vcc, v12, v10
	v_cndmask_b32_e32 v10, v10, v12, vcc
	v_bfrev_b32_e32 v13, 0.5
	s_nop 0
	v_mov_b32_dpp v11, v10 quad_perm:[2,3,0,1] row_mask:0xf bank_mask:0xf
	v_cmp_gt_f32_e32 vcc, v10, v11
	v_cndmask_b32_e32 v10, v11, v10, vcc
	s_nop 1
	v_mov_b32_dpp v11, v10 row_ror:4 row_mask:0xf bank_mask:0xf
	v_cmp_gt_f32_e32 vcc, v10, v11
	v_cndmask_b32_e32 v10, v11, v10, vcc
	s_nop 1
	v_mov_b32_dpp v11, v10 row_ror:8 row_mask:0xf bank_mask:0xf
	v_cmp_gt_f32_e32 vcc, v10, v11
	v_cndmask_b32_e32 v10, v11, v10, vcc
	s_nop 1
	v_mov_b32_dpp v11, v10 row_bcast:15 row_mask:0xf bank_mask:0xf
	v_cmp_gt_f32_e32 vcc, v10, v11
	v_cndmask_b32_e32 v10, v11, v10, vcc
	s_nop 1
	v_mov_b32_dpp v11, v10 row_bcast:31 row_mask:0xf bank_mask:0xf
	v_cmp_gt_f32_e32 vcc, v10, v11
	v_cndmask_b32_e32 v10, v11, v10, vcc
	v_mbcnt_lo_u32_b32 v11, -1, 0
	v_mbcnt_hi_u32_b32 v11, -1, v11
	v_lshl_or_b32 v11, v11, 2, v13
	ds_bpermute_b32 v10, v11, v10
.LBB94_9:
	s_mov_b64 s[2:3], 0
	s_branch .LBB94_14
.LBB94_10:
	s_mov_b64 s[2:3], 0
                                        ; implicit-def: $vgpr13
                                        ; implicit-def: $vgpr10_vgpr11
	s_cbranch_execnz .LBB94_43
	s_branch .LBB94_46
.LBB94_11:
                                        ; implicit-def: $vgpr10
	s_branch .LBB94_21
.LBB94_12:
                                        ; implicit-def: $vgpr10
	s_branch .LBB94_18
.LBB94_13:
	s_mov_b64 s[2:3], -1
                                        ; implicit-def: $vgpr10
.LBB94_14:
	s_andn2_b64 vcc, exec, s[2:3]
	s_cbranch_vccnz .LBB94_17
; %bb.15:
	s_cmp_eq_u32 s18, 32
	s_waitcnt lgkmcnt(0)
	v_mov_b32_e32 v10, v12
	s_cbranch_scc0 .LBB94_17
; %bb.16:
	s_nop 0
	v_mov_b32_dpp v10, v12 quad_perm:[1,0,3,2] row_mask:0xf bank_mask:0xf
	v_cmp_gt_f32_e32 vcc, v12, v10
	v_cndmask_b32_e32 v10, v10, v12, vcc
	v_mov_b32_e32 v13, 0x7c
	s_nop 0
	v_mov_b32_dpp v11, v10 quad_perm:[2,3,0,1] row_mask:0xf bank_mask:0xf
	v_cmp_gt_f32_e32 vcc, v10, v11
	v_cndmask_b32_e32 v10, v11, v10, vcc
	s_nop 1
	v_mov_b32_dpp v11, v10 row_half_mirror row_mask:0xf bank_mask:0xf
	v_cmp_gt_f32_e32 vcc, v10, v11
	v_cndmask_b32_e32 v10, v11, v10, vcc
	s_nop 1
	v_mov_b32_dpp v11, v10 row_mirror row_mask:0xf bank_mask:0xf
	v_cmp_gt_f32_e32 vcc, v10, v11
	v_cndmask_b32_e32 v10, v11, v10, vcc
	s_nop 1
	v_mov_b32_dpp v11, v10 row_bcast:15 row_mask:0xa bank_mask:0xf
	v_cmp_gt_f32_e32 vcc, v10, v11
	v_cndmask_b32_e32 v10, v11, v10, vcc
	v_mbcnt_lo_u32_b32 v11, -1, 0
	v_mbcnt_hi_u32_b32 v11, -1, v11
	v_lshl_or_b32 v11, v11, 2, v13
	ds_bpermute_b32 v10, v11, v10
.LBB94_17:
	s_cbranch_execnz .LBB94_20
.LBB94_18:
	s_cmp_eq_u32 s18, 16
	s_waitcnt lgkmcnt(0)
	v_mov_b32_e32 v10, v12
	s_cbranch_scc0 .LBB94_20
; %bb.19:
	s_nop 0
	v_mov_b32_dpp v10, v12 quad_perm:[1,0,3,2] row_mask:0xf bank_mask:0xf
	v_cmp_gt_f32_e32 vcc, v12, v10
	v_cndmask_b32_e32 v10, v10, v12, vcc
	s_nop 1
	v_mov_b32_dpp v11, v10 quad_perm:[2,3,0,1] row_mask:0xf bank_mask:0xf
	v_cmp_gt_f32_e32 vcc, v10, v11
	v_cndmask_b32_e32 v10, v11, v10, vcc
	s_nop 1
	v_mov_b32_dpp v11, v10 row_half_mirror row_mask:0xf bank_mask:0xf
	v_cmp_gt_f32_e32 vcc, v10, v11
	v_cndmask_b32_e32 v10, v11, v10, vcc
	s_nop 1
	v_mov_b32_dpp v11, v10 row_mirror row_mask:0xf bank_mask:0xf
	v_cmp_gt_f32_e32 vcc, v10, v11
	v_cndmask_b32_e32 v10, v11, v10, vcc
.LBB94_20:
	s_cbranch_execnz .LBB94_33
.LBB94_21:
	s_cmp_lt_i32 s18, 4
	s_cbranch_scc1 .LBB94_25
; %bb.22:
	s_cmp_lt_i32 s18, 8
	s_cbranch_scc1 .LBB94_26
; %bb.23:
	s_cmp_eq_u32 s18, 8
	s_waitcnt lgkmcnt(0)
	v_mov_b32_e32 v10, v12
	s_cbranch_scc0 .LBB94_27
; %bb.24:
	s_nop 0
	v_mov_b32_dpp v10, v12 quad_perm:[1,0,3,2] row_mask:0xf bank_mask:0xf
	v_cmp_gt_f32_e32 vcc, v12, v10
	v_cndmask_b32_e32 v10, v10, v12, vcc
	s_nop 1
	v_mov_b32_dpp v11, v10 quad_perm:[2,3,0,1] row_mask:0xf bank_mask:0xf
	v_cmp_gt_f32_e32 vcc, v10, v11
	v_cndmask_b32_e32 v10, v11, v10, vcc
	s_nop 1
	v_mov_b32_dpp v11, v10 row_half_mirror row_mask:0xf bank_mask:0xf
	v_cmp_gt_f32_e32 vcc, v10, v11
	v_cndmask_b32_e32 v10, v11, v10, vcc
	s_cbranch_execz .LBB94_28
	s_branch .LBB94_30
.LBB94_25:
                                        ; implicit-def: $vgpr10
	s_branch .LBB94_31
.LBB94_26:
                                        ; implicit-def: $vgpr10
	s_branch .LBB94_28
.LBB94_27:
	s_cbranch_execnz .LBB94_30
.LBB94_28:
	s_cmp_eq_u32 s18, 4
	s_waitcnt lgkmcnt(0)
	v_mov_b32_e32 v10, v12
	s_cbranch_scc0 .LBB94_30
; %bb.29:
	s_nop 0
	v_mov_b32_dpp v10, v12 quad_perm:[1,0,3,2] row_mask:0xf bank_mask:0xf
	v_cmp_gt_f32_e32 vcc, v12, v10
	v_cndmask_b32_e32 v10, v10, v12, vcc
	s_nop 1
	v_mov_b32_dpp v11, v10 quad_perm:[2,3,0,1] row_mask:0xf bank_mask:0xf
	v_cmp_gt_f32_e32 vcc, v10, v11
	v_cndmask_b32_e32 v10, v11, v10, vcc
.LBB94_30:
	s_cbranch_execnz .LBB94_33
.LBB94_31:
	s_cmp_lg_u32 s18, 2
	s_waitcnt lgkmcnt(0)
	v_mov_b32_e32 v10, v12
	s_cbranch_scc1 .LBB94_33
; %bb.32:
	s_nop 0
	v_mov_b32_dpp v10, v12 quad_perm:[1,0,3,2] row_mask:0xf bank_mask:0xf
	v_cmp_gt_f32_e32 vcc, v12, v10
	v_cndmask_b32_e32 v10, v10, v12, vcc
.LBB94_33:
	v_cvt_f32_u32_e32 v11, s18
	s_waitcnt lgkmcnt(0)
	v_mul_f32_e32 v13, 0x3c010204, v10
	s_sub_i32 s2, 0, s18
	v_cmp_gt_u32_e32 vcc, s9, v1
	v_rcp_iflag_f32_e32 v11, v11
	s_mov_b64 s[16:17], 0
	v_mul_f32_e32 v10, 0x4f7ffffe, v11
	v_cvt_u32_f32_e32 v10, v10
	v_mul_lo_u32 v11, s2, v10
	v_mul_hi_u32 v11, v10, v11
	v_add_u32_e32 v10, v10, v11
	v_mul_hi_u32 v10, v0, v10
	v_mul_lo_u32 v11, v10, s18
	v_sub_u32_e32 v11, v0, v11
	v_add_u32_e32 v15, 1, v10
	v_cmp_le_u32_e64 s[2:3], s18, v11
	v_cndmask_b32_e64 v10, v10, v15, s[2:3]
	v_subrev_u32_e32 v15, s18, v11
	v_cndmask_b32_e64 v11, v11, v15, s[2:3]
	v_add_u32_e32 v15, 1, v10
	v_cmp_le_u32_e64 s[2:3], s18, v11
	v_cndmask_b32_e64 v15, v10, v15, s[2:3]
	v_mul_lo_u32 v10, v15, s18
	v_sub_u32_e32 v10, v0, v10
	v_cmp_eq_u32_e64 s[2:3], 0, v10
	s_and_b64 s[18:19], s[2:3], vcc
	s_mov_b64 s[2:3], 0
                                        ; implicit-def: $vgpr10_vgpr11
	s_and_saveexec_b64 s[20:21], s[18:19]
	s_xor_b64 s[18:19], exec, s[20:21]
	s_cbranch_execz .LBB94_42
; %bb.34:
	s_bitcmp0_b32 s14, 0
	s_cbranch_scc0 .LBB94_39
; %bb.35:
	s_ashr_i32 s2, s9, 31
	s_mul_hi_u32 s3, s9, s6
	s_mul_i32 s2, s2, s6
	s_add_i32 s21, s3, s2
	s_mul_i32 s20, s9, s6
	s_mov_b32 s14, s11
	s_or_b64 s[2:3], s[20:21], s[14:15]
	s_mov_b32 s2, 0
	s_cmp_lg_u64 s[2:3], 0
	s_cbranch_scc0 .LBB94_50
; %bb.36:
	s_add_u32 s2, s14, s15
	s_mov_b32 s24, s15
	s_mov_b32 s25, s15
	s_addc_u32 s3, s15, s15
	s_xor_b64 s[26:27], s[2:3], s[24:25]
	v_cvt_f32_u32_e32 v10, s26
	v_cvt_f32_u32_e32 v11, s27
	s_sub_u32 s2, 0, s26
	s_subb_u32 s3, 0, s27
	v_madmk_f32 v10, v11, 0x4f800000, v10
	v_rcp_f32_e32 v10, v10
	v_mul_f32_e32 v10, 0x5f7ffffc, v10
	v_mul_f32_e32 v11, 0x2f800000, v10
	v_trunc_f32_e32 v11, v11
	v_madmk_f32 v10, v11, 0xcf800000, v10
	v_cvt_u32_f32_e32 v11, v11
	v_cvt_u32_f32_e32 v10, v10
	v_readfirstlane_b32 s11, v11
	v_readfirstlane_b32 s15, v10
	s_mul_i32 s28, s2, s11
	s_mul_hi_u32 s30, s2, s15
	s_mul_i32 s29, s3, s15
	s_add_i32 s28, s30, s28
	s_add_i32 s28, s28, s29
	s_mul_i32 s31, s2, s15
	s_mul_hi_u32 s29, s15, s28
	s_mul_i32 s30, s15, s28
	s_mul_hi_u32 s15, s15, s31
	s_add_u32 s15, s15, s30
	s_addc_u32 s29, 0, s29
	s_mul_hi_u32 s33, s11, s31
	s_mul_i32 s31, s11, s31
	s_add_u32 s15, s15, s31
	s_mul_hi_u32 s30, s11, s28
	s_addc_u32 s15, s29, s33
	s_addc_u32 s29, s30, 0
	s_mul_i32 s28, s11, s28
	s_add_u32 s15, s15, s28
	s_addc_u32 s28, 0, s29
	v_add_co_u32_e32 v10, vcc, s15, v10
	s_cmp_lg_u64 vcc, 0
	s_addc_u32 s11, s11, s28
	v_readfirstlane_b32 s28, v10
	s_mul_i32 s15, s2, s11
	s_mul_hi_u32 s29, s2, s28
	s_add_i32 s15, s29, s15
	s_mul_i32 s3, s3, s28
	s_add_i32 s15, s15, s3
	s_mul_i32 s2, s2, s28
	s_mul_hi_u32 s29, s11, s2
	s_mul_i32 s30, s11, s2
	s_mul_i32 s33, s28, s15
	s_mul_hi_u32 s2, s28, s2
	s_mul_hi_u32 s31, s28, s15
	s_add_u32 s2, s2, s33
	s_addc_u32 s28, 0, s31
	s_add_u32 s2, s2, s30
	s_mul_hi_u32 s3, s11, s15
	s_addc_u32 s2, s28, s29
	s_addc_u32 s3, s3, 0
	s_mul_i32 s15, s11, s15
	s_add_u32 s2, s2, s15
	s_addc_u32 s3, 0, s3
	v_add_co_u32_e32 v10, vcc, s2, v10
	s_cmp_lg_u64 vcc, 0
	s_addc_u32 s11, s11, s3
	s_ashr_i32 s28, s21, 31
	s_add_u32 s2, s20, s28
	s_mov_b32 s29, s28
	s_addc_u32 s3, s21, s28
	s_xor_b64 s[30:31], s[2:3], s[28:29]
	v_readfirstlane_b32 s15, v10
	s_mul_i32 s3, s30, s11
	s_mul_hi_u32 s21, s30, s15
	s_mul_hi_u32 s2, s30, s11
	s_add_u32 s3, s21, s3
	s_addc_u32 s2, 0, s2
	s_mul_hi_u32 s33, s31, s15
	s_mul_i32 s15, s31, s15
	s_add_u32 s3, s3, s15
	s_mul_hi_u32 s21, s31, s11
	s_addc_u32 s2, s2, s33
	s_addc_u32 s3, s21, 0
	s_mul_i32 s11, s31, s11
	s_add_u32 s11, s2, s11
	s_addc_u32 s15, 0, s3
	s_mul_i32 s2, s26, s15
	s_mul_hi_u32 s3, s26, s11
	s_add_i32 s2, s3, s2
	s_mul_i32 s3, s27, s11
	s_add_i32 s21, s2, s3
	s_mul_i32 s3, s26, s11
	v_mov_b32_e32 v10, s3
	s_sub_i32 s2, s31, s21
	v_sub_co_u32_e32 v10, vcc, s30, v10
	s_cmp_lg_u64 vcc, 0
	s_subb_u32 s30, s2, s27
	v_subrev_co_u32_e64 v11, s[2:3], s26, v10
	s_cmp_lg_u64 s[2:3], 0
	s_subb_u32 s30, s30, 0
	s_cmp_ge_u32 s30, s27
	s_cselect_b32 s33, -1, 0
	v_cmp_le_u32_e64 s[2:3], s26, v11
	s_cmp_eq_u32 s30, s27
	v_cndmask_b32_e64 v11, 0, -1, s[2:3]
	v_mov_b32_e32 v16, s33
	s_cselect_b64 s[2:3], -1, 0
	v_cndmask_b32_e64 v11, v16, v11, s[2:3]
	s_add_u32 s2, s11, 1
	s_addc_u32 s30, s15, 0
	s_add_u32 s3, s11, 2
	s_addc_u32 s33, s15, 0
	v_mov_b32_e32 v16, s2
	v_mov_b32_e32 v17, s3
	v_cmp_ne_u32_e64 s[2:3], 0, v11
	v_cndmask_b32_e64 v11, v16, v17, s[2:3]
	v_mov_b32_e32 v16, s30
	v_mov_b32_e32 v17, s33
	s_cmp_lg_u64 vcc, 0
	v_cndmask_b32_e64 v16, v16, v17, s[2:3]
	s_subb_u32 s2, s31, s21
	s_cmp_ge_u32 s2, s27
	s_cselect_b32 s3, -1, 0
	v_cmp_le_u32_e32 vcc, s26, v10
	s_cmp_eq_u32 s2, s27
	v_cndmask_b32_e64 v10, 0, -1, vcc
	v_mov_b32_e32 v17, s3
	s_cselect_b64 vcc, -1, 0
	v_cndmask_b32_e32 v10, v17, v10, vcc
	v_mov_b32_e32 v17, s15
	v_cmp_ne_u32_e32 vcc, 0, v10
	v_cndmask_b32_e32 v10, v17, v16, vcc
	v_mov_b32_e32 v16, s11
	v_cndmask_b32_e32 v11, v16, v11, vcc
	s_xor_b64 s[2:3], s[28:29], s[24:25]
	v_xor_b32_e32 v11, s2, v11
	v_xor_b32_e32 v16, s3, v10
	v_mov_b32_e32 v17, s3
	v_subrev_co_u32_e32 v10, vcc, s2, v11
	v_subb_co_u32_e32 v11, vcc, v16, v17, vcc
	s_cbranch_execnz .LBB94_38
.LBB94_37:
	v_cvt_f32_u32_e32 v10, s14
	s_sub_i32 s2, 0, s14
	s_mov_b32 s3, 0
	v_rcp_iflag_f32_e32 v10, v10
	v_mul_f32_e32 v10, 0x4f7ffffe, v10
	v_cvt_u32_f32_e32 v10, v10
	v_readfirstlane_b32 s11, v10
	s_mul_i32 s2, s2, s11
	s_mul_hi_u32 s2, s11, s2
	s_add_i32 s11, s11, s2
	s_mul_hi_u32 s2, s20, s11
	s_mul_i32 s15, s2, s14
	s_sub_i32 s15, s20, s15
	s_add_i32 s11, s2, 1
	s_sub_i32 s20, s15, s14
	s_cmp_ge_u32 s15, s14
	s_cselect_b32 s2, s11, s2
	s_cselect_b32 s15, s20, s15
	s_add_i32 s11, s2, 1
	s_cmp_ge_u32 s15, s14
	s_cselect_b32 s2, s11, s2
	v_pk_mov_b32 v[10:11], s[2:3], s[2:3] op_sel:[0,1]
.LBB94_38:
	v_add_co_u32_e32 v10, vcc, v10, v15
	v_addc_co_u32_e32 v11, vcc, 0, v11, vcc
	s_branch .LBB94_41
.LBB94_39:
                                        ; implicit-def: $vgpr10_vgpr11
	s_cbranch_execz .LBB94_41
; %bb.40:
	v_mul_lo_u32 v10, v15, s8
	v_ashrrev_i32_e32 v11, 31, v10
	v_mov_b32_e32 v15, s7
	v_add_co_u32_e32 v10, vcc, s6, v10
	v_addc_co_u32_e32 v11, vcc, v11, v15, vcc
.LBB94_41:
	s_mov_b64 s[2:3], exec
.LBB94_42:
	s_or_b64 exec, exec, s[18:19]
	s_and_b64 vcc, exec, s[16:17]
	s_cbranch_vccz .LBB94_46
.LBB94_43:
	v_mov_b32_dpp v10, v12 quad_perm:[1,0,3,2] row_mask:0xf bank_mask:0xf
	v_cmp_gt_f32_e32 vcc, v12, v10
	v_cndmask_b32_e32 v10, v10, v12, vcc
	s_nop 1
	v_mov_b32_dpp v11, v10 quad_perm:[2,3,0,1] row_mask:0xf bank_mask:0xf
	v_cmp_gt_f32_e32 vcc, v10, v11
	v_cndmask_b32_e32 v10, v11, v10, vcc
	s_nop 1
	v_mov_b32_dpp v11, v10 row_half_mirror row_mask:0xf bank_mask:0xf
	v_cmp_gt_f32_e32 vcc, v10, v11
	v_cndmask_b32_e32 v10, v11, v10, vcc
	s_nop 1
	v_mov_b32_dpp v11, v10 row_mirror row_mask:0xf bank_mask:0xf
	v_cmp_gt_f32_e32 vcc, v10, v11
	v_cndmask_b32_e32 v10, v11, v10, vcc
	s_nop 1
	v_mov_b32_dpp v11, v10 row_bcast:15 row_mask:0xf bank_mask:0xf
	v_cmp_gt_f32_e32 vcc, v10, v11
	v_cndmask_b32_e32 v10, v11, v10, vcc
	s_nop 1
	v_mov_b32_dpp v11, v10 row_bcast:31 row_mask:0xf bank_mask:0xf
	s_and_saveexec_b64 s[2:3], s[0:1]
	s_cbranch_execz .LBB94_45
; %bb.44:
	v_lshrrev_b32_e32 v12, 4, v0
	v_cmp_gt_f32_e32 vcc, v10, v11
	v_and_b32_e32 v12, 60, v12
	v_cndmask_b32_e32 v10, v11, v10, vcc
	ds_write_b32 v12, v10
.LBB94_45:
	s_or_b64 exec, exec, s[2:3]
	s_waitcnt lgkmcnt(0)
	s_barrier
	ds_read_b32 v10, v14
	v_cmp_eq_u32_e64 s[2:3], 0, v0
	s_waitcnt lgkmcnt(0)
	v_mov_b32_dpp v11, v10 quad_perm:[1,0,3,2] row_mask:0xf bank_mask:0xf
	v_cmp_gt_f32_e32 vcc, v10, v11
	v_cndmask_b32_e32 v10, v11, v10, vcc
	v_mul_f32_e32 v13, 0x3c010204, v10
	v_pk_mov_b32 v[10:11], s[6:7], s[6:7] op_sel:[0,1]
.LBB94_46:
	s_and_saveexec_b64 s[0:1], s[2:3]
	s_cbranch_execz .LBB94_48
; %bb.47:
	v_lshlrev_b64 v[10:11], 2, v[10:11]
	v_mov_b32_e32 v0, s13
	v_add_co_u32_e32 v10, vcc, s12, v10
	v_addc_co_u32_e32 v11, vcc, v0, v11, vcc
	global_store_dword v[10:11], v13, off
.LBB94_48:
	s_or_b64 exec, exec, s[0:1]
	s_add_i32 s2, s9, 3
	s_load_dwordx2 s[0:1], s[4:5], 0x0
	s_ashr_i32 s3, s2, 31
	;;#ASMSTART
	v_rcp_f32 v10, v13
	;;#ASMEND
	v_mov_b32_e32 v11, v10
	;;#ASMSTART
	v_pk_mul_f32 v[8:9], v[8:9], v[10:11]
	;;#ASMEND
	;;#ASMSTART
	v_pk_mul_f32 v[6:7], v[6:7], v[10:11]
	;;#ASMEND
	s_lshr_b32 s3, s3, 30
	v_cvt_i32_f32_e32 v0, v8
	v_cvt_i32_f32_sdwa v8, v9 dst_sel:BYTE_1 dst_unused:UNUSED_PAD src0_sel:DWORD
	v_cvt_i32_f32_e32 v6, v6
	v_cvt_i32_f32_sdwa v7, v7 dst_sel:BYTE_1 dst_unused:UNUSED_PAD src0_sel:DWORD
	;;#ASMSTART
	v_pk_mul_f32 v[4:5], v[4:5], v[10:11]
	;;#ASMEND
	;;#ASMSTART
	v_pk_mul_f32 v[2:3], v[2:3], v[10:11]
	;;#ASMEND
	s_add_i32 s2, s2, s3
	s_ashr_i32 s3, s10, 31
	v_cvt_i32_f32_e32 v4, v4
	v_cvt_i32_f32_sdwa v5, v5 dst_sel:BYTE_1 dst_unused:UNUSED_PAD src0_sel:DWORD
	v_cvt_i32_f32_e32 v9, v2
	v_cvt_i32_f32_sdwa v3, v3 dst_sel:BYTE_1 dst_unused:UNUSED_PAD src0_sel:DWORD
	s_mul_hi_u32 s4, s10, s6
	s_mul_i32 s3, s3, s6
	s_and_b32 s2, s2, -4
	s_add_i32 s4, s4, s3
	s_mul_i32 s3, s10, s6
	s_waitcnt lgkmcnt(0)
	s_add_u32 s0, s0, s3
	v_or_b32_sdwa v0, v0, v8 dst_sel:DWORD dst_unused:UNUSED_PAD src0_sel:BYTE_0 src1_sel:DWORD
	v_or_b32_sdwa v2, v6, v7 dst_sel:WORD_1 dst_unused:UNUSED_PAD src0_sel:BYTE_0 src1_sel:DWORD
	s_addc_u32 s1, s1, s4
	v_or_b32_sdwa v2, v0, v2 dst_sel:DWORD dst_unused:UNUSED_PAD src0_sel:WORD_0 src1_sel:DWORD
	v_or_b32_sdwa v0, v4, v5 dst_sel:DWORD dst_unused:UNUSED_PAD src0_sel:BYTE_0 src1_sel:DWORD
	v_or_b32_sdwa v3, v9, v3 dst_sel:WORD_1 dst_unused:UNUSED_PAD src0_sel:BYTE_0 src1_sel:DWORD
	s_and_b32 s1, s1, 0xffff
	s_mov_b32 s3, 0x20000
	v_or_b32_sdwa v3, v0, v3 dst_sel:DWORD dst_unused:UNUSED_PAD src0_sel:WORD_0 src1_sel:DWORD
	buffer_store_dwordx2 v[2:3], v1, s[0:3], 0 offen
	;;#ASMSTART
	s_nop 0
	;;#ASMEND
.LBB94_49:
	s_endpgm
.LBB94_50:
                                        ; implicit-def: $vgpr10_vgpr11
	s_branch .LBB94_37
	.section	.rodata,"a",@progbits
	.p2align	6, 0x0
	.amdhsa_kernel _ZN5aiter24add_rmsnorm_quant_kernelItaLi128ELi8ELb0ELb1ELb1ELi1EEEvPT0_PT_PfS4_S4_S4_diiiiiiib
		.amdhsa_group_segment_fixed_size 16
		.amdhsa_private_segment_fixed_size 0
		.amdhsa_kernarg_size 88
		.amdhsa_user_sgpr_count 6
		.amdhsa_user_sgpr_private_segment_buffer 1
		.amdhsa_user_sgpr_dispatch_ptr 0
		.amdhsa_user_sgpr_queue_ptr 0
		.amdhsa_user_sgpr_kernarg_segment_ptr 1
		.amdhsa_user_sgpr_dispatch_id 0
		.amdhsa_user_sgpr_flat_scratch_init 0
		.amdhsa_user_sgpr_kernarg_preload_length 0
		.amdhsa_user_sgpr_kernarg_preload_offset 0
		.amdhsa_user_sgpr_private_segment_size 0
		.amdhsa_uses_dynamic_stack 0
		.amdhsa_system_sgpr_private_segment_wavefront_offset 0
		.amdhsa_system_sgpr_workgroup_id_x 1
		.amdhsa_system_sgpr_workgroup_id_y 0
		.amdhsa_system_sgpr_workgroup_id_z 0
		.amdhsa_system_sgpr_workgroup_info 0
		.amdhsa_system_vgpr_workitem_id 0
		.amdhsa_next_free_vgpr 24
		.amdhsa_next_free_sgpr 34
		.amdhsa_accum_offset 24
		.amdhsa_reserve_vcc 1
		.amdhsa_reserve_flat_scratch 0
		.amdhsa_float_round_mode_32 0
		.amdhsa_float_round_mode_16_64 0
		.amdhsa_float_denorm_mode_32 3
		.amdhsa_float_denorm_mode_16_64 3
		.amdhsa_dx10_clamp 1
		.amdhsa_ieee_mode 1
		.amdhsa_fp16_overflow 0
		.amdhsa_tg_split 0
		.amdhsa_exception_fp_ieee_invalid_op 0
		.amdhsa_exception_fp_denorm_src 0
		.amdhsa_exception_fp_ieee_div_zero 0
		.amdhsa_exception_fp_ieee_overflow 0
		.amdhsa_exception_fp_ieee_underflow 0
		.amdhsa_exception_fp_ieee_inexact 0
		.amdhsa_exception_int_div_zero 0
	.end_amdhsa_kernel
	.section	.text._ZN5aiter24add_rmsnorm_quant_kernelItaLi128ELi8ELb0ELb1ELb1ELi1EEEvPT0_PT_PfS4_S4_S4_diiiiiiib,"axG",@progbits,_ZN5aiter24add_rmsnorm_quant_kernelItaLi128ELi8ELb0ELb1ELb1ELi1EEEvPT0_PT_PfS4_S4_S4_diiiiiiib,comdat
.Lfunc_end94:
	.size	_ZN5aiter24add_rmsnorm_quant_kernelItaLi128ELi8ELb0ELb1ELb1ELi1EEEvPT0_PT_PfS4_S4_S4_diiiiiiib, .Lfunc_end94-_ZN5aiter24add_rmsnorm_quant_kernelItaLi128ELi8ELb0ELb1ELb1ELi1EEEvPT0_PT_PfS4_S4_S4_diiiiiiib
                                        ; -- End function
	.section	.AMDGPU.csdata,"",@progbits
; Kernel info:
; codeLenInByte = 3060
; NumSgprs: 38
; NumVgprs: 24
; NumAgprs: 0
; TotalNumVgprs: 24
; ScratchSize: 0
; MemoryBound: 0
; FloatMode: 240
; IeeeMode: 1
; LDSByteSize: 16 bytes/workgroup (compile time only)
; SGPRBlocks: 4
; VGPRBlocks: 2
; NumSGPRsForWavesPerEU: 38
; NumVGPRsForWavesPerEU: 24
; AccumOffset: 24
; Occupancy: 8
; WaveLimiterHint : 0
; COMPUTE_PGM_RSRC2:SCRATCH_EN: 0
; COMPUTE_PGM_RSRC2:USER_SGPR: 6
; COMPUTE_PGM_RSRC2:TRAP_HANDLER: 0
; COMPUTE_PGM_RSRC2:TGID_X_EN: 1
; COMPUTE_PGM_RSRC2:TGID_Y_EN: 0
; COMPUTE_PGM_RSRC2:TGID_Z_EN: 0
; COMPUTE_PGM_RSRC2:TIDIG_COMP_CNT: 0
; COMPUTE_PGM_RSRC3_GFX90A:ACCUM_OFFSET: 5
; COMPUTE_PGM_RSRC3_GFX90A:TG_SPLIT: 0
	.section	.text._ZN5aiter24add_rmsnorm_quant_kernelIDF16_aLi128ELi8ELb0ELb1ELb0ELi1EEEvPT0_PT_PfS4_S4_S4_diiiiiiib,"axG",@progbits,_ZN5aiter24add_rmsnorm_quant_kernelIDF16_aLi128ELi8ELb0ELb1ELb0ELi1EEEvPT0_PT_PfS4_S4_S4_diiiiiiib,comdat
	.protected	_ZN5aiter24add_rmsnorm_quant_kernelIDF16_aLi128ELi8ELb0ELb1ELb0ELi1EEEvPT0_PT_PfS4_S4_S4_diiiiiiib ; -- Begin function _ZN5aiter24add_rmsnorm_quant_kernelIDF16_aLi128ELi8ELb0ELb1ELb0ELi1EEEvPT0_PT_PfS4_S4_S4_diiiiiiib
	.globl	_ZN5aiter24add_rmsnorm_quant_kernelIDF16_aLi128ELi8ELb0ELb1ELb0ELi1EEEvPT0_PT_PfS4_S4_S4_diiiiiiib
	.p2align	8
	.type	_ZN5aiter24add_rmsnorm_quant_kernelIDF16_aLi128ELi8ELb0ELb1ELb0ELi1EEEvPT0_PT_PfS4_S4_S4_diiiiiiib,@function
_ZN5aiter24add_rmsnorm_quant_kernelIDF16_aLi128ELi8ELb0ELb1ELb0ELi1EEEvPT0_PT_PfS4_S4_S4_diiiiiiib: ; @_ZN5aiter24add_rmsnorm_quant_kernelIDF16_aLi128ELi8ELb0ELb1ELb0ELi1EEEvPT0_PT_PfS4_S4_S4_diiiiiiib
; %bb.0:
	s_load_dwordx4 s[8:11], s[4:5], 0x38
	s_mov_b32 s7, 0
	s_waitcnt lgkmcnt(0)
	s_ashr_i32 s0, s8, 31
	v_mov_b32_e32 v2, s8
	v_mov_b32_e32 v3, s0
	v_cmp_ge_i64_e32 vcc, s[6:7], v[2:3]
	s_cbranch_vccnz .LBB95_49
; %bb.1:
	s_load_dwordx4 s[12:15], s[4:5], 0x10
	s_load_dwordx4 s[0:3], s[4:5], 0x28
	s_ashr_i32 s11, s10, 31
	s_mul_hi_u32 s16, s10, s6
	s_mul_i32 s11, s11, s6
	s_add_i32 s11, s16, s11
	s_mul_i32 s10, s10, s6
	s_lshl_b64 s[10:11], s[10:11], 1
	s_waitcnt lgkmcnt(0)
	s_add_u32 s16, s14, s10
	s_addc_u32 s10, s15, s11
	s_add_i32 s11, s9, 1
	s_lshr_b32 s14, s11, 31
	s_add_i32 s11, s11, s14
	s_lshl_b32 s11, s11, 1
	s_and_b32 s18, s11, -4
	s_and_b32 s17, s10, 0xffff
	s_mov_b32 s19, 0x20000
	v_lshlrev_b32_e32 v1, 4, v0
	buffer_load_dwordx4 v[14:17], v1, s[16:19], 0 offen glc slc
	s_mov_b32 s16, s0
	s_and_b32 s17, s1, 0xffff
	buffer_load_dwordx4 v[2:5], v1, s[16:19], 0 offen
	v_and_b32_e32 v22, 63, v0
	v_cmp_eq_u32_e64 s[0:1], 63, v22
	s_waitcnt vmcnt(1)
	v_cvt_f32_f16_e32 v12, v14
	v_cvt_f32_f16_sdwa v13, v14 dst_sel:DWORD dst_unused:UNUSED_PAD src0_sel:WORD_1
	v_cvt_f32_f16_e32 v10, v15
	v_cvt_f32_f16_sdwa v11, v15 dst_sel:DWORD dst_unused:UNUSED_PAD src0_sel:WORD_1
	v_cvt_f32_f16_e32 v8, v16
	v_cvt_f32_f16_sdwa v9, v16 dst_sel:DWORD dst_unused:UNUSED_PAD src0_sel:WORD_1
	v_pk_mul_f32 v[14:15], v[12:13], v[12:13]
	v_cvt_f32_f16_e32 v6, v17
	v_cvt_f32_f16_sdwa v7, v17 dst_sel:DWORD dst_unused:UNUSED_PAD src0_sel:WORD_1
	v_pk_mul_f32 v[16:17], v[10:11], v[10:11]
	v_add_f32_e32 v1, v14, v15
	v_add_f32_e32 v1, v16, v1
	v_pk_mul_f32 v[18:19], v[8:9], v[8:9]
	v_add_f32_e32 v1, v17, v1
	v_add_f32_e32 v1, v18, v1
	;; [unrolled: 3-line block ×3, first 2 shown]
	v_add_f32_e32 v1, v21, v1
	s_nop 1
	v_mov_b32_dpp v14, v1 quad_perm:[1,0,3,2] row_mask:0xf bank_mask:0xf
	v_add_f32_e32 v1, v1, v14
	s_nop 1
	v_mov_b32_dpp v14, v1 quad_perm:[2,3,0,1] row_mask:0xf bank_mask:0xf
	v_add_f32_e32 v1, v1, v14
	s_nop 1
	v_mov_b32_dpp v14, v1 row_half_mirror row_mask:0xf bank_mask:0xf
	v_add_f32_e32 v1, v1, v14
	s_nop 1
	v_mov_b32_dpp v14, v1 row_mirror row_mask:0xf bank_mask:0xf
	v_add_f32_e32 v1, v1, v14
	s_nop 1
	v_mov_b32_dpp v14, v1 row_bcast:15 row_mask:0xf bank_mask:0xf
	v_add_f32_e32 v1, v1, v14
	s_nop 1
	v_mov_b32_dpp v14, v1 row_bcast:31 row_mask:0xf bank_mask:0xf
	s_and_saveexec_b64 s[10:11], s[0:1]
	s_cbranch_execz .LBB95_3
; %bb.2:
	v_lshrrev_b32_e32 v15, 4, v0
	v_and_b32_e32 v15, 60, v15
	v_add_f32_e32 v1, v1, v14
	ds_write_b32 v15, v1 offset:8
.LBB95_3:
	s_or_b64 exec, exec, s[10:11]
	v_and_b32_e32 v1, 1, v0
	v_lshlrev_b32_e32 v14, 2, v1
	s_waitcnt lgkmcnt(0)
	s_barrier
	ds_read_b32 v1, v14 offset:8
	v_cvt_f32_i32_e32 v15, s9
	s_waitcnt vmcnt(0)
	v_cvt_f32_f16_sdwa v21, v3 dst_sel:DWORD dst_unused:UNUSED_PAD src0_sel:WORD_1
	v_cvt_f32_f16_sdwa v23, v5 dst_sel:DWORD dst_unused:UNUSED_PAD src0_sel:WORD_1
	v_cvt_f32_f16_e32 v22, v5
	s_waitcnt lgkmcnt(0)
	v_mov_b32_dpp v16, v1 quad_perm:[1,0,3,2] row_mask:0xf bank_mask:0xf
	v_add_f32_e32 v1, v1, v16
	v_div_scale_f32 v16, s[10:11], v15, v15, v1
	v_rcp_f32_e32 v17, v16
	v_div_scale_f32 v18, vcc, v1, v15, v1
	s_load_dwordx2 s[10:11], s[4:5], 0x4c
	s_load_dword s14, s[4:5], 0x54
	v_fma_f32 v19, -v16, v17, 1.0
	v_fmac_f32_e32 v17, v19, v17
	v_mul_f32_e32 v19, v18, v17
	v_fma_f32 v20, -v16, v19, v18
	v_fmac_f32_e32 v19, v20, v17
	v_fma_f32 v16, -v16, v19, v18
	v_div_fmas_f32 v16, v16, v17, v19
	v_div_fixup_f32 v1, v16, v15, v1
	v_cvt_f64_f32_e32 v[16:17], v1
	v_add_f64 v[16:17], v[16:17], s[2:3]
	v_cvt_f32_f64_e32 v1, v[16:17]
	s_mov_b32 s2, 0x800000
	v_mul_f32_e32 v15, 0x4b800000, v1
	v_cmp_gt_f32_e32 vcc, s2, v1
	v_cndmask_b32_e32 v1, v1, v15, vcc
	v_rsq_f32_e32 v15, v1
	v_cvt_f32_f16_e32 v20, v3
	v_cvt_f32_f16_sdwa v3, v4 dst_sel:DWORD dst_unused:UNUSED_PAD src0_sel:WORD_1
	v_lshlrev_b32_e32 v1, 3, v0
	v_mul_f32_e32 v16, 0x45800000, v15
	v_cndmask_b32_e32 v16, v15, v16, vcc
	v_mov_b32_e32 v17, v16
	;;#ASMSTART
	v_pk_mul_f32 v[12:13], v[12:13], v[16:17]
	;;#ASMEND
	;;#ASMSTART
	v_pk_mul_f32 v[10:11], v[10:11], v[16:17]
	;;#ASMEND
	;; [unrolled: 3-line block ×4, first 2 shown]
	v_cvt_f32_f16_sdwa v7, v2 dst_sel:DWORD dst_unused:UNUSED_PAD src0_sel:WORD_1
	v_cvt_f32_f16_e32 v6, v2
	v_cvt_f32_f16_e32 v2, v4
	;;#ASMSTART
	v_pk_mul_f32 v[8:9], v[12:13], v[6:7]
	;;#ASMEND
	;;#ASMSTART
	v_pk_mul_f32 v[6:7], v[10:11], v[20:21]
	;;#ASMEND
	v_and_b32_e32 v10, 0x7fffffff, v8
	v_mov_b32_e32 v12, 0x2edbe6ff
	;;#ASMSTART
	v_pk_mul_f32 v[4:5], v[18:19], v[2:3]
	;;#ASMEND
	;;#ASMSTART
	v_pk_mul_f32 v[2:3], v[16:17], v[22:23]
	;;#ASMEND
	v_and_b32_e32 v11, 0x7fffffff, v9
	;;#ASMSTART
	v_max3_f32 v10, v12, v10, v11

	;;#ASMEND
	v_and_b32_e32 v12, 0x7fffffff, v7
	v_and_b32_e32 v11, 0x7fffffff, v6
	;;#ASMSTART
	v_max3_f32 v10, v10, v11, v12

	;;#ASMEND
	v_and_b32_e32 v12, 0x7fffffff, v5
	;; [unrolled: 6-line block ×3, first 2 shown]
	s_waitcnt lgkmcnt(0)
	s_cmp_lg_u32 s11, 0
	v_and_b32_e32 v11, 0x7fffffff, v2
	;;#ASMSTART
	v_max3_f32 v12, v10, v11, v12

	;;#ASMEND
	s_cbranch_scc0 .LBB95_10
; %bb.4:
	s_ashr_i32 s15, s11, 31
	s_lshr_b32 s2, s15, 29
	s_add_i32 s2, s11, s2
	s_ashr_i32 s18, s2, 3
	s_cmp_lt_i32 s18, 16
	s_cbranch_scc1 .LBB95_11
; %bb.5:
	s_cmp_lt_i32 s18, 32
	s_cbranch_scc1 .LBB95_12
; %bb.6:
	;; [unrolled: 3-line block ×3, first 2 shown]
	s_cmp_eq_u32 s18, 64
	v_mov_b32_e32 v10, v12
	s_cbranch_scc0 .LBB95_9
; %bb.8:
	s_nop 0
	v_mov_b32_dpp v10, v12 quad_perm:[1,0,3,2] row_mask:0xf bank_mask:0xf
	v_cmp_gt_f32_e32 vcc, v12, v10
	v_cndmask_b32_e32 v10, v10, v12, vcc
	v_bfrev_b32_e32 v13, 0.5
	s_nop 0
	v_mov_b32_dpp v11, v10 quad_perm:[2,3,0,1] row_mask:0xf bank_mask:0xf
	v_cmp_gt_f32_e32 vcc, v10, v11
	v_cndmask_b32_e32 v10, v11, v10, vcc
	s_nop 1
	v_mov_b32_dpp v11, v10 row_ror:4 row_mask:0xf bank_mask:0xf
	v_cmp_gt_f32_e32 vcc, v10, v11
	v_cndmask_b32_e32 v10, v11, v10, vcc
	s_nop 1
	v_mov_b32_dpp v11, v10 row_ror:8 row_mask:0xf bank_mask:0xf
	v_cmp_gt_f32_e32 vcc, v10, v11
	v_cndmask_b32_e32 v10, v11, v10, vcc
	s_nop 1
	v_mov_b32_dpp v11, v10 row_bcast:15 row_mask:0xf bank_mask:0xf
	v_cmp_gt_f32_e32 vcc, v10, v11
	v_cndmask_b32_e32 v10, v11, v10, vcc
	s_nop 1
	v_mov_b32_dpp v11, v10 row_bcast:31 row_mask:0xf bank_mask:0xf
	v_cmp_gt_f32_e32 vcc, v10, v11
	v_cndmask_b32_e32 v10, v11, v10, vcc
	v_mbcnt_lo_u32_b32 v11, -1, 0
	v_mbcnt_hi_u32_b32 v11, -1, v11
	v_lshl_or_b32 v11, v11, 2, v13
	ds_bpermute_b32 v10, v11, v10
.LBB95_9:
	s_mov_b64 s[2:3], 0
	s_branch .LBB95_14
.LBB95_10:
	s_mov_b64 s[2:3], 0
                                        ; implicit-def: $vgpr13
                                        ; implicit-def: $vgpr10_vgpr11
	s_cbranch_execnz .LBB95_43
	s_branch .LBB95_46
.LBB95_11:
                                        ; implicit-def: $vgpr10
	s_branch .LBB95_21
.LBB95_12:
                                        ; implicit-def: $vgpr10
	s_branch .LBB95_18
.LBB95_13:
	s_mov_b64 s[2:3], -1
                                        ; implicit-def: $vgpr10
.LBB95_14:
	s_andn2_b64 vcc, exec, s[2:3]
	s_cbranch_vccnz .LBB95_17
; %bb.15:
	s_cmp_eq_u32 s18, 32
	s_waitcnt lgkmcnt(0)
	v_mov_b32_e32 v10, v12
	s_cbranch_scc0 .LBB95_17
; %bb.16:
	s_nop 0
	v_mov_b32_dpp v10, v12 quad_perm:[1,0,3,2] row_mask:0xf bank_mask:0xf
	v_cmp_gt_f32_e32 vcc, v12, v10
	v_cndmask_b32_e32 v10, v10, v12, vcc
	v_mov_b32_e32 v13, 0x7c
	s_nop 0
	v_mov_b32_dpp v11, v10 quad_perm:[2,3,0,1] row_mask:0xf bank_mask:0xf
	v_cmp_gt_f32_e32 vcc, v10, v11
	v_cndmask_b32_e32 v10, v11, v10, vcc
	s_nop 1
	v_mov_b32_dpp v11, v10 row_half_mirror row_mask:0xf bank_mask:0xf
	v_cmp_gt_f32_e32 vcc, v10, v11
	v_cndmask_b32_e32 v10, v11, v10, vcc
	s_nop 1
	v_mov_b32_dpp v11, v10 row_mirror row_mask:0xf bank_mask:0xf
	v_cmp_gt_f32_e32 vcc, v10, v11
	v_cndmask_b32_e32 v10, v11, v10, vcc
	s_nop 1
	v_mov_b32_dpp v11, v10 row_bcast:15 row_mask:0xa bank_mask:0xf
	v_cmp_gt_f32_e32 vcc, v10, v11
	v_cndmask_b32_e32 v10, v11, v10, vcc
	v_mbcnt_lo_u32_b32 v11, -1, 0
	v_mbcnt_hi_u32_b32 v11, -1, v11
	v_lshl_or_b32 v11, v11, 2, v13
	ds_bpermute_b32 v10, v11, v10
.LBB95_17:
	s_cbranch_execnz .LBB95_20
.LBB95_18:
	s_cmp_eq_u32 s18, 16
	s_waitcnt lgkmcnt(0)
	v_mov_b32_e32 v10, v12
	s_cbranch_scc0 .LBB95_20
; %bb.19:
	s_nop 0
	v_mov_b32_dpp v10, v12 quad_perm:[1,0,3,2] row_mask:0xf bank_mask:0xf
	v_cmp_gt_f32_e32 vcc, v12, v10
	v_cndmask_b32_e32 v10, v10, v12, vcc
	s_nop 1
	v_mov_b32_dpp v11, v10 quad_perm:[2,3,0,1] row_mask:0xf bank_mask:0xf
	v_cmp_gt_f32_e32 vcc, v10, v11
	v_cndmask_b32_e32 v10, v11, v10, vcc
	s_nop 1
	v_mov_b32_dpp v11, v10 row_half_mirror row_mask:0xf bank_mask:0xf
	v_cmp_gt_f32_e32 vcc, v10, v11
	v_cndmask_b32_e32 v10, v11, v10, vcc
	s_nop 1
	v_mov_b32_dpp v11, v10 row_mirror row_mask:0xf bank_mask:0xf
	v_cmp_gt_f32_e32 vcc, v10, v11
	v_cndmask_b32_e32 v10, v11, v10, vcc
.LBB95_20:
	s_cbranch_execnz .LBB95_33
.LBB95_21:
	s_cmp_lt_i32 s18, 4
	s_cbranch_scc1 .LBB95_25
; %bb.22:
	s_cmp_lt_i32 s18, 8
	s_cbranch_scc1 .LBB95_26
; %bb.23:
	s_cmp_eq_u32 s18, 8
	s_waitcnt lgkmcnt(0)
	v_mov_b32_e32 v10, v12
	s_cbranch_scc0 .LBB95_27
; %bb.24:
	s_nop 0
	v_mov_b32_dpp v10, v12 quad_perm:[1,0,3,2] row_mask:0xf bank_mask:0xf
	v_cmp_gt_f32_e32 vcc, v12, v10
	v_cndmask_b32_e32 v10, v10, v12, vcc
	s_nop 1
	v_mov_b32_dpp v11, v10 quad_perm:[2,3,0,1] row_mask:0xf bank_mask:0xf
	v_cmp_gt_f32_e32 vcc, v10, v11
	v_cndmask_b32_e32 v10, v11, v10, vcc
	s_nop 1
	v_mov_b32_dpp v11, v10 row_half_mirror row_mask:0xf bank_mask:0xf
	v_cmp_gt_f32_e32 vcc, v10, v11
	v_cndmask_b32_e32 v10, v11, v10, vcc
	s_cbranch_execz .LBB95_28
	s_branch .LBB95_30
.LBB95_25:
                                        ; implicit-def: $vgpr10
	s_branch .LBB95_31
.LBB95_26:
                                        ; implicit-def: $vgpr10
	s_branch .LBB95_28
.LBB95_27:
	s_cbranch_execnz .LBB95_30
.LBB95_28:
	s_cmp_eq_u32 s18, 4
	s_waitcnt lgkmcnt(0)
	v_mov_b32_e32 v10, v12
	s_cbranch_scc0 .LBB95_30
; %bb.29:
	s_nop 0
	v_mov_b32_dpp v10, v12 quad_perm:[1,0,3,2] row_mask:0xf bank_mask:0xf
	v_cmp_gt_f32_e32 vcc, v12, v10
	v_cndmask_b32_e32 v10, v10, v12, vcc
	s_nop 1
	v_mov_b32_dpp v11, v10 quad_perm:[2,3,0,1] row_mask:0xf bank_mask:0xf
	v_cmp_gt_f32_e32 vcc, v10, v11
	v_cndmask_b32_e32 v10, v11, v10, vcc
.LBB95_30:
	s_cbranch_execnz .LBB95_33
.LBB95_31:
	s_cmp_lg_u32 s18, 2
	s_waitcnt lgkmcnt(0)
	v_mov_b32_e32 v10, v12
	s_cbranch_scc1 .LBB95_33
; %bb.32:
	s_nop 0
	v_mov_b32_dpp v10, v12 quad_perm:[1,0,3,2] row_mask:0xf bank_mask:0xf
	v_cmp_gt_f32_e32 vcc, v12, v10
	v_cndmask_b32_e32 v10, v10, v12, vcc
.LBB95_33:
	v_cvt_f32_u32_e32 v11, s18
	s_waitcnt lgkmcnt(0)
	v_mul_f32_e32 v13, 0x3c010204, v10
	s_sub_i32 s2, 0, s18
	v_cmp_gt_u32_e32 vcc, s9, v1
	v_rcp_iflag_f32_e32 v11, v11
	s_mov_b64 s[16:17], 0
	v_mul_f32_e32 v10, 0x4f7ffffe, v11
	v_cvt_u32_f32_e32 v10, v10
	v_mul_lo_u32 v11, s2, v10
	v_mul_hi_u32 v11, v10, v11
	v_add_u32_e32 v10, v10, v11
	v_mul_hi_u32 v10, v0, v10
	v_mul_lo_u32 v11, v10, s18
	v_sub_u32_e32 v11, v0, v11
	v_add_u32_e32 v15, 1, v10
	v_cmp_le_u32_e64 s[2:3], s18, v11
	v_cndmask_b32_e64 v10, v10, v15, s[2:3]
	v_subrev_u32_e32 v15, s18, v11
	v_cndmask_b32_e64 v11, v11, v15, s[2:3]
	v_add_u32_e32 v15, 1, v10
	v_cmp_le_u32_e64 s[2:3], s18, v11
	v_cndmask_b32_e64 v15, v10, v15, s[2:3]
	v_mul_lo_u32 v10, v15, s18
	v_sub_u32_e32 v10, v0, v10
	v_cmp_eq_u32_e64 s[2:3], 0, v10
	s_and_b64 s[18:19], s[2:3], vcc
	s_mov_b64 s[2:3], 0
                                        ; implicit-def: $vgpr10_vgpr11
	s_and_saveexec_b64 s[20:21], s[18:19]
	s_xor_b64 s[18:19], exec, s[20:21]
	s_cbranch_execz .LBB95_42
; %bb.34:
	s_bitcmp0_b32 s14, 0
	s_cbranch_scc0 .LBB95_39
; %bb.35:
	s_ashr_i32 s2, s9, 31
	s_mul_hi_u32 s3, s9, s6
	s_mul_i32 s2, s2, s6
	s_add_i32 s21, s3, s2
	s_mul_i32 s20, s9, s6
	s_mov_b32 s14, s11
	s_or_b64 s[2:3], s[20:21], s[14:15]
	s_mov_b32 s2, 0
	s_cmp_lg_u64 s[2:3], 0
	s_cbranch_scc0 .LBB95_50
; %bb.36:
	s_add_u32 s2, s14, s15
	s_mov_b32 s24, s15
	s_mov_b32 s25, s15
	s_addc_u32 s3, s15, s15
	s_xor_b64 s[26:27], s[2:3], s[24:25]
	v_cvt_f32_u32_e32 v10, s26
	v_cvt_f32_u32_e32 v11, s27
	s_sub_u32 s2, 0, s26
	s_subb_u32 s3, 0, s27
	v_madmk_f32 v10, v11, 0x4f800000, v10
	v_rcp_f32_e32 v10, v10
	v_mul_f32_e32 v10, 0x5f7ffffc, v10
	v_mul_f32_e32 v11, 0x2f800000, v10
	v_trunc_f32_e32 v11, v11
	v_madmk_f32 v10, v11, 0xcf800000, v10
	v_cvt_u32_f32_e32 v11, v11
	v_cvt_u32_f32_e32 v10, v10
	v_readfirstlane_b32 s11, v11
	v_readfirstlane_b32 s15, v10
	s_mul_i32 s28, s2, s11
	s_mul_hi_u32 s30, s2, s15
	s_mul_i32 s29, s3, s15
	s_add_i32 s28, s30, s28
	s_add_i32 s28, s28, s29
	s_mul_i32 s31, s2, s15
	s_mul_hi_u32 s29, s15, s28
	s_mul_i32 s30, s15, s28
	s_mul_hi_u32 s15, s15, s31
	s_add_u32 s15, s15, s30
	s_addc_u32 s29, 0, s29
	s_mul_hi_u32 s33, s11, s31
	s_mul_i32 s31, s11, s31
	s_add_u32 s15, s15, s31
	s_mul_hi_u32 s30, s11, s28
	s_addc_u32 s15, s29, s33
	s_addc_u32 s29, s30, 0
	s_mul_i32 s28, s11, s28
	s_add_u32 s15, s15, s28
	s_addc_u32 s28, 0, s29
	v_add_co_u32_e32 v10, vcc, s15, v10
	s_cmp_lg_u64 vcc, 0
	s_addc_u32 s11, s11, s28
	v_readfirstlane_b32 s28, v10
	s_mul_i32 s15, s2, s11
	s_mul_hi_u32 s29, s2, s28
	s_add_i32 s15, s29, s15
	s_mul_i32 s3, s3, s28
	s_add_i32 s15, s15, s3
	s_mul_i32 s2, s2, s28
	s_mul_hi_u32 s29, s11, s2
	s_mul_i32 s30, s11, s2
	s_mul_i32 s33, s28, s15
	s_mul_hi_u32 s2, s28, s2
	s_mul_hi_u32 s31, s28, s15
	s_add_u32 s2, s2, s33
	s_addc_u32 s28, 0, s31
	s_add_u32 s2, s2, s30
	s_mul_hi_u32 s3, s11, s15
	s_addc_u32 s2, s28, s29
	s_addc_u32 s3, s3, 0
	s_mul_i32 s15, s11, s15
	s_add_u32 s2, s2, s15
	s_addc_u32 s3, 0, s3
	v_add_co_u32_e32 v10, vcc, s2, v10
	s_cmp_lg_u64 vcc, 0
	s_addc_u32 s11, s11, s3
	s_ashr_i32 s28, s21, 31
	s_add_u32 s2, s20, s28
	s_mov_b32 s29, s28
	s_addc_u32 s3, s21, s28
	s_xor_b64 s[30:31], s[2:3], s[28:29]
	v_readfirstlane_b32 s15, v10
	s_mul_i32 s3, s30, s11
	s_mul_hi_u32 s21, s30, s15
	s_mul_hi_u32 s2, s30, s11
	s_add_u32 s3, s21, s3
	s_addc_u32 s2, 0, s2
	s_mul_hi_u32 s33, s31, s15
	s_mul_i32 s15, s31, s15
	s_add_u32 s3, s3, s15
	s_mul_hi_u32 s21, s31, s11
	s_addc_u32 s2, s2, s33
	s_addc_u32 s3, s21, 0
	s_mul_i32 s11, s31, s11
	s_add_u32 s11, s2, s11
	s_addc_u32 s15, 0, s3
	s_mul_i32 s2, s26, s15
	s_mul_hi_u32 s3, s26, s11
	s_add_i32 s2, s3, s2
	s_mul_i32 s3, s27, s11
	s_add_i32 s21, s2, s3
	s_mul_i32 s3, s26, s11
	v_mov_b32_e32 v10, s3
	s_sub_i32 s2, s31, s21
	v_sub_co_u32_e32 v10, vcc, s30, v10
	s_cmp_lg_u64 vcc, 0
	s_subb_u32 s30, s2, s27
	v_subrev_co_u32_e64 v11, s[2:3], s26, v10
	s_cmp_lg_u64 s[2:3], 0
	s_subb_u32 s30, s30, 0
	s_cmp_ge_u32 s30, s27
	s_cselect_b32 s33, -1, 0
	v_cmp_le_u32_e64 s[2:3], s26, v11
	s_cmp_eq_u32 s30, s27
	v_cndmask_b32_e64 v11, 0, -1, s[2:3]
	v_mov_b32_e32 v16, s33
	s_cselect_b64 s[2:3], -1, 0
	v_cndmask_b32_e64 v11, v16, v11, s[2:3]
	s_add_u32 s2, s11, 1
	s_addc_u32 s30, s15, 0
	s_add_u32 s3, s11, 2
	s_addc_u32 s33, s15, 0
	v_mov_b32_e32 v16, s2
	v_mov_b32_e32 v17, s3
	v_cmp_ne_u32_e64 s[2:3], 0, v11
	v_cndmask_b32_e64 v11, v16, v17, s[2:3]
	v_mov_b32_e32 v16, s30
	v_mov_b32_e32 v17, s33
	s_cmp_lg_u64 vcc, 0
	v_cndmask_b32_e64 v16, v16, v17, s[2:3]
	s_subb_u32 s2, s31, s21
	s_cmp_ge_u32 s2, s27
	s_cselect_b32 s3, -1, 0
	v_cmp_le_u32_e32 vcc, s26, v10
	s_cmp_eq_u32 s2, s27
	v_cndmask_b32_e64 v10, 0, -1, vcc
	v_mov_b32_e32 v17, s3
	s_cselect_b64 vcc, -1, 0
	v_cndmask_b32_e32 v10, v17, v10, vcc
	v_mov_b32_e32 v17, s15
	v_cmp_ne_u32_e32 vcc, 0, v10
	v_cndmask_b32_e32 v10, v17, v16, vcc
	v_mov_b32_e32 v16, s11
	v_cndmask_b32_e32 v11, v16, v11, vcc
	s_xor_b64 s[2:3], s[28:29], s[24:25]
	v_xor_b32_e32 v11, s2, v11
	v_xor_b32_e32 v16, s3, v10
	v_mov_b32_e32 v17, s3
	v_subrev_co_u32_e32 v10, vcc, s2, v11
	v_subb_co_u32_e32 v11, vcc, v16, v17, vcc
	s_cbranch_execnz .LBB95_38
.LBB95_37:
	v_cvt_f32_u32_e32 v10, s14
	s_sub_i32 s2, 0, s14
	s_mov_b32 s3, 0
	v_rcp_iflag_f32_e32 v10, v10
	v_mul_f32_e32 v10, 0x4f7ffffe, v10
	v_cvt_u32_f32_e32 v10, v10
	v_readfirstlane_b32 s11, v10
	s_mul_i32 s2, s2, s11
	s_mul_hi_u32 s2, s11, s2
	s_add_i32 s11, s11, s2
	s_mul_hi_u32 s2, s20, s11
	s_mul_i32 s15, s2, s14
	s_sub_i32 s15, s20, s15
	s_add_i32 s11, s2, 1
	s_sub_i32 s20, s15, s14
	s_cmp_ge_u32 s15, s14
	s_cselect_b32 s2, s11, s2
	s_cselect_b32 s15, s20, s15
	s_add_i32 s11, s2, 1
	s_cmp_ge_u32 s15, s14
	s_cselect_b32 s2, s11, s2
	v_pk_mov_b32 v[10:11], s[2:3], s[2:3] op_sel:[0,1]
.LBB95_38:
	v_add_co_u32_e32 v10, vcc, v10, v15
	v_addc_co_u32_e32 v11, vcc, 0, v11, vcc
	s_branch .LBB95_41
.LBB95_39:
                                        ; implicit-def: $vgpr10_vgpr11
	s_cbranch_execz .LBB95_41
; %bb.40:
	v_mul_lo_u32 v10, v15, s8
	v_ashrrev_i32_e32 v11, 31, v10
	v_mov_b32_e32 v15, s7
	v_add_co_u32_e32 v10, vcc, s6, v10
	v_addc_co_u32_e32 v11, vcc, v11, v15, vcc
.LBB95_41:
	s_mov_b64 s[2:3], exec
.LBB95_42:
	s_or_b64 exec, exec, s[18:19]
	s_and_b64 vcc, exec, s[16:17]
	s_cbranch_vccz .LBB95_46
.LBB95_43:
	v_mov_b32_dpp v10, v12 quad_perm:[1,0,3,2] row_mask:0xf bank_mask:0xf
	v_cmp_gt_f32_e32 vcc, v12, v10
	v_cndmask_b32_e32 v10, v10, v12, vcc
	s_nop 1
	v_mov_b32_dpp v11, v10 quad_perm:[2,3,0,1] row_mask:0xf bank_mask:0xf
	v_cmp_gt_f32_e32 vcc, v10, v11
	v_cndmask_b32_e32 v10, v11, v10, vcc
	s_nop 1
	v_mov_b32_dpp v11, v10 row_half_mirror row_mask:0xf bank_mask:0xf
	v_cmp_gt_f32_e32 vcc, v10, v11
	v_cndmask_b32_e32 v10, v11, v10, vcc
	s_nop 1
	v_mov_b32_dpp v11, v10 row_mirror row_mask:0xf bank_mask:0xf
	v_cmp_gt_f32_e32 vcc, v10, v11
	v_cndmask_b32_e32 v10, v11, v10, vcc
	s_nop 1
	v_mov_b32_dpp v11, v10 row_bcast:15 row_mask:0xf bank_mask:0xf
	v_cmp_gt_f32_e32 vcc, v10, v11
	v_cndmask_b32_e32 v10, v11, v10, vcc
	s_nop 1
	v_mov_b32_dpp v11, v10 row_bcast:31 row_mask:0xf bank_mask:0xf
	s_and_saveexec_b64 s[2:3], s[0:1]
	s_cbranch_execz .LBB95_45
; %bb.44:
	v_lshrrev_b32_e32 v12, 4, v0
	v_cmp_gt_f32_e32 vcc, v10, v11
	v_and_b32_e32 v12, 60, v12
	v_cndmask_b32_e32 v10, v11, v10, vcc
	ds_write_b32 v12, v10
.LBB95_45:
	s_or_b64 exec, exec, s[2:3]
	s_waitcnt lgkmcnt(0)
	s_barrier
	ds_read_b32 v10, v14
	v_cmp_eq_u32_e64 s[2:3], 0, v0
	s_waitcnt lgkmcnt(0)
	v_mov_b32_dpp v11, v10 quad_perm:[1,0,3,2] row_mask:0xf bank_mask:0xf
	v_cmp_gt_f32_e32 vcc, v10, v11
	v_cndmask_b32_e32 v10, v11, v10, vcc
	v_mul_f32_e32 v13, 0x3c010204, v10
	v_pk_mov_b32 v[10:11], s[6:7], s[6:7] op_sel:[0,1]
.LBB95_46:
	s_and_saveexec_b64 s[0:1], s[2:3]
	s_cbranch_execz .LBB95_48
; %bb.47:
	v_lshlrev_b64 v[10:11], 2, v[10:11]
	v_mov_b32_e32 v0, s13
	v_add_co_u32_e32 v10, vcc, s12, v10
	v_addc_co_u32_e32 v11, vcc, v0, v11, vcc
	global_store_dword v[10:11], v13, off
.LBB95_48:
	s_or_b64 exec, exec, s[0:1]
	s_add_i32 s2, s9, 3
	s_load_dwordx2 s[0:1], s[4:5], 0x0
	s_ashr_i32 s3, s2, 31
	;;#ASMSTART
	v_rcp_f32 v10, v13
	;;#ASMEND
	v_mov_b32_e32 v11, v10
	;;#ASMSTART
	v_pk_mul_f32 v[8:9], v[8:9], v[10:11]
	;;#ASMEND
	;;#ASMSTART
	v_pk_mul_f32 v[6:7], v[6:7], v[10:11]
	;;#ASMEND
	s_lshr_b32 s3, s3, 30
	v_cvt_i32_f32_e32 v0, v8
	v_cvt_i32_f32_sdwa v8, v9 dst_sel:BYTE_1 dst_unused:UNUSED_PAD src0_sel:DWORD
	v_cvt_i32_f32_e32 v6, v6
	v_cvt_i32_f32_sdwa v7, v7 dst_sel:BYTE_1 dst_unused:UNUSED_PAD src0_sel:DWORD
	;;#ASMSTART
	v_pk_mul_f32 v[4:5], v[4:5], v[10:11]
	;;#ASMEND
	;;#ASMSTART
	v_pk_mul_f32 v[2:3], v[2:3], v[10:11]
	;;#ASMEND
	s_add_i32 s2, s2, s3
	s_ashr_i32 s3, s10, 31
	v_cvt_i32_f32_e32 v4, v4
	v_cvt_i32_f32_sdwa v5, v5 dst_sel:BYTE_1 dst_unused:UNUSED_PAD src0_sel:DWORD
	v_cvt_i32_f32_e32 v9, v2
	v_cvt_i32_f32_sdwa v3, v3 dst_sel:BYTE_1 dst_unused:UNUSED_PAD src0_sel:DWORD
	s_mul_hi_u32 s4, s10, s6
	s_mul_i32 s3, s3, s6
	s_and_b32 s2, s2, -4
	s_add_i32 s4, s4, s3
	s_mul_i32 s3, s10, s6
	s_waitcnt lgkmcnt(0)
	s_add_u32 s0, s0, s3
	v_or_b32_sdwa v0, v0, v8 dst_sel:DWORD dst_unused:UNUSED_PAD src0_sel:BYTE_0 src1_sel:DWORD
	v_or_b32_sdwa v2, v6, v7 dst_sel:WORD_1 dst_unused:UNUSED_PAD src0_sel:BYTE_0 src1_sel:DWORD
	s_addc_u32 s1, s1, s4
	v_or_b32_sdwa v2, v0, v2 dst_sel:DWORD dst_unused:UNUSED_PAD src0_sel:WORD_0 src1_sel:DWORD
	v_or_b32_sdwa v0, v4, v5 dst_sel:DWORD dst_unused:UNUSED_PAD src0_sel:BYTE_0 src1_sel:DWORD
	v_or_b32_sdwa v3, v9, v3 dst_sel:WORD_1 dst_unused:UNUSED_PAD src0_sel:BYTE_0 src1_sel:DWORD
	s_and_b32 s1, s1, 0xffff
	s_mov_b32 s3, 0x20000
	v_or_b32_sdwa v3, v0, v3 dst_sel:DWORD dst_unused:UNUSED_PAD src0_sel:WORD_0 src1_sel:DWORD
	buffer_store_dwordx2 v[2:3], v1, s[0:3], 0 offen
	;;#ASMSTART
	s_nop 0
	;;#ASMEND
.LBB95_49:
	s_endpgm
.LBB95_50:
                                        ; implicit-def: $vgpr10_vgpr11
	s_branch .LBB95_37
	.section	.rodata,"a",@progbits
	.p2align	6, 0x0
	.amdhsa_kernel _ZN5aiter24add_rmsnorm_quant_kernelIDF16_aLi128ELi8ELb0ELb1ELb0ELi1EEEvPT0_PT_PfS4_S4_S4_diiiiiiib
		.amdhsa_group_segment_fixed_size 16
		.amdhsa_private_segment_fixed_size 0
		.amdhsa_kernarg_size 88
		.amdhsa_user_sgpr_count 6
		.amdhsa_user_sgpr_private_segment_buffer 1
		.amdhsa_user_sgpr_dispatch_ptr 0
		.amdhsa_user_sgpr_queue_ptr 0
		.amdhsa_user_sgpr_kernarg_segment_ptr 1
		.amdhsa_user_sgpr_dispatch_id 0
		.amdhsa_user_sgpr_flat_scratch_init 0
		.amdhsa_user_sgpr_kernarg_preload_length 0
		.amdhsa_user_sgpr_kernarg_preload_offset 0
		.amdhsa_user_sgpr_private_segment_size 0
		.amdhsa_uses_dynamic_stack 0
		.amdhsa_system_sgpr_private_segment_wavefront_offset 0
		.amdhsa_system_sgpr_workgroup_id_x 1
		.amdhsa_system_sgpr_workgroup_id_y 0
		.amdhsa_system_sgpr_workgroup_id_z 0
		.amdhsa_system_sgpr_workgroup_info 0
		.amdhsa_system_vgpr_workitem_id 0
		.amdhsa_next_free_vgpr 24
		.amdhsa_next_free_sgpr 34
		.amdhsa_accum_offset 24
		.amdhsa_reserve_vcc 1
		.amdhsa_reserve_flat_scratch 0
		.amdhsa_float_round_mode_32 0
		.amdhsa_float_round_mode_16_64 0
		.amdhsa_float_denorm_mode_32 3
		.amdhsa_float_denorm_mode_16_64 3
		.amdhsa_dx10_clamp 1
		.amdhsa_ieee_mode 1
		.amdhsa_fp16_overflow 0
		.amdhsa_tg_split 0
		.amdhsa_exception_fp_ieee_invalid_op 0
		.amdhsa_exception_fp_denorm_src 0
		.amdhsa_exception_fp_ieee_div_zero 0
		.amdhsa_exception_fp_ieee_overflow 0
		.amdhsa_exception_fp_ieee_underflow 0
		.amdhsa_exception_fp_ieee_inexact 0
		.amdhsa_exception_int_div_zero 0
	.end_amdhsa_kernel
	.section	.text._ZN5aiter24add_rmsnorm_quant_kernelIDF16_aLi128ELi8ELb0ELb1ELb0ELi1EEEvPT0_PT_PfS4_S4_S4_diiiiiiib,"axG",@progbits,_ZN5aiter24add_rmsnorm_quant_kernelIDF16_aLi128ELi8ELb0ELb1ELb0ELi1EEEvPT0_PT_PfS4_S4_S4_diiiiiiib,comdat
.Lfunc_end95:
	.size	_ZN5aiter24add_rmsnorm_quant_kernelIDF16_aLi128ELi8ELb0ELb1ELb0ELi1EEEvPT0_PT_PfS4_S4_S4_diiiiiiib, .Lfunc_end95-_ZN5aiter24add_rmsnorm_quant_kernelIDF16_aLi128ELi8ELb0ELb1ELb0ELi1EEEvPT0_PT_PfS4_S4_S4_diiiiiiib
                                        ; -- End function
	.section	.AMDGPU.csdata,"",@progbits
; Kernel info:
; codeLenInByte = 3028
; NumSgprs: 38
; NumVgprs: 24
; NumAgprs: 0
; TotalNumVgprs: 24
; ScratchSize: 0
; MemoryBound: 0
; FloatMode: 240
; IeeeMode: 1
; LDSByteSize: 16 bytes/workgroup (compile time only)
; SGPRBlocks: 4
; VGPRBlocks: 2
; NumSGPRsForWavesPerEU: 38
; NumVGPRsForWavesPerEU: 24
; AccumOffset: 24
; Occupancy: 8
; WaveLimiterHint : 0
; COMPUTE_PGM_RSRC2:SCRATCH_EN: 0
; COMPUTE_PGM_RSRC2:USER_SGPR: 6
; COMPUTE_PGM_RSRC2:TRAP_HANDLER: 0
; COMPUTE_PGM_RSRC2:TGID_X_EN: 1
; COMPUTE_PGM_RSRC2:TGID_Y_EN: 0
; COMPUTE_PGM_RSRC2:TGID_Z_EN: 0
; COMPUTE_PGM_RSRC2:TIDIG_COMP_CNT: 0
; COMPUTE_PGM_RSRC3_GFX90A:ACCUM_OFFSET: 5
; COMPUTE_PGM_RSRC3_GFX90A:TG_SPLIT: 0
	.section	.text._ZN5aiter24add_rmsnorm_quant_kernelItaLi128ELi8ELb0ELb1ELb0ELi1EEEvPT0_PT_PfS4_S4_S4_diiiiiiib,"axG",@progbits,_ZN5aiter24add_rmsnorm_quant_kernelItaLi128ELi8ELb0ELb1ELb0ELi1EEEvPT0_PT_PfS4_S4_S4_diiiiiiib,comdat
	.protected	_ZN5aiter24add_rmsnorm_quant_kernelItaLi128ELi8ELb0ELb1ELb0ELi1EEEvPT0_PT_PfS4_S4_S4_diiiiiiib ; -- Begin function _ZN5aiter24add_rmsnorm_quant_kernelItaLi128ELi8ELb0ELb1ELb0ELi1EEEvPT0_PT_PfS4_S4_S4_diiiiiiib
	.globl	_ZN5aiter24add_rmsnorm_quant_kernelItaLi128ELi8ELb0ELb1ELb0ELi1EEEvPT0_PT_PfS4_S4_S4_diiiiiiib
	.p2align	8
	.type	_ZN5aiter24add_rmsnorm_quant_kernelItaLi128ELi8ELb0ELb1ELb0ELi1EEEvPT0_PT_PfS4_S4_S4_diiiiiiib,@function
_ZN5aiter24add_rmsnorm_quant_kernelItaLi128ELi8ELb0ELb1ELb0ELi1EEEvPT0_PT_PfS4_S4_S4_diiiiiiib: ; @_ZN5aiter24add_rmsnorm_quant_kernelItaLi128ELi8ELb0ELb1ELb0ELi1EEEvPT0_PT_PfS4_S4_S4_diiiiiiib
; %bb.0:
	s_load_dwordx4 s[8:11], s[4:5], 0x38
	s_mov_b32 s7, 0
	s_waitcnt lgkmcnt(0)
	s_ashr_i32 s0, s8, 31
	v_mov_b32_e32 v2, s8
	v_mov_b32_e32 v3, s0
	v_cmp_ge_i64_e32 vcc, s[6:7], v[2:3]
	s_cbranch_vccnz .LBB96_49
; %bb.1:
	s_load_dwordx4 s[12:15], s[4:5], 0x10
	s_load_dwordx4 s[0:3], s[4:5], 0x28
	s_ashr_i32 s11, s10, 31
	s_mul_hi_u32 s16, s10, s6
	s_mul_i32 s11, s11, s6
	s_add_i32 s11, s16, s11
	s_mul_i32 s10, s10, s6
	s_lshl_b64 s[10:11], s[10:11], 1
	s_waitcnt lgkmcnt(0)
	s_add_u32 s16, s14, s10
	s_addc_u32 s10, s15, s11
	s_add_i32 s11, s9, 1
	s_lshr_b32 s14, s11, 31
	s_add_i32 s11, s11, s14
	s_lshl_b32 s11, s11, 1
	s_and_b32 s18, s11, -4
	s_and_b32 s17, s10, 0xffff
	s_mov_b32 s19, 0x20000
	v_lshlrev_b32_e32 v1, 4, v0
	buffer_load_dwordx4 v[14:17], v1, s[16:19], 0 offen glc slc
	s_mov_b32 s16, s0
	s_and_b32 s17, s1, 0xffff
	buffer_load_dwordx4 v[2:5], v1, s[16:19], 0 offen
	v_and_b32_e32 v22, 63, v0
	v_cmp_eq_u32_e64 s[0:1], 63, v22
	s_waitcnt vmcnt(1)
	v_cvt_f32_u32_sdwa v13, v14 dst_sel:DWORD dst_unused:UNUSED_PAD src0_sel:WORD_1
	v_cvt_f32_u32_sdwa v12, v14 dst_sel:DWORD dst_unused:UNUSED_PAD src0_sel:WORD_0
	v_cvt_f32_u32_sdwa v11, v15 dst_sel:DWORD dst_unused:UNUSED_PAD src0_sel:WORD_1
	v_cvt_f32_u32_sdwa v10, v15 dst_sel:DWORD dst_unused:UNUSED_PAD src0_sel:WORD_0
	;; [unrolled: 2-line block ×3, first 2 shown]
	v_pk_mul_f32 v[14:15], v[12:13], v[12:13]
	v_cvt_f32_u32_sdwa v7, v17 dst_sel:DWORD dst_unused:UNUSED_PAD src0_sel:WORD_1
	v_cvt_f32_u32_sdwa v6, v17 dst_sel:DWORD dst_unused:UNUSED_PAD src0_sel:WORD_0
	v_pk_mul_f32 v[16:17], v[10:11], v[10:11]
	v_add_f32_e32 v1, v14, v15
	v_add_f32_e32 v1, v16, v1
	v_pk_mul_f32 v[18:19], v[8:9], v[8:9]
	v_add_f32_e32 v1, v17, v1
	v_add_f32_e32 v1, v18, v1
	;; [unrolled: 3-line block ×3, first 2 shown]
	v_add_f32_e32 v1, v21, v1
	s_nop 1
	v_mov_b32_dpp v14, v1 quad_perm:[1,0,3,2] row_mask:0xf bank_mask:0xf
	v_add_f32_e32 v1, v1, v14
	s_nop 1
	v_mov_b32_dpp v14, v1 quad_perm:[2,3,0,1] row_mask:0xf bank_mask:0xf
	v_add_f32_e32 v1, v1, v14
	s_nop 1
	v_mov_b32_dpp v14, v1 row_half_mirror row_mask:0xf bank_mask:0xf
	v_add_f32_e32 v1, v1, v14
	s_nop 1
	v_mov_b32_dpp v14, v1 row_mirror row_mask:0xf bank_mask:0xf
	v_add_f32_e32 v1, v1, v14
	s_nop 1
	v_mov_b32_dpp v14, v1 row_bcast:15 row_mask:0xf bank_mask:0xf
	v_add_f32_e32 v1, v1, v14
	s_nop 1
	v_mov_b32_dpp v14, v1 row_bcast:31 row_mask:0xf bank_mask:0xf
	s_and_saveexec_b64 s[10:11], s[0:1]
	s_cbranch_execz .LBB96_3
; %bb.2:
	v_lshrrev_b32_e32 v15, 4, v0
	v_and_b32_e32 v15, 60, v15
	v_add_f32_e32 v1, v1, v14
	ds_write_b32 v15, v1 offset:8
.LBB96_3:
	s_or_b64 exec, exec, s[10:11]
	v_and_b32_e32 v1, 1, v0
	v_lshlrev_b32_e32 v14, 2, v1
	s_waitcnt lgkmcnt(0)
	s_barrier
	ds_read_b32 v1, v14 offset:8
	v_cvt_f32_i32_e32 v15, s9
	s_waitcnt vmcnt(0)
	v_cvt_f32_u32_sdwa v21, v3 dst_sel:DWORD dst_unused:UNUSED_PAD src0_sel:WORD_1
	v_cvt_f32_u32_sdwa v23, v5 dst_sel:DWORD dst_unused:UNUSED_PAD src0_sel:WORD_1
	v_cvt_f32_u32_sdwa v22, v5 dst_sel:DWORD dst_unused:UNUSED_PAD src0_sel:WORD_0
	s_waitcnt lgkmcnt(0)
	v_mov_b32_dpp v16, v1 quad_perm:[1,0,3,2] row_mask:0xf bank_mask:0xf
	v_add_f32_e32 v1, v1, v16
	v_div_scale_f32 v16, s[10:11], v15, v15, v1
	v_rcp_f32_e32 v17, v16
	v_div_scale_f32 v18, vcc, v1, v15, v1
	s_load_dwordx2 s[10:11], s[4:5], 0x4c
	s_load_dword s14, s[4:5], 0x54
	v_fma_f32 v19, -v16, v17, 1.0
	v_fmac_f32_e32 v17, v19, v17
	v_mul_f32_e32 v19, v18, v17
	v_fma_f32 v20, -v16, v19, v18
	v_fmac_f32_e32 v19, v20, v17
	v_fma_f32 v16, -v16, v19, v18
	v_div_fmas_f32 v16, v16, v17, v19
	v_div_fixup_f32 v1, v16, v15, v1
	v_cvt_f64_f32_e32 v[16:17], v1
	v_add_f64 v[16:17], v[16:17], s[2:3]
	v_cvt_f32_f64_e32 v1, v[16:17]
	s_mov_b32 s2, 0x800000
	v_mul_f32_e32 v15, 0x4b800000, v1
	v_cmp_gt_f32_e32 vcc, s2, v1
	v_cndmask_b32_e32 v1, v1, v15, vcc
	v_rsq_f32_e32 v15, v1
	v_cvt_f32_u32_sdwa v20, v3 dst_sel:DWORD dst_unused:UNUSED_PAD src0_sel:WORD_0
	v_cvt_f32_u32_sdwa v3, v4 dst_sel:DWORD dst_unused:UNUSED_PAD src0_sel:WORD_1
	v_lshlrev_b32_e32 v1, 3, v0
	v_mul_f32_e32 v16, 0x45800000, v15
	v_cndmask_b32_e32 v16, v15, v16, vcc
	v_mov_b32_e32 v17, v16
	;;#ASMSTART
	v_pk_mul_f32 v[12:13], v[12:13], v[16:17]
	;;#ASMEND
	;;#ASMSTART
	v_pk_mul_f32 v[10:11], v[10:11], v[16:17]
	;;#ASMEND
	;; [unrolled: 3-line block ×4, first 2 shown]
	v_cvt_f32_u32_sdwa v7, v2 dst_sel:DWORD dst_unused:UNUSED_PAD src0_sel:WORD_1
	v_cvt_f32_u32_sdwa v6, v2 dst_sel:DWORD dst_unused:UNUSED_PAD src0_sel:WORD_0
	v_cvt_f32_u32_sdwa v2, v4 dst_sel:DWORD dst_unused:UNUSED_PAD src0_sel:WORD_0
	;;#ASMSTART
	v_pk_mul_f32 v[8:9], v[12:13], v[6:7]
	;;#ASMEND
	;;#ASMSTART
	v_pk_mul_f32 v[6:7], v[10:11], v[20:21]
	;;#ASMEND
	v_and_b32_e32 v10, 0x7fffffff, v8
	v_mov_b32_e32 v12, 0x2edbe6ff
	;;#ASMSTART
	v_pk_mul_f32 v[4:5], v[18:19], v[2:3]
	;;#ASMEND
	;;#ASMSTART
	v_pk_mul_f32 v[2:3], v[16:17], v[22:23]
	;;#ASMEND
	v_and_b32_e32 v11, 0x7fffffff, v9
	;;#ASMSTART
	v_max3_f32 v10, v12, v10, v11

	;;#ASMEND
	v_and_b32_e32 v12, 0x7fffffff, v7
	v_and_b32_e32 v11, 0x7fffffff, v6
	;;#ASMSTART
	v_max3_f32 v10, v10, v11, v12

	;;#ASMEND
	v_and_b32_e32 v12, 0x7fffffff, v5
	v_and_b32_e32 v11, 0x7fffffff, v4
	;;#ASMSTART
	v_max3_f32 v10, v10, v11, v12

	;;#ASMEND
	v_and_b32_e32 v12, 0x7fffffff, v3
	s_waitcnt lgkmcnt(0)
	s_cmp_lg_u32 s11, 0
	v_and_b32_e32 v11, 0x7fffffff, v2
	;;#ASMSTART
	v_max3_f32 v12, v10, v11, v12

	;;#ASMEND
	s_cbranch_scc0 .LBB96_10
; %bb.4:
	s_ashr_i32 s15, s11, 31
	s_lshr_b32 s2, s15, 29
	s_add_i32 s2, s11, s2
	s_ashr_i32 s18, s2, 3
	s_cmp_lt_i32 s18, 16
	s_cbranch_scc1 .LBB96_11
; %bb.5:
	s_cmp_lt_i32 s18, 32
	s_cbranch_scc1 .LBB96_12
; %bb.6:
	;; [unrolled: 3-line block ×3, first 2 shown]
	s_cmp_eq_u32 s18, 64
	v_mov_b32_e32 v10, v12
	s_cbranch_scc0 .LBB96_9
; %bb.8:
	s_nop 0
	v_mov_b32_dpp v10, v12 quad_perm:[1,0,3,2] row_mask:0xf bank_mask:0xf
	v_cmp_gt_f32_e32 vcc, v12, v10
	v_cndmask_b32_e32 v10, v10, v12, vcc
	v_bfrev_b32_e32 v13, 0.5
	s_nop 0
	v_mov_b32_dpp v11, v10 quad_perm:[2,3,0,1] row_mask:0xf bank_mask:0xf
	v_cmp_gt_f32_e32 vcc, v10, v11
	v_cndmask_b32_e32 v10, v11, v10, vcc
	s_nop 1
	v_mov_b32_dpp v11, v10 row_ror:4 row_mask:0xf bank_mask:0xf
	v_cmp_gt_f32_e32 vcc, v10, v11
	v_cndmask_b32_e32 v10, v11, v10, vcc
	s_nop 1
	v_mov_b32_dpp v11, v10 row_ror:8 row_mask:0xf bank_mask:0xf
	v_cmp_gt_f32_e32 vcc, v10, v11
	v_cndmask_b32_e32 v10, v11, v10, vcc
	s_nop 1
	v_mov_b32_dpp v11, v10 row_bcast:15 row_mask:0xf bank_mask:0xf
	v_cmp_gt_f32_e32 vcc, v10, v11
	v_cndmask_b32_e32 v10, v11, v10, vcc
	s_nop 1
	v_mov_b32_dpp v11, v10 row_bcast:31 row_mask:0xf bank_mask:0xf
	v_cmp_gt_f32_e32 vcc, v10, v11
	v_cndmask_b32_e32 v10, v11, v10, vcc
	v_mbcnt_lo_u32_b32 v11, -1, 0
	v_mbcnt_hi_u32_b32 v11, -1, v11
	v_lshl_or_b32 v11, v11, 2, v13
	ds_bpermute_b32 v10, v11, v10
.LBB96_9:
	s_mov_b64 s[2:3], 0
	s_branch .LBB96_14
.LBB96_10:
	s_mov_b64 s[2:3], 0
                                        ; implicit-def: $vgpr13
                                        ; implicit-def: $vgpr10_vgpr11
	s_cbranch_execnz .LBB96_43
	s_branch .LBB96_46
.LBB96_11:
                                        ; implicit-def: $vgpr10
	s_branch .LBB96_21
.LBB96_12:
                                        ; implicit-def: $vgpr10
	s_branch .LBB96_18
.LBB96_13:
	s_mov_b64 s[2:3], -1
                                        ; implicit-def: $vgpr10
.LBB96_14:
	s_andn2_b64 vcc, exec, s[2:3]
	s_cbranch_vccnz .LBB96_17
; %bb.15:
	s_cmp_eq_u32 s18, 32
	s_waitcnt lgkmcnt(0)
	v_mov_b32_e32 v10, v12
	s_cbranch_scc0 .LBB96_17
; %bb.16:
	s_nop 0
	v_mov_b32_dpp v10, v12 quad_perm:[1,0,3,2] row_mask:0xf bank_mask:0xf
	v_cmp_gt_f32_e32 vcc, v12, v10
	v_cndmask_b32_e32 v10, v10, v12, vcc
	v_mov_b32_e32 v13, 0x7c
	s_nop 0
	v_mov_b32_dpp v11, v10 quad_perm:[2,3,0,1] row_mask:0xf bank_mask:0xf
	v_cmp_gt_f32_e32 vcc, v10, v11
	v_cndmask_b32_e32 v10, v11, v10, vcc
	s_nop 1
	v_mov_b32_dpp v11, v10 row_half_mirror row_mask:0xf bank_mask:0xf
	v_cmp_gt_f32_e32 vcc, v10, v11
	v_cndmask_b32_e32 v10, v11, v10, vcc
	s_nop 1
	v_mov_b32_dpp v11, v10 row_mirror row_mask:0xf bank_mask:0xf
	v_cmp_gt_f32_e32 vcc, v10, v11
	v_cndmask_b32_e32 v10, v11, v10, vcc
	s_nop 1
	v_mov_b32_dpp v11, v10 row_bcast:15 row_mask:0xa bank_mask:0xf
	v_cmp_gt_f32_e32 vcc, v10, v11
	v_cndmask_b32_e32 v10, v11, v10, vcc
	v_mbcnt_lo_u32_b32 v11, -1, 0
	v_mbcnt_hi_u32_b32 v11, -1, v11
	v_lshl_or_b32 v11, v11, 2, v13
	ds_bpermute_b32 v10, v11, v10
.LBB96_17:
	s_cbranch_execnz .LBB96_20
.LBB96_18:
	s_cmp_eq_u32 s18, 16
	s_waitcnt lgkmcnt(0)
	v_mov_b32_e32 v10, v12
	s_cbranch_scc0 .LBB96_20
; %bb.19:
	s_nop 0
	v_mov_b32_dpp v10, v12 quad_perm:[1,0,3,2] row_mask:0xf bank_mask:0xf
	v_cmp_gt_f32_e32 vcc, v12, v10
	v_cndmask_b32_e32 v10, v10, v12, vcc
	s_nop 1
	v_mov_b32_dpp v11, v10 quad_perm:[2,3,0,1] row_mask:0xf bank_mask:0xf
	v_cmp_gt_f32_e32 vcc, v10, v11
	v_cndmask_b32_e32 v10, v11, v10, vcc
	s_nop 1
	v_mov_b32_dpp v11, v10 row_half_mirror row_mask:0xf bank_mask:0xf
	v_cmp_gt_f32_e32 vcc, v10, v11
	v_cndmask_b32_e32 v10, v11, v10, vcc
	s_nop 1
	v_mov_b32_dpp v11, v10 row_mirror row_mask:0xf bank_mask:0xf
	v_cmp_gt_f32_e32 vcc, v10, v11
	v_cndmask_b32_e32 v10, v11, v10, vcc
.LBB96_20:
	s_cbranch_execnz .LBB96_33
.LBB96_21:
	s_cmp_lt_i32 s18, 4
	s_cbranch_scc1 .LBB96_25
; %bb.22:
	s_cmp_lt_i32 s18, 8
	s_cbranch_scc1 .LBB96_26
; %bb.23:
	s_cmp_eq_u32 s18, 8
	s_waitcnt lgkmcnt(0)
	v_mov_b32_e32 v10, v12
	s_cbranch_scc0 .LBB96_27
; %bb.24:
	s_nop 0
	v_mov_b32_dpp v10, v12 quad_perm:[1,0,3,2] row_mask:0xf bank_mask:0xf
	v_cmp_gt_f32_e32 vcc, v12, v10
	v_cndmask_b32_e32 v10, v10, v12, vcc
	s_nop 1
	v_mov_b32_dpp v11, v10 quad_perm:[2,3,0,1] row_mask:0xf bank_mask:0xf
	v_cmp_gt_f32_e32 vcc, v10, v11
	v_cndmask_b32_e32 v10, v11, v10, vcc
	s_nop 1
	v_mov_b32_dpp v11, v10 row_half_mirror row_mask:0xf bank_mask:0xf
	v_cmp_gt_f32_e32 vcc, v10, v11
	v_cndmask_b32_e32 v10, v11, v10, vcc
	s_cbranch_execz .LBB96_28
	s_branch .LBB96_30
.LBB96_25:
                                        ; implicit-def: $vgpr10
	s_branch .LBB96_31
.LBB96_26:
                                        ; implicit-def: $vgpr10
	s_branch .LBB96_28
.LBB96_27:
	s_cbranch_execnz .LBB96_30
.LBB96_28:
	s_cmp_eq_u32 s18, 4
	s_waitcnt lgkmcnt(0)
	v_mov_b32_e32 v10, v12
	s_cbranch_scc0 .LBB96_30
; %bb.29:
	s_nop 0
	v_mov_b32_dpp v10, v12 quad_perm:[1,0,3,2] row_mask:0xf bank_mask:0xf
	v_cmp_gt_f32_e32 vcc, v12, v10
	v_cndmask_b32_e32 v10, v10, v12, vcc
	s_nop 1
	v_mov_b32_dpp v11, v10 quad_perm:[2,3,0,1] row_mask:0xf bank_mask:0xf
	v_cmp_gt_f32_e32 vcc, v10, v11
	v_cndmask_b32_e32 v10, v11, v10, vcc
.LBB96_30:
	s_cbranch_execnz .LBB96_33
.LBB96_31:
	s_cmp_lg_u32 s18, 2
	s_waitcnt lgkmcnt(0)
	v_mov_b32_e32 v10, v12
	s_cbranch_scc1 .LBB96_33
; %bb.32:
	s_nop 0
	v_mov_b32_dpp v10, v12 quad_perm:[1,0,3,2] row_mask:0xf bank_mask:0xf
	v_cmp_gt_f32_e32 vcc, v12, v10
	v_cndmask_b32_e32 v10, v10, v12, vcc
.LBB96_33:
	v_cvt_f32_u32_e32 v11, s18
	s_waitcnt lgkmcnt(0)
	v_mul_f32_e32 v13, 0x3c010204, v10
	s_sub_i32 s2, 0, s18
	v_cmp_gt_u32_e32 vcc, s9, v1
	v_rcp_iflag_f32_e32 v11, v11
	s_mov_b64 s[16:17], 0
	v_mul_f32_e32 v10, 0x4f7ffffe, v11
	v_cvt_u32_f32_e32 v10, v10
	v_mul_lo_u32 v11, s2, v10
	v_mul_hi_u32 v11, v10, v11
	v_add_u32_e32 v10, v10, v11
	v_mul_hi_u32 v10, v0, v10
	v_mul_lo_u32 v11, v10, s18
	v_sub_u32_e32 v11, v0, v11
	v_add_u32_e32 v15, 1, v10
	v_cmp_le_u32_e64 s[2:3], s18, v11
	v_cndmask_b32_e64 v10, v10, v15, s[2:3]
	v_subrev_u32_e32 v15, s18, v11
	v_cndmask_b32_e64 v11, v11, v15, s[2:3]
	v_add_u32_e32 v15, 1, v10
	v_cmp_le_u32_e64 s[2:3], s18, v11
	v_cndmask_b32_e64 v15, v10, v15, s[2:3]
	v_mul_lo_u32 v10, v15, s18
	v_sub_u32_e32 v10, v0, v10
	v_cmp_eq_u32_e64 s[2:3], 0, v10
	s_and_b64 s[18:19], s[2:3], vcc
	s_mov_b64 s[2:3], 0
                                        ; implicit-def: $vgpr10_vgpr11
	s_and_saveexec_b64 s[20:21], s[18:19]
	s_xor_b64 s[18:19], exec, s[20:21]
	s_cbranch_execz .LBB96_42
; %bb.34:
	s_bitcmp0_b32 s14, 0
	s_cbranch_scc0 .LBB96_39
; %bb.35:
	s_ashr_i32 s2, s9, 31
	s_mul_hi_u32 s3, s9, s6
	s_mul_i32 s2, s2, s6
	s_add_i32 s21, s3, s2
	s_mul_i32 s20, s9, s6
	s_mov_b32 s14, s11
	s_or_b64 s[2:3], s[20:21], s[14:15]
	s_mov_b32 s2, 0
	s_cmp_lg_u64 s[2:3], 0
	s_cbranch_scc0 .LBB96_50
; %bb.36:
	s_add_u32 s2, s14, s15
	s_mov_b32 s24, s15
	s_mov_b32 s25, s15
	s_addc_u32 s3, s15, s15
	s_xor_b64 s[26:27], s[2:3], s[24:25]
	v_cvt_f32_u32_e32 v10, s26
	v_cvt_f32_u32_e32 v11, s27
	s_sub_u32 s2, 0, s26
	s_subb_u32 s3, 0, s27
	v_madmk_f32 v10, v11, 0x4f800000, v10
	v_rcp_f32_e32 v10, v10
	v_mul_f32_e32 v10, 0x5f7ffffc, v10
	v_mul_f32_e32 v11, 0x2f800000, v10
	v_trunc_f32_e32 v11, v11
	v_madmk_f32 v10, v11, 0xcf800000, v10
	v_cvt_u32_f32_e32 v11, v11
	v_cvt_u32_f32_e32 v10, v10
	v_readfirstlane_b32 s11, v11
	v_readfirstlane_b32 s15, v10
	s_mul_i32 s28, s2, s11
	s_mul_hi_u32 s30, s2, s15
	s_mul_i32 s29, s3, s15
	s_add_i32 s28, s30, s28
	s_add_i32 s28, s28, s29
	s_mul_i32 s31, s2, s15
	s_mul_hi_u32 s29, s15, s28
	s_mul_i32 s30, s15, s28
	s_mul_hi_u32 s15, s15, s31
	s_add_u32 s15, s15, s30
	s_addc_u32 s29, 0, s29
	s_mul_hi_u32 s33, s11, s31
	s_mul_i32 s31, s11, s31
	s_add_u32 s15, s15, s31
	s_mul_hi_u32 s30, s11, s28
	s_addc_u32 s15, s29, s33
	s_addc_u32 s29, s30, 0
	s_mul_i32 s28, s11, s28
	s_add_u32 s15, s15, s28
	s_addc_u32 s28, 0, s29
	v_add_co_u32_e32 v10, vcc, s15, v10
	s_cmp_lg_u64 vcc, 0
	s_addc_u32 s11, s11, s28
	v_readfirstlane_b32 s28, v10
	s_mul_i32 s15, s2, s11
	s_mul_hi_u32 s29, s2, s28
	s_add_i32 s15, s29, s15
	s_mul_i32 s3, s3, s28
	s_add_i32 s15, s15, s3
	s_mul_i32 s2, s2, s28
	s_mul_hi_u32 s29, s11, s2
	s_mul_i32 s30, s11, s2
	s_mul_i32 s33, s28, s15
	s_mul_hi_u32 s2, s28, s2
	s_mul_hi_u32 s31, s28, s15
	s_add_u32 s2, s2, s33
	s_addc_u32 s28, 0, s31
	s_add_u32 s2, s2, s30
	s_mul_hi_u32 s3, s11, s15
	s_addc_u32 s2, s28, s29
	s_addc_u32 s3, s3, 0
	s_mul_i32 s15, s11, s15
	s_add_u32 s2, s2, s15
	s_addc_u32 s3, 0, s3
	v_add_co_u32_e32 v10, vcc, s2, v10
	s_cmp_lg_u64 vcc, 0
	s_addc_u32 s11, s11, s3
	s_ashr_i32 s28, s21, 31
	s_add_u32 s2, s20, s28
	s_mov_b32 s29, s28
	s_addc_u32 s3, s21, s28
	s_xor_b64 s[30:31], s[2:3], s[28:29]
	v_readfirstlane_b32 s15, v10
	s_mul_i32 s3, s30, s11
	s_mul_hi_u32 s21, s30, s15
	s_mul_hi_u32 s2, s30, s11
	s_add_u32 s3, s21, s3
	s_addc_u32 s2, 0, s2
	s_mul_hi_u32 s33, s31, s15
	s_mul_i32 s15, s31, s15
	s_add_u32 s3, s3, s15
	s_mul_hi_u32 s21, s31, s11
	s_addc_u32 s2, s2, s33
	s_addc_u32 s3, s21, 0
	s_mul_i32 s11, s31, s11
	s_add_u32 s11, s2, s11
	s_addc_u32 s15, 0, s3
	s_mul_i32 s2, s26, s15
	s_mul_hi_u32 s3, s26, s11
	s_add_i32 s2, s3, s2
	s_mul_i32 s3, s27, s11
	s_add_i32 s21, s2, s3
	s_mul_i32 s3, s26, s11
	v_mov_b32_e32 v10, s3
	s_sub_i32 s2, s31, s21
	v_sub_co_u32_e32 v10, vcc, s30, v10
	s_cmp_lg_u64 vcc, 0
	s_subb_u32 s30, s2, s27
	v_subrev_co_u32_e64 v11, s[2:3], s26, v10
	s_cmp_lg_u64 s[2:3], 0
	s_subb_u32 s30, s30, 0
	s_cmp_ge_u32 s30, s27
	s_cselect_b32 s33, -1, 0
	v_cmp_le_u32_e64 s[2:3], s26, v11
	s_cmp_eq_u32 s30, s27
	v_cndmask_b32_e64 v11, 0, -1, s[2:3]
	v_mov_b32_e32 v16, s33
	s_cselect_b64 s[2:3], -1, 0
	v_cndmask_b32_e64 v11, v16, v11, s[2:3]
	s_add_u32 s2, s11, 1
	s_addc_u32 s30, s15, 0
	s_add_u32 s3, s11, 2
	s_addc_u32 s33, s15, 0
	v_mov_b32_e32 v16, s2
	v_mov_b32_e32 v17, s3
	v_cmp_ne_u32_e64 s[2:3], 0, v11
	v_cndmask_b32_e64 v11, v16, v17, s[2:3]
	v_mov_b32_e32 v16, s30
	v_mov_b32_e32 v17, s33
	s_cmp_lg_u64 vcc, 0
	v_cndmask_b32_e64 v16, v16, v17, s[2:3]
	s_subb_u32 s2, s31, s21
	s_cmp_ge_u32 s2, s27
	s_cselect_b32 s3, -1, 0
	v_cmp_le_u32_e32 vcc, s26, v10
	s_cmp_eq_u32 s2, s27
	v_cndmask_b32_e64 v10, 0, -1, vcc
	v_mov_b32_e32 v17, s3
	s_cselect_b64 vcc, -1, 0
	v_cndmask_b32_e32 v10, v17, v10, vcc
	v_mov_b32_e32 v17, s15
	v_cmp_ne_u32_e32 vcc, 0, v10
	v_cndmask_b32_e32 v10, v17, v16, vcc
	v_mov_b32_e32 v16, s11
	v_cndmask_b32_e32 v11, v16, v11, vcc
	s_xor_b64 s[2:3], s[28:29], s[24:25]
	v_xor_b32_e32 v11, s2, v11
	v_xor_b32_e32 v16, s3, v10
	v_mov_b32_e32 v17, s3
	v_subrev_co_u32_e32 v10, vcc, s2, v11
	v_subb_co_u32_e32 v11, vcc, v16, v17, vcc
	s_cbranch_execnz .LBB96_38
.LBB96_37:
	v_cvt_f32_u32_e32 v10, s14
	s_sub_i32 s2, 0, s14
	s_mov_b32 s3, 0
	v_rcp_iflag_f32_e32 v10, v10
	v_mul_f32_e32 v10, 0x4f7ffffe, v10
	v_cvt_u32_f32_e32 v10, v10
	v_readfirstlane_b32 s11, v10
	s_mul_i32 s2, s2, s11
	s_mul_hi_u32 s2, s11, s2
	s_add_i32 s11, s11, s2
	s_mul_hi_u32 s2, s20, s11
	s_mul_i32 s15, s2, s14
	s_sub_i32 s15, s20, s15
	s_add_i32 s11, s2, 1
	s_sub_i32 s20, s15, s14
	s_cmp_ge_u32 s15, s14
	s_cselect_b32 s2, s11, s2
	s_cselect_b32 s15, s20, s15
	s_add_i32 s11, s2, 1
	s_cmp_ge_u32 s15, s14
	s_cselect_b32 s2, s11, s2
	v_pk_mov_b32 v[10:11], s[2:3], s[2:3] op_sel:[0,1]
.LBB96_38:
	v_add_co_u32_e32 v10, vcc, v10, v15
	v_addc_co_u32_e32 v11, vcc, 0, v11, vcc
	s_branch .LBB96_41
.LBB96_39:
                                        ; implicit-def: $vgpr10_vgpr11
	s_cbranch_execz .LBB96_41
; %bb.40:
	v_mul_lo_u32 v10, v15, s8
	v_ashrrev_i32_e32 v11, 31, v10
	v_mov_b32_e32 v15, s7
	v_add_co_u32_e32 v10, vcc, s6, v10
	v_addc_co_u32_e32 v11, vcc, v11, v15, vcc
.LBB96_41:
	s_mov_b64 s[2:3], exec
.LBB96_42:
	s_or_b64 exec, exec, s[18:19]
	s_and_b64 vcc, exec, s[16:17]
	s_cbranch_vccz .LBB96_46
.LBB96_43:
	v_mov_b32_dpp v10, v12 quad_perm:[1,0,3,2] row_mask:0xf bank_mask:0xf
	v_cmp_gt_f32_e32 vcc, v12, v10
	v_cndmask_b32_e32 v10, v10, v12, vcc
	s_nop 1
	v_mov_b32_dpp v11, v10 quad_perm:[2,3,0,1] row_mask:0xf bank_mask:0xf
	v_cmp_gt_f32_e32 vcc, v10, v11
	v_cndmask_b32_e32 v10, v11, v10, vcc
	s_nop 1
	v_mov_b32_dpp v11, v10 row_half_mirror row_mask:0xf bank_mask:0xf
	v_cmp_gt_f32_e32 vcc, v10, v11
	v_cndmask_b32_e32 v10, v11, v10, vcc
	s_nop 1
	v_mov_b32_dpp v11, v10 row_mirror row_mask:0xf bank_mask:0xf
	v_cmp_gt_f32_e32 vcc, v10, v11
	v_cndmask_b32_e32 v10, v11, v10, vcc
	s_nop 1
	v_mov_b32_dpp v11, v10 row_bcast:15 row_mask:0xf bank_mask:0xf
	v_cmp_gt_f32_e32 vcc, v10, v11
	v_cndmask_b32_e32 v10, v11, v10, vcc
	s_nop 1
	v_mov_b32_dpp v11, v10 row_bcast:31 row_mask:0xf bank_mask:0xf
	s_and_saveexec_b64 s[2:3], s[0:1]
	s_cbranch_execz .LBB96_45
; %bb.44:
	v_lshrrev_b32_e32 v12, 4, v0
	v_cmp_gt_f32_e32 vcc, v10, v11
	v_and_b32_e32 v12, 60, v12
	v_cndmask_b32_e32 v10, v11, v10, vcc
	ds_write_b32 v12, v10
.LBB96_45:
	s_or_b64 exec, exec, s[2:3]
	s_waitcnt lgkmcnt(0)
	s_barrier
	ds_read_b32 v10, v14
	v_cmp_eq_u32_e64 s[2:3], 0, v0
	s_waitcnt lgkmcnt(0)
	v_mov_b32_dpp v11, v10 quad_perm:[1,0,3,2] row_mask:0xf bank_mask:0xf
	v_cmp_gt_f32_e32 vcc, v10, v11
	v_cndmask_b32_e32 v10, v11, v10, vcc
	v_mul_f32_e32 v13, 0x3c010204, v10
	v_pk_mov_b32 v[10:11], s[6:7], s[6:7] op_sel:[0,1]
.LBB96_46:
	s_and_saveexec_b64 s[0:1], s[2:3]
	s_cbranch_execz .LBB96_48
; %bb.47:
	v_lshlrev_b64 v[10:11], 2, v[10:11]
	v_mov_b32_e32 v0, s13
	v_add_co_u32_e32 v10, vcc, s12, v10
	v_addc_co_u32_e32 v11, vcc, v0, v11, vcc
	global_store_dword v[10:11], v13, off
.LBB96_48:
	s_or_b64 exec, exec, s[0:1]
	s_add_i32 s2, s9, 3
	s_load_dwordx2 s[0:1], s[4:5], 0x0
	s_ashr_i32 s3, s2, 31
	;;#ASMSTART
	v_rcp_f32 v10, v13
	;;#ASMEND
	v_mov_b32_e32 v11, v10
	;;#ASMSTART
	v_pk_mul_f32 v[8:9], v[8:9], v[10:11]
	;;#ASMEND
	;;#ASMSTART
	v_pk_mul_f32 v[6:7], v[6:7], v[10:11]
	;;#ASMEND
	s_lshr_b32 s3, s3, 30
	v_cvt_i32_f32_e32 v0, v8
	v_cvt_i32_f32_sdwa v8, v9 dst_sel:BYTE_1 dst_unused:UNUSED_PAD src0_sel:DWORD
	v_cvt_i32_f32_e32 v6, v6
	v_cvt_i32_f32_sdwa v7, v7 dst_sel:BYTE_1 dst_unused:UNUSED_PAD src0_sel:DWORD
	;;#ASMSTART
	v_pk_mul_f32 v[4:5], v[4:5], v[10:11]
	;;#ASMEND
	;;#ASMSTART
	v_pk_mul_f32 v[2:3], v[2:3], v[10:11]
	;;#ASMEND
	s_add_i32 s2, s2, s3
	s_ashr_i32 s3, s10, 31
	v_cvt_i32_f32_e32 v4, v4
	v_cvt_i32_f32_sdwa v5, v5 dst_sel:BYTE_1 dst_unused:UNUSED_PAD src0_sel:DWORD
	v_cvt_i32_f32_e32 v9, v2
	v_cvt_i32_f32_sdwa v3, v3 dst_sel:BYTE_1 dst_unused:UNUSED_PAD src0_sel:DWORD
	s_mul_hi_u32 s4, s10, s6
	s_mul_i32 s3, s3, s6
	s_and_b32 s2, s2, -4
	s_add_i32 s4, s4, s3
	s_mul_i32 s3, s10, s6
	s_waitcnt lgkmcnt(0)
	s_add_u32 s0, s0, s3
	v_or_b32_sdwa v0, v0, v8 dst_sel:DWORD dst_unused:UNUSED_PAD src0_sel:BYTE_0 src1_sel:DWORD
	v_or_b32_sdwa v2, v6, v7 dst_sel:WORD_1 dst_unused:UNUSED_PAD src0_sel:BYTE_0 src1_sel:DWORD
	s_addc_u32 s1, s1, s4
	v_or_b32_sdwa v2, v0, v2 dst_sel:DWORD dst_unused:UNUSED_PAD src0_sel:WORD_0 src1_sel:DWORD
	v_or_b32_sdwa v0, v4, v5 dst_sel:DWORD dst_unused:UNUSED_PAD src0_sel:BYTE_0 src1_sel:DWORD
	v_or_b32_sdwa v3, v9, v3 dst_sel:WORD_1 dst_unused:UNUSED_PAD src0_sel:BYTE_0 src1_sel:DWORD
	s_and_b32 s1, s1, 0xffff
	s_mov_b32 s3, 0x20000
	v_or_b32_sdwa v3, v0, v3 dst_sel:DWORD dst_unused:UNUSED_PAD src0_sel:WORD_0 src1_sel:DWORD
	buffer_store_dwordx2 v[2:3], v1, s[0:3], 0 offen
	;;#ASMSTART
	s_nop 0
	;;#ASMEND
.LBB96_49:
	s_endpgm
.LBB96_50:
                                        ; implicit-def: $vgpr10_vgpr11
	s_branch .LBB96_37
	.section	.rodata,"a",@progbits
	.p2align	6, 0x0
	.amdhsa_kernel _ZN5aiter24add_rmsnorm_quant_kernelItaLi128ELi8ELb0ELb1ELb0ELi1EEEvPT0_PT_PfS4_S4_S4_diiiiiiib
		.amdhsa_group_segment_fixed_size 16
		.amdhsa_private_segment_fixed_size 0
		.amdhsa_kernarg_size 88
		.amdhsa_user_sgpr_count 6
		.amdhsa_user_sgpr_private_segment_buffer 1
		.amdhsa_user_sgpr_dispatch_ptr 0
		.amdhsa_user_sgpr_queue_ptr 0
		.amdhsa_user_sgpr_kernarg_segment_ptr 1
		.amdhsa_user_sgpr_dispatch_id 0
		.amdhsa_user_sgpr_flat_scratch_init 0
		.amdhsa_user_sgpr_kernarg_preload_length 0
		.amdhsa_user_sgpr_kernarg_preload_offset 0
		.amdhsa_user_sgpr_private_segment_size 0
		.amdhsa_uses_dynamic_stack 0
		.amdhsa_system_sgpr_private_segment_wavefront_offset 0
		.amdhsa_system_sgpr_workgroup_id_x 1
		.amdhsa_system_sgpr_workgroup_id_y 0
		.amdhsa_system_sgpr_workgroup_id_z 0
		.amdhsa_system_sgpr_workgroup_info 0
		.amdhsa_system_vgpr_workitem_id 0
		.amdhsa_next_free_vgpr 24
		.amdhsa_next_free_sgpr 34
		.amdhsa_accum_offset 24
		.amdhsa_reserve_vcc 1
		.amdhsa_reserve_flat_scratch 0
		.amdhsa_float_round_mode_32 0
		.amdhsa_float_round_mode_16_64 0
		.amdhsa_float_denorm_mode_32 3
		.amdhsa_float_denorm_mode_16_64 3
		.amdhsa_dx10_clamp 1
		.amdhsa_ieee_mode 1
		.amdhsa_fp16_overflow 0
		.amdhsa_tg_split 0
		.amdhsa_exception_fp_ieee_invalid_op 0
		.amdhsa_exception_fp_denorm_src 0
		.amdhsa_exception_fp_ieee_div_zero 0
		.amdhsa_exception_fp_ieee_overflow 0
		.amdhsa_exception_fp_ieee_underflow 0
		.amdhsa_exception_fp_ieee_inexact 0
		.amdhsa_exception_int_div_zero 0
	.end_amdhsa_kernel
	.section	.text._ZN5aiter24add_rmsnorm_quant_kernelItaLi128ELi8ELb0ELb1ELb0ELi1EEEvPT0_PT_PfS4_S4_S4_diiiiiiib,"axG",@progbits,_ZN5aiter24add_rmsnorm_quant_kernelItaLi128ELi8ELb0ELb1ELb0ELi1EEEvPT0_PT_PfS4_S4_S4_diiiiiiib,comdat
.Lfunc_end96:
	.size	_ZN5aiter24add_rmsnorm_quant_kernelItaLi128ELi8ELb0ELb1ELb0ELi1EEEvPT0_PT_PfS4_S4_S4_diiiiiiib, .Lfunc_end96-_ZN5aiter24add_rmsnorm_quant_kernelItaLi128ELi8ELb0ELb1ELb0ELi1EEEvPT0_PT_PfS4_S4_S4_diiiiiiib
                                        ; -- End function
	.section	.AMDGPU.csdata,"",@progbits
; Kernel info:
; codeLenInByte = 3060
; NumSgprs: 38
; NumVgprs: 24
; NumAgprs: 0
; TotalNumVgprs: 24
; ScratchSize: 0
; MemoryBound: 0
; FloatMode: 240
; IeeeMode: 1
; LDSByteSize: 16 bytes/workgroup (compile time only)
; SGPRBlocks: 4
; VGPRBlocks: 2
; NumSGPRsForWavesPerEU: 38
; NumVGPRsForWavesPerEU: 24
; AccumOffset: 24
; Occupancy: 8
; WaveLimiterHint : 0
; COMPUTE_PGM_RSRC2:SCRATCH_EN: 0
; COMPUTE_PGM_RSRC2:USER_SGPR: 6
; COMPUTE_PGM_RSRC2:TRAP_HANDLER: 0
; COMPUTE_PGM_RSRC2:TGID_X_EN: 1
; COMPUTE_PGM_RSRC2:TGID_Y_EN: 0
; COMPUTE_PGM_RSRC2:TGID_Z_EN: 0
; COMPUTE_PGM_RSRC2:TIDIG_COMP_CNT: 0
; COMPUTE_PGM_RSRC3_GFX90A:ACCUM_OFFSET: 5
; COMPUTE_PGM_RSRC3_GFX90A:TG_SPLIT: 0
	.section	.text._ZN5aiter24add_rmsnorm_quant_kernelIDF16_aLi256ELi8ELb0ELb1ELb1ELi1EEEvPT0_PT_PfS4_S4_S4_diiiiiiib,"axG",@progbits,_ZN5aiter24add_rmsnorm_quant_kernelIDF16_aLi256ELi8ELb0ELb1ELb1ELi1EEEvPT0_PT_PfS4_S4_S4_diiiiiiib,comdat
	.protected	_ZN5aiter24add_rmsnorm_quant_kernelIDF16_aLi256ELi8ELb0ELb1ELb1ELi1EEEvPT0_PT_PfS4_S4_S4_diiiiiiib ; -- Begin function _ZN5aiter24add_rmsnorm_quant_kernelIDF16_aLi256ELi8ELb0ELb1ELb1ELi1EEEvPT0_PT_PfS4_S4_S4_diiiiiiib
	.globl	_ZN5aiter24add_rmsnorm_quant_kernelIDF16_aLi256ELi8ELb0ELb1ELb1ELi1EEEvPT0_PT_PfS4_S4_S4_diiiiiiib
	.p2align	8
	.type	_ZN5aiter24add_rmsnorm_quant_kernelIDF16_aLi256ELi8ELb0ELb1ELb1ELi1EEEvPT0_PT_PfS4_S4_S4_diiiiiiib,@function
_ZN5aiter24add_rmsnorm_quant_kernelIDF16_aLi256ELi8ELb0ELb1ELb1ELi1EEEvPT0_PT_PfS4_S4_S4_diiiiiiib: ; @_ZN5aiter24add_rmsnorm_quant_kernelIDF16_aLi256ELi8ELb0ELb1ELb1ELi1EEEvPT0_PT_PfS4_S4_S4_diiiiiiib
; %bb.0:
	s_load_dwordx4 s[8:11], s[4:5], 0x38
	s_mov_b32 s7, 0
	s_waitcnt lgkmcnt(0)
	s_ashr_i32 s0, s8, 31
	v_mov_b32_e32 v2, s8
	v_mov_b32_e32 v3, s0
	v_cmp_ge_i64_e32 vcc, s[6:7], v[2:3]
	s_cbranch_vccnz .LBB97_49
; %bb.1:
	s_load_dwordx4 s[12:15], s[4:5], 0x10
	s_load_dwordx4 s[0:3], s[4:5], 0x28
	s_ashr_i32 s11, s10, 31
	s_mul_hi_u32 s16, s10, s6
	s_mul_i32 s11, s11, s6
	s_add_i32 s11, s16, s11
	s_mul_i32 s10, s10, s6
	s_lshl_b64 s[10:11], s[10:11], 1
	s_waitcnt lgkmcnt(0)
	s_add_u32 s16, s14, s10
	s_addc_u32 s10, s15, s11
	s_add_i32 s11, s9, 1
	s_lshr_b32 s14, s11, 31
	s_add_i32 s11, s11, s14
	s_lshl_b32 s11, s11, 1
	s_and_b32 s18, s11, -4
	s_and_b32 s17, s10, 0xffff
	s_mov_b32 s19, 0x20000
	v_lshlrev_b32_e32 v1, 4, v0
	buffer_load_dwordx4 v[14:17], v1, s[16:19], 0 offen glc slc
	s_mov_b32 s16, s0
	s_and_b32 s17, s1, 0xffff
	buffer_load_dwordx4 v[2:5], v1, s[16:19], 0 offen
	v_and_b32_e32 v22, 63, v0
	v_cmp_eq_u32_e64 s[0:1], 63, v22
	s_waitcnt vmcnt(1)
	v_cvt_f32_f16_e32 v12, v14
	v_cvt_f32_f16_sdwa v13, v14 dst_sel:DWORD dst_unused:UNUSED_PAD src0_sel:WORD_1
	v_cvt_f32_f16_e32 v10, v15
	v_cvt_f32_f16_sdwa v11, v15 dst_sel:DWORD dst_unused:UNUSED_PAD src0_sel:WORD_1
	;; [unrolled: 2-line block ×3, first 2 shown]
	v_pk_mul_f32 v[14:15], v[12:13], v[12:13]
	v_cvt_f32_f16_e32 v6, v17
	v_cvt_f32_f16_sdwa v7, v17 dst_sel:DWORD dst_unused:UNUSED_PAD src0_sel:WORD_1
	v_pk_mul_f32 v[16:17], v[10:11], v[10:11]
	v_add_f32_e32 v1, v14, v15
	v_add_f32_e32 v1, v16, v1
	v_pk_mul_f32 v[18:19], v[8:9], v[8:9]
	v_add_f32_e32 v1, v17, v1
	v_add_f32_e32 v1, v18, v1
	;; [unrolled: 3-line block ×3, first 2 shown]
	v_add_f32_e32 v1, v21, v1
	s_nop 1
	v_mov_b32_dpp v14, v1 quad_perm:[1,0,3,2] row_mask:0xf bank_mask:0xf
	v_add_f32_e32 v1, v1, v14
	s_nop 1
	v_mov_b32_dpp v14, v1 quad_perm:[2,3,0,1] row_mask:0xf bank_mask:0xf
	v_add_f32_e32 v1, v1, v14
	s_nop 1
	v_mov_b32_dpp v14, v1 row_half_mirror row_mask:0xf bank_mask:0xf
	v_add_f32_e32 v1, v1, v14
	s_nop 1
	v_mov_b32_dpp v14, v1 row_mirror row_mask:0xf bank_mask:0xf
	v_add_f32_e32 v1, v1, v14
	s_nop 1
	v_mov_b32_dpp v14, v1 row_bcast:15 row_mask:0xf bank_mask:0xf
	v_add_f32_e32 v1, v1, v14
	s_nop 1
	v_mov_b32_dpp v14, v1 row_bcast:31 row_mask:0xf bank_mask:0xf
	s_and_saveexec_b64 s[10:11], s[0:1]
	s_cbranch_execz .LBB97_3
; %bb.2:
	v_lshrrev_b32_e32 v15, 4, v0
	v_and_b32_e32 v15, 60, v15
	v_add_f32_e32 v1, v1, v14
	ds_write_b32 v15, v1 offset:16
.LBB97_3:
	s_or_b64 exec, exec, s[10:11]
	v_and_b32_e32 v1, 3, v0
	v_lshlrev_b32_e32 v14, 2, v1
	s_waitcnt lgkmcnt(0)
	s_barrier
	ds_read_b32 v1, v14 offset:16
	v_cvt_f32_i32_e32 v15, s9
	s_waitcnt vmcnt(0)
	v_cvt_f32_f16_sdwa v21, v3 dst_sel:DWORD dst_unused:UNUSED_PAD src0_sel:WORD_1
	v_cvt_f32_f16_sdwa v23, v5 dst_sel:DWORD dst_unused:UNUSED_PAD src0_sel:WORD_1
	v_cvt_f32_f16_e32 v22, v5
	s_waitcnt lgkmcnt(0)
	v_mov_b32_dpp v16, v1 quad_perm:[1,0,3,2] row_mask:0xf bank_mask:0xf
	v_add_f32_e32 v1, v1, v16
	s_nop 1
	v_mov_b32_dpp v16, v1 quad_perm:[2,3,0,1] row_mask:0xf bank_mask:0xf
	v_add_f32_e32 v1, v1, v16
	v_div_scale_f32 v16, s[10:11], v15, v15, v1
	v_rcp_f32_e32 v17, v16
	v_div_scale_f32 v18, vcc, v1, v15, v1
	s_load_dwordx2 s[10:11], s[4:5], 0x4c
	s_load_dword s14, s[4:5], 0x54
	v_fma_f32 v19, -v16, v17, 1.0
	v_fmac_f32_e32 v17, v19, v17
	v_mul_f32_e32 v19, v18, v17
	v_fma_f32 v20, -v16, v19, v18
	v_fmac_f32_e32 v19, v20, v17
	v_fma_f32 v16, -v16, v19, v18
	v_div_fmas_f32 v16, v16, v17, v19
	v_div_fixup_f32 v1, v16, v15, v1
	v_cvt_f64_f32_e32 v[16:17], v1
	v_add_f64 v[16:17], v[16:17], s[2:3]
	v_cvt_f32_f64_e32 v1, v[16:17]
	s_mov_b32 s2, 0x800000
	v_mul_f32_e32 v15, 0x4b800000, v1
	v_cmp_gt_f32_e32 vcc, s2, v1
	v_cndmask_b32_e32 v1, v1, v15, vcc
	v_rsq_f32_e32 v15, v1
	v_cvt_f32_f16_e32 v20, v3
	v_cvt_f32_f16_sdwa v3, v4 dst_sel:DWORD dst_unused:UNUSED_PAD src0_sel:WORD_1
	v_lshlrev_b32_e32 v1, 3, v0
	v_mul_f32_e32 v16, 0x45800000, v15
	v_cndmask_b32_e32 v16, v15, v16, vcc
	v_mov_b32_e32 v17, v16
	;;#ASMSTART
	v_pk_mul_f32 v[12:13], v[12:13], v[16:17]
	;;#ASMEND
	;;#ASMSTART
	v_pk_mul_f32 v[10:11], v[10:11], v[16:17]
	;;#ASMEND
	;; [unrolled: 3-line block ×4, first 2 shown]
	v_cvt_f32_f16_sdwa v7, v2 dst_sel:DWORD dst_unused:UNUSED_PAD src0_sel:WORD_1
	v_cvt_f32_f16_e32 v6, v2
	v_cvt_f32_f16_e32 v2, v4
	;;#ASMSTART
	v_pk_mul_f32 v[8:9], v[12:13], v[6:7]
	;;#ASMEND
	;;#ASMSTART
	v_pk_mul_f32 v[6:7], v[10:11], v[20:21]
	;;#ASMEND
	v_and_b32_e32 v10, 0x7fffffff, v8
	v_mov_b32_e32 v12, 0x2edbe6ff
	;;#ASMSTART
	v_pk_mul_f32 v[4:5], v[18:19], v[2:3]
	;;#ASMEND
	;;#ASMSTART
	v_pk_mul_f32 v[2:3], v[16:17], v[22:23]
	;;#ASMEND
	v_and_b32_e32 v11, 0x7fffffff, v9
	;;#ASMSTART
	v_max3_f32 v10, v12, v10, v11

	;;#ASMEND
	v_and_b32_e32 v12, 0x7fffffff, v7
	v_and_b32_e32 v11, 0x7fffffff, v6
	;;#ASMSTART
	v_max3_f32 v10, v10, v11, v12

	;;#ASMEND
	v_and_b32_e32 v12, 0x7fffffff, v5
	;; [unrolled: 6-line block ×3, first 2 shown]
	s_waitcnt lgkmcnt(0)
	s_cmp_lg_u32 s11, 0
	v_and_b32_e32 v11, 0x7fffffff, v2
	;;#ASMSTART
	v_max3_f32 v12, v10, v11, v12

	;;#ASMEND
	s_cbranch_scc0 .LBB97_10
; %bb.4:
	s_ashr_i32 s15, s11, 31
	s_lshr_b32 s2, s15, 29
	s_add_i32 s2, s11, s2
	s_ashr_i32 s18, s2, 3
	s_cmp_lt_i32 s18, 16
	s_cbranch_scc1 .LBB97_11
; %bb.5:
	s_cmp_lt_i32 s18, 32
	s_cbranch_scc1 .LBB97_12
; %bb.6:
	;; [unrolled: 3-line block ×3, first 2 shown]
	s_cmp_eq_u32 s18, 64
	v_mov_b32_e32 v10, v12
	s_cbranch_scc0 .LBB97_9
; %bb.8:
	s_nop 0
	v_mov_b32_dpp v10, v12 quad_perm:[1,0,3,2] row_mask:0xf bank_mask:0xf
	v_cmp_gt_f32_e32 vcc, v12, v10
	v_cndmask_b32_e32 v10, v10, v12, vcc
	v_bfrev_b32_e32 v13, 0.5
	s_nop 0
	v_mov_b32_dpp v11, v10 quad_perm:[2,3,0,1] row_mask:0xf bank_mask:0xf
	v_cmp_gt_f32_e32 vcc, v10, v11
	v_cndmask_b32_e32 v10, v11, v10, vcc
	s_nop 1
	v_mov_b32_dpp v11, v10 row_ror:4 row_mask:0xf bank_mask:0xf
	v_cmp_gt_f32_e32 vcc, v10, v11
	v_cndmask_b32_e32 v10, v11, v10, vcc
	s_nop 1
	v_mov_b32_dpp v11, v10 row_ror:8 row_mask:0xf bank_mask:0xf
	v_cmp_gt_f32_e32 vcc, v10, v11
	v_cndmask_b32_e32 v10, v11, v10, vcc
	s_nop 1
	v_mov_b32_dpp v11, v10 row_bcast:15 row_mask:0xf bank_mask:0xf
	v_cmp_gt_f32_e32 vcc, v10, v11
	v_cndmask_b32_e32 v10, v11, v10, vcc
	s_nop 1
	v_mov_b32_dpp v11, v10 row_bcast:31 row_mask:0xf bank_mask:0xf
	v_cmp_gt_f32_e32 vcc, v10, v11
	v_cndmask_b32_e32 v10, v11, v10, vcc
	v_mbcnt_lo_u32_b32 v11, -1, 0
	v_mbcnt_hi_u32_b32 v11, -1, v11
	v_lshl_or_b32 v11, v11, 2, v13
	ds_bpermute_b32 v10, v11, v10
.LBB97_9:
	s_mov_b64 s[2:3], 0
	s_branch .LBB97_14
.LBB97_10:
	s_mov_b64 s[2:3], 0
                                        ; implicit-def: $vgpr13
                                        ; implicit-def: $vgpr10_vgpr11
	s_cbranch_execnz .LBB97_43
	s_branch .LBB97_46
.LBB97_11:
                                        ; implicit-def: $vgpr10
	s_branch .LBB97_21
.LBB97_12:
                                        ; implicit-def: $vgpr10
	s_branch .LBB97_18
.LBB97_13:
	s_mov_b64 s[2:3], -1
                                        ; implicit-def: $vgpr10
.LBB97_14:
	s_andn2_b64 vcc, exec, s[2:3]
	s_cbranch_vccnz .LBB97_17
; %bb.15:
	s_cmp_eq_u32 s18, 32
	s_waitcnt lgkmcnt(0)
	v_mov_b32_e32 v10, v12
	s_cbranch_scc0 .LBB97_17
; %bb.16:
	s_nop 0
	v_mov_b32_dpp v10, v12 quad_perm:[1,0,3,2] row_mask:0xf bank_mask:0xf
	v_cmp_gt_f32_e32 vcc, v12, v10
	v_cndmask_b32_e32 v10, v10, v12, vcc
	v_mov_b32_e32 v13, 0x7c
	s_nop 0
	v_mov_b32_dpp v11, v10 quad_perm:[2,3,0,1] row_mask:0xf bank_mask:0xf
	v_cmp_gt_f32_e32 vcc, v10, v11
	v_cndmask_b32_e32 v10, v11, v10, vcc
	s_nop 1
	v_mov_b32_dpp v11, v10 row_half_mirror row_mask:0xf bank_mask:0xf
	v_cmp_gt_f32_e32 vcc, v10, v11
	v_cndmask_b32_e32 v10, v11, v10, vcc
	s_nop 1
	v_mov_b32_dpp v11, v10 row_mirror row_mask:0xf bank_mask:0xf
	v_cmp_gt_f32_e32 vcc, v10, v11
	v_cndmask_b32_e32 v10, v11, v10, vcc
	s_nop 1
	v_mov_b32_dpp v11, v10 row_bcast:15 row_mask:0xa bank_mask:0xf
	v_cmp_gt_f32_e32 vcc, v10, v11
	v_cndmask_b32_e32 v10, v11, v10, vcc
	v_mbcnt_lo_u32_b32 v11, -1, 0
	v_mbcnt_hi_u32_b32 v11, -1, v11
	v_lshl_or_b32 v11, v11, 2, v13
	ds_bpermute_b32 v10, v11, v10
.LBB97_17:
	s_cbranch_execnz .LBB97_20
.LBB97_18:
	s_cmp_eq_u32 s18, 16
	s_waitcnt lgkmcnt(0)
	v_mov_b32_e32 v10, v12
	s_cbranch_scc0 .LBB97_20
; %bb.19:
	s_nop 0
	v_mov_b32_dpp v10, v12 quad_perm:[1,0,3,2] row_mask:0xf bank_mask:0xf
	v_cmp_gt_f32_e32 vcc, v12, v10
	v_cndmask_b32_e32 v10, v10, v12, vcc
	s_nop 1
	v_mov_b32_dpp v11, v10 quad_perm:[2,3,0,1] row_mask:0xf bank_mask:0xf
	v_cmp_gt_f32_e32 vcc, v10, v11
	v_cndmask_b32_e32 v10, v11, v10, vcc
	s_nop 1
	v_mov_b32_dpp v11, v10 row_half_mirror row_mask:0xf bank_mask:0xf
	v_cmp_gt_f32_e32 vcc, v10, v11
	v_cndmask_b32_e32 v10, v11, v10, vcc
	s_nop 1
	v_mov_b32_dpp v11, v10 row_mirror row_mask:0xf bank_mask:0xf
	v_cmp_gt_f32_e32 vcc, v10, v11
	v_cndmask_b32_e32 v10, v11, v10, vcc
.LBB97_20:
	s_cbranch_execnz .LBB97_33
.LBB97_21:
	s_cmp_lt_i32 s18, 4
	s_cbranch_scc1 .LBB97_25
; %bb.22:
	s_cmp_lt_i32 s18, 8
	s_cbranch_scc1 .LBB97_26
; %bb.23:
	s_cmp_eq_u32 s18, 8
	s_waitcnt lgkmcnt(0)
	v_mov_b32_e32 v10, v12
	s_cbranch_scc0 .LBB97_27
; %bb.24:
	s_nop 0
	v_mov_b32_dpp v10, v12 quad_perm:[1,0,3,2] row_mask:0xf bank_mask:0xf
	v_cmp_gt_f32_e32 vcc, v12, v10
	v_cndmask_b32_e32 v10, v10, v12, vcc
	s_nop 1
	v_mov_b32_dpp v11, v10 quad_perm:[2,3,0,1] row_mask:0xf bank_mask:0xf
	v_cmp_gt_f32_e32 vcc, v10, v11
	v_cndmask_b32_e32 v10, v11, v10, vcc
	s_nop 1
	v_mov_b32_dpp v11, v10 row_half_mirror row_mask:0xf bank_mask:0xf
	v_cmp_gt_f32_e32 vcc, v10, v11
	v_cndmask_b32_e32 v10, v11, v10, vcc
	s_cbranch_execz .LBB97_28
	s_branch .LBB97_30
.LBB97_25:
                                        ; implicit-def: $vgpr10
	s_branch .LBB97_31
.LBB97_26:
                                        ; implicit-def: $vgpr10
	s_branch .LBB97_28
.LBB97_27:
	s_cbranch_execnz .LBB97_30
.LBB97_28:
	s_cmp_eq_u32 s18, 4
	s_waitcnt lgkmcnt(0)
	v_mov_b32_e32 v10, v12
	s_cbranch_scc0 .LBB97_30
; %bb.29:
	s_nop 0
	v_mov_b32_dpp v10, v12 quad_perm:[1,0,3,2] row_mask:0xf bank_mask:0xf
	v_cmp_gt_f32_e32 vcc, v12, v10
	v_cndmask_b32_e32 v10, v10, v12, vcc
	s_nop 1
	v_mov_b32_dpp v11, v10 quad_perm:[2,3,0,1] row_mask:0xf bank_mask:0xf
	v_cmp_gt_f32_e32 vcc, v10, v11
	v_cndmask_b32_e32 v10, v11, v10, vcc
.LBB97_30:
	s_cbranch_execnz .LBB97_33
.LBB97_31:
	s_cmp_lg_u32 s18, 2
	s_waitcnt lgkmcnt(0)
	v_mov_b32_e32 v10, v12
	s_cbranch_scc1 .LBB97_33
; %bb.32:
	s_nop 0
	v_mov_b32_dpp v10, v12 quad_perm:[1,0,3,2] row_mask:0xf bank_mask:0xf
	v_cmp_gt_f32_e32 vcc, v12, v10
	v_cndmask_b32_e32 v10, v10, v12, vcc
.LBB97_33:
	v_cvt_f32_u32_e32 v11, s18
	s_waitcnt lgkmcnt(0)
	v_mul_f32_e32 v13, 0x3c010204, v10
	s_sub_i32 s2, 0, s18
	v_cmp_gt_u32_e32 vcc, s9, v1
	v_rcp_iflag_f32_e32 v11, v11
	s_mov_b64 s[16:17], 0
	v_mul_f32_e32 v10, 0x4f7ffffe, v11
	v_cvt_u32_f32_e32 v10, v10
	v_mul_lo_u32 v11, s2, v10
	v_mul_hi_u32 v11, v10, v11
	v_add_u32_e32 v10, v10, v11
	v_mul_hi_u32 v10, v0, v10
	v_mul_lo_u32 v11, v10, s18
	v_sub_u32_e32 v11, v0, v11
	v_add_u32_e32 v15, 1, v10
	v_cmp_le_u32_e64 s[2:3], s18, v11
	v_cndmask_b32_e64 v10, v10, v15, s[2:3]
	v_subrev_u32_e32 v15, s18, v11
	v_cndmask_b32_e64 v11, v11, v15, s[2:3]
	v_add_u32_e32 v15, 1, v10
	v_cmp_le_u32_e64 s[2:3], s18, v11
	v_cndmask_b32_e64 v15, v10, v15, s[2:3]
	v_mul_lo_u32 v10, v15, s18
	v_sub_u32_e32 v10, v0, v10
	v_cmp_eq_u32_e64 s[2:3], 0, v10
	s_and_b64 s[18:19], s[2:3], vcc
	s_mov_b64 s[2:3], 0
                                        ; implicit-def: $vgpr10_vgpr11
	s_and_saveexec_b64 s[20:21], s[18:19]
	s_xor_b64 s[18:19], exec, s[20:21]
	s_cbranch_execz .LBB97_42
; %bb.34:
	s_bitcmp0_b32 s14, 0
	s_cbranch_scc0 .LBB97_39
; %bb.35:
	s_ashr_i32 s2, s9, 31
	s_mul_hi_u32 s3, s9, s6
	s_mul_i32 s2, s2, s6
	s_add_i32 s21, s3, s2
	s_mul_i32 s20, s9, s6
	s_mov_b32 s14, s11
	s_or_b64 s[2:3], s[20:21], s[14:15]
	s_mov_b32 s2, 0
	s_cmp_lg_u64 s[2:3], 0
	s_cbranch_scc0 .LBB97_50
; %bb.36:
	s_add_u32 s2, s14, s15
	s_mov_b32 s24, s15
	s_mov_b32 s25, s15
	s_addc_u32 s3, s15, s15
	s_xor_b64 s[26:27], s[2:3], s[24:25]
	v_cvt_f32_u32_e32 v10, s26
	v_cvt_f32_u32_e32 v11, s27
	s_sub_u32 s2, 0, s26
	s_subb_u32 s3, 0, s27
	v_madmk_f32 v10, v11, 0x4f800000, v10
	v_rcp_f32_e32 v10, v10
	v_mul_f32_e32 v10, 0x5f7ffffc, v10
	v_mul_f32_e32 v11, 0x2f800000, v10
	v_trunc_f32_e32 v11, v11
	v_madmk_f32 v10, v11, 0xcf800000, v10
	v_cvt_u32_f32_e32 v11, v11
	v_cvt_u32_f32_e32 v10, v10
	v_readfirstlane_b32 s11, v11
	v_readfirstlane_b32 s15, v10
	s_mul_i32 s28, s2, s11
	s_mul_hi_u32 s30, s2, s15
	s_mul_i32 s29, s3, s15
	s_add_i32 s28, s30, s28
	s_add_i32 s28, s28, s29
	s_mul_i32 s31, s2, s15
	s_mul_hi_u32 s29, s15, s28
	s_mul_i32 s30, s15, s28
	s_mul_hi_u32 s15, s15, s31
	s_add_u32 s15, s15, s30
	s_addc_u32 s29, 0, s29
	s_mul_hi_u32 s33, s11, s31
	s_mul_i32 s31, s11, s31
	s_add_u32 s15, s15, s31
	s_mul_hi_u32 s30, s11, s28
	s_addc_u32 s15, s29, s33
	s_addc_u32 s29, s30, 0
	s_mul_i32 s28, s11, s28
	s_add_u32 s15, s15, s28
	s_addc_u32 s28, 0, s29
	v_add_co_u32_e32 v10, vcc, s15, v10
	s_cmp_lg_u64 vcc, 0
	s_addc_u32 s11, s11, s28
	v_readfirstlane_b32 s28, v10
	s_mul_i32 s15, s2, s11
	s_mul_hi_u32 s29, s2, s28
	s_add_i32 s15, s29, s15
	s_mul_i32 s3, s3, s28
	s_add_i32 s15, s15, s3
	s_mul_i32 s2, s2, s28
	s_mul_hi_u32 s29, s11, s2
	s_mul_i32 s30, s11, s2
	s_mul_i32 s33, s28, s15
	s_mul_hi_u32 s2, s28, s2
	s_mul_hi_u32 s31, s28, s15
	s_add_u32 s2, s2, s33
	s_addc_u32 s28, 0, s31
	s_add_u32 s2, s2, s30
	s_mul_hi_u32 s3, s11, s15
	s_addc_u32 s2, s28, s29
	s_addc_u32 s3, s3, 0
	s_mul_i32 s15, s11, s15
	s_add_u32 s2, s2, s15
	s_addc_u32 s3, 0, s3
	v_add_co_u32_e32 v10, vcc, s2, v10
	s_cmp_lg_u64 vcc, 0
	s_addc_u32 s11, s11, s3
	s_ashr_i32 s28, s21, 31
	s_add_u32 s2, s20, s28
	s_mov_b32 s29, s28
	s_addc_u32 s3, s21, s28
	s_xor_b64 s[30:31], s[2:3], s[28:29]
	v_readfirstlane_b32 s15, v10
	s_mul_i32 s3, s30, s11
	s_mul_hi_u32 s21, s30, s15
	s_mul_hi_u32 s2, s30, s11
	s_add_u32 s3, s21, s3
	s_addc_u32 s2, 0, s2
	s_mul_hi_u32 s33, s31, s15
	s_mul_i32 s15, s31, s15
	s_add_u32 s3, s3, s15
	s_mul_hi_u32 s21, s31, s11
	s_addc_u32 s2, s2, s33
	s_addc_u32 s3, s21, 0
	s_mul_i32 s11, s31, s11
	s_add_u32 s11, s2, s11
	s_addc_u32 s15, 0, s3
	s_mul_i32 s2, s26, s15
	s_mul_hi_u32 s3, s26, s11
	s_add_i32 s2, s3, s2
	s_mul_i32 s3, s27, s11
	s_add_i32 s21, s2, s3
	s_mul_i32 s3, s26, s11
	v_mov_b32_e32 v10, s3
	s_sub_i32 s2, s31, s21
	v_sub_co_u32_e32 v10, vcc, s30, v10
	s_cmp_lg_u64 vcc, 0
	s_subb_u32 s30, s2, s27
	v_subrev_co_u32_e64 v11, s[2:3], s26, v10
	s_cmp_lg_u64 s[2:3], 0
	s_subb_u32 s30, s30, 0
	s_cmp_ge_u32 s30, s27
	s_cselect_b32 s33, -1, 0
	v_cmp_le_u32_e64 s[2:3], s26, v11
	s_cmp_eq_u32 s30, s27
	v_cndmask_b32_e64 v11, 0, -1, s[2:3]
	v_mov_b32_e32 v16, s33
	s_cselect_b64 s[2:3], -1, 0
	v_cndmask_b32_e64 v11, v16, v11, s[2:3]
	s_add_u32 s2, s11, 1
	s_addc_u32 s30, s15, 0
	s_add_u32 s3, s11, 2
	s_addc_u32 s33, s15, 0
	v_mov_b32_e32 v16, s2
	v_mov_b32_e32 v17, s3
	v_cmp_ne_u32_e64 s[2:3], 0, v11
	v_cndmask_b32_e64 v11, v16, v17, s[2:3]
	v_mov_b32_e32 v16, s30
	v_mov_b32_e32 v17, s33
	s_cmp_lg_u64 vcc, 0
	v_cndmask_b32_e64 v16, v16, v17, s[2:3]
	s_subb_u32 s2, s31, s21
	s_cmp_ge_u32 s2, s27
	s_cselect_b32 s3, -1, 0
	v_cmp_le_u32_e32 vcc, s26, v10
	s_cmp_eq_u32 s2, s27
	v_cndmask_b32_e64 v10, 0, -1, vcc
	v_mov_b32_e32 v17, s3
	s_cselect_b64 vcc, -1, 0
	v_cndmask_b32_e32 v10, v17, v10, vcc
	v_mov_b32_e32 v17, s15
	v_cmp_ne_u32_e32 vcc, 0, v10
	v_cndmask_b32_e32 v10, v17, v16, vcc
	v_mov_b32_e32 v16, s11
	v_cndmask_b32_e32 v11, v16, v11, vcc
	s_xor_b64 s[2:3], s[28:29], s[24:25]
	v_xor_b32_e32 v11, s2, v11
	v_xor_b32_e32 v16, s3, v10
	v_mov_b32_e32 v17, s3
	v_subrev_co_u32_e32 v10, vcc, s2, v11
	v_subb_co_u32_e32 v11, vcc, v16, v17, vcc
	s_cbranch_execnz .LBB97_38
.LBB97_37:
	v_cvt_f32_u32_e32 v10, s14
	s_sub_i32 s2, 0, s14
	s_mov_b32 s3, 0
	v_rcp_iflag_f32_e32 v10, v10
	v_mul_f32_e32 v10, 0x4f7ffffe, v10
	v_cvt_u32_f32_e32 v10, v10
	v_readfirstlane_b32 s11, v10
	s_mul_i32 s2, s2, s11
	s_mul_hi_u32 s2, s11, s2
	s_add_i32 s11, s11, s2
	s_mul_hi_u32 s2, s20, s11
	s_mul_i32 s15, s2, s14
	s_sub_i32 s15, s20, s15
	s_add_i32 s11, s2, 1
	s_sub_i32 s20, s15, s14
	s_cmp_ge_u32 s15, s14
	s_cselect_b32 s2, s11, s2
	s_cselect_b32 s15, s20, s15
	s_add_i32 s11, s2, 1
	s_cmp_ge_u32 s15, s14
	s_cselect_b32 s2, s11, s2
	v_pk_mov_b32 v[10:11], s[2:3], s[2:3] op_sel:[0,1]
.LBB97_38:
	v_add_co_u32_e32 v10, vcc, v10, v15
	v_addc_co_u32_e32 v11, vcc, 0, v11, vcc
	s_branch .LBB97_41
.LBB97_39:
                                        ; implicit-def: $vgpr10_vgpr11
	s_cbranch_execz .LBB97_41
; %bb.40:
	v_mul_lo_u32 v10, v15, s8
	v_ashrrev_i32_e32 v11, 31, v10
	v_mov_b32_e32 v15, s7
	v_add_co_u32_e32 v10, vcc, s6, v10
	v_addc_co_u32_e32 v11, vcc, v11, v15, vcc
.LBB97_41:
	s_mov_b64 s[2:3], exec
.LBB97_42:
	s_or_b64 exec, exec, s[18:19]
	s_and_b64 vcc, exec, s[16:17]
	s_cbranch_vccz .LBB97_46
.LBB97_43:
	v_mov_b32_dpp v10, v12 quad_perm:[1,0,3,2] row_mask:0xf bank_mask:0xf
	v_cmp_gt_f32_e32 vcc, v12, v10
	v_cndmask_b32_e32 v10, v10, v12, vcc
	s_nop 1
	v_mov_b32_dpp v11, v10 quad_perm:[2,3,0,1] row_mask:0xf bank_mask:0xf
	v_cmp_gt_f32_e32 vcc, v10, v11
	v_cndmask_b32_e32 v10, v11, v10, vcc
	s_nop 1
	v_mov_b32_dpp v11, v10 row_half_mirror row_mask:0xf bank_mask:0xf
	v_cmp_gt_f32_e32 vcc, v10, v11
	v_cndmask_b32_e32 v10, v11, v10, vcc
	s_nop 1
	v_mov_b32_dpp v11, v10 row_mirror row_mask:0xf bank_mask:0xf
	v_cmp_gt_f32_e32 vcc, v10, v11
	v_cndmask_b32_e32 v10, v11, v10, vcc
	s_nop 1
	v_mov_b32_dpp v11, v10 row_bcast:15 row_mask:0xf bank_mask:0xf
	v_cmp_gt_f32_e32 vcc, v10, v11
	v_cndmask_b32_e32 v10, v11, v10, vcc
	s_nop 1
	v_mov_b32_dpp v11, v10 row_bcast:31 row_mask:0xf bank_mask:0xf
	s_and_saveexec_b64 s[2:3], s[0:1]
	s_cbranch_execz .LBB97_45
; %bb.44:
	v_lshrrev_b32_e32 v12, 4, v0
	v_cmp_gt_f32_e32 vcc, v10, v11
	v_and_b32_e32 v12, 60, v12
	v_cndmask_b32_e32 v10, v11, v10, vcc
	ds_write_b32 v12, v10
.LBB97_45:
	s_or_b64 exec, exec, s[2:3]
	s_waitcnt lgkmcnt(0)
	s_barrier
	ds_read_b32 v10, v14
	v_cmp_eq_u32_e64 s[2:3], 0, v0
	s_waitcnt lgkmcnt(0)
	v_mov_b32_dpp v11, v10 quad_perm:[1,0,3,2] row_mask:0xf bank_mask:0xf
	v_cmp_gt_f32_e32 vcc, v10, v11
	v_cndmask_b32_e32 v10, v11, v10, vcc
	s_nop 1
	v_mov_b32_dpp v11, v10 quad_perm:[2,3,0,1] row_mask:0xf bank_mask:0xf
	v_cmp_gt_f32_e32 vcc, v10, v11
	v_cndmask_b32_e32 v10, v11, v10, vcc
	v_mul_f32_e32 v13, 0x3c010204, v10
	v_pk_mov_b32 v[10:11], s[6:7], s[6:7] op_sel:[0,1]
.LBB97_46:
	s_and_saveexec_b64 s[0:1], s[2:3]
	s_cbranch_execz .LBB97_48
; %bb.47:
	v_lshlrev_b64 v[10:11], 2, v[10:11]
	v_mov_b32_e32 v0, s13
	v_add_co_u32_e32 v10, vcc, s12, v10
	v_addc_co_u32_e32 v11, vcc, v0, v11, vcc
	global_store_dword v[10:11], v13, off
.LBB97_48:
	s_or_b64 exec, exec, s[0:1]
	s_add_i32 s2, s9, 3
	s_load_dwordx2 s[0:1], s[4:5], 0x0
	s_ashr_i32 s3, s2, 31
	;;#ASMSTART
	v_rcp_f32 v10, v13
	;;#ASMEND
	v_mov_b32_e32 v11, v10
	;;#ASMSTART
	v_pk_mul_f32 v[8:9], v[8:9], v[10:11]
	;;#ASMEND
	;;#ASMSTART
	v_pk_mul_f32 v[6:7], v[6:7], v[10:11]
	;;#ASMEND
	s_lshr_b32 s3, s3, 30
	v_cvt_i32_f32_e32 v0, v8
	v_cvt_i32_f32_sdwa v8, v9 dst_sel:BYTE_1 dst_unused:UNUSED_PAD src0_sel:DWORD
	v_cvt_i32_f32_e32 v6, v6
	v_cvt_i32_f32_sdwa v7, v7 dst_sel:BYTE_1 dst_unused:UNUSED_PAD src0_sel:DWORD
	;;#ASMSTART
	v_pk_mul_f32 v[4:5], v[4:5], v[10:11]
	;;#ASMEND
	;;#ASMSTART
	v_pk_mul_f32 v[2:3], v[2:3], v[10:11]
	;;#ASMEND
	s_add_i32 s2, s2, s3
	s_ashr_i32 s3, s10, 31
	v_cvt_i32_f32_e32 v4, v4
	v_cvt_i32_f32_sdwa v5, v5 dst_sel:BYTE_1 dst_unused:UNUSED_PAD src0_sel:DWORD
	v_cvt_i32_f32_e32 v9, v2
	v_cvt_i32_f32_sdwa v3, v3 dst_sel:BYTE_1 dst_unused:UNUSED_PAD src0_sel:DWORD
	s_mul_hi_u32 s4, s10, s6
	s_mul_i32 s3, s3, s6
	s_and_b32 s2, s2, -4
	s_add_i32 s4, s4, s3
	s_mul_i32 s3, s10, s6
	s_waitcnt lgkmcnt(0)
	s_add_u32 s0, s0, s3
	v_or_b32_sdwa v0, v0, v8 dst_sel:DWORD dst_unused:UNUSED_PAD src0_sel:BYTE_0 src1_sel:DWORD
	v_or_b32_sdwa v2, v6, v7 dst_sel:WORD_1 dst_unused:UNUSED_PAD src0_sel:BYTE_0 src1_sel:DWORD
	s_addc_u32 s1, s1, s4
	v_or_b32_sdwa v2, v0, v2 dst_sel:DWORD dst_unused:UNUSED_PAD src0_sel:WORD_0 src1_sel:DWORD
	v_or_b32_sdwa v0, v4, v5 dst_sel:DWORD dst_unused:UNUSED_PAD src0_sel:BYTE_0 src1_sel:DWORD
	v_or_b32_sdwa v3, v9, v3 dst_sel:WORD_1 dst_unused:UNUSED_PAD src0_sel:BYTE_0 src1_sel:DWORD
	s_and_b32 s1, s1, 0xffff
	s_mov_b32 s3, 0x20000
	v_or_b32_sdwa v3, v0, v3 dst_sel:DWORD dst_unused:UNUSED_PAD src0_sel:WORD_0 src1_sel:DWORD
	buffer_store_dwordx2 v[2:3], v1, s[0:3], 0 offen
	;;#ASMSTART
	s_nop 0
	;;#ASMEND
.LBB97_49:
	s_endpgm
.LBB97_50:
                                        ; implicit-def: $vgpr10_vgpr11
	s_branch .LBB97_37
	.section	.rodata,"a",@progbits
	.p2align	6, 0x0
	.amdhsa_kernel _ZN5aiter24add_rmsnorm_quant_kernelIDF16_aLi256ELi8ELb0ELb1ELb1ELi1EEEvPT0_PT_PfS4_S4_S4_diiiiiiib
		.amdhsa_group_segment_fixed_size 32
		.amdhsa_private_segment_fixed_size 0
		.amdhsa_kernarg_size 88
		.amdhsa_user_sgpr_count 6
		.amdhsa_user_sgpr_private_segment_buffer 1
		.amdhsa_user_sgpr_dispatch_ptr 0
		.amdhsa_user_sgpr_queue_ptr 0
		.amdhsa_user_sgpr_kernarg_segment_ptr 1
		.amdhsa_user_sgpr_dispatch_id 0
		.amdhsa_user_sgpr_flat_scratch_init 0
		.amdhsa_user_sgpr_kernarg_preload_length 0
		.amdhsa_user_sgpr_kernarg_preload_offset 0
		.amdhsa_user_sgpr_private_segment_size 0
		.amdhsa_uses_dynamic_stack 0
		.amdhsa_system_sgpr_private_segment_wavefront_offset 0
		.amdhsa_system_sgpr_workgroup_id_x 1
		.amdhsa_system_sgpr_workgroup_id_y 0
		.amdhsa_system_sgpr_workgroup_id_z 0
		.amdhsa_system_sgpr_workgroup_info 0
		.amdhsa_system_vgpr_workitem_id 0
		.amdhsa_next_free_vgpr 24
		.amdhsa_next_free_sgpr 34
		.amdhsa_accum_offset 24
		.amdhsa_reserve_vcc 1
		.amdhsa_reserve_flat_scratch 0
		.amdhsa_float_round_mode_32 0
		.amdhsa_float_round_mode_16_64 0
		.amdhsa_float_denorm_mode_32 3
		.amdhsa_float_denorm_mode_16_64 3
		.amdhsa_dx10_clamp 1
		.amdhsa_ieee_mode 1
		.amdhsa_fp16_overflow 0
		.amdhsa_tg_split 0
		.amdhsa_exception_fp_ieee_invalid_op 0
		.amdhsa_exception_fp_denorm_src 0
		.amdhsa_exception_fp_ieee_div_zero 0
		.amdhsa_exception_fp_ieee_overflow 0
		.amdhsa_exception_fp_ieee_underflow 0
		.amdhsa_exception_fp_ieee_inexact 0
		.amdhsa_exception_int_div_zero 0
	.end_amdhsa_kernel
	.section	.text._ZN5aiter24add_rmsnorm_quant_kernelIDF16_aLi256ELi8ELb0ELb1ELb1ELi1EEEvPT0_PT_PfS4_S4_S4_diiiiiiib,"axG",@progbits,_ZN5aiter24add_rmsnorm_quant_kernelIDF16_aLi256ELi8ELb0ELb1ELb1ELi1EEEvPT0_PT_PfS4_S4_S4_diiiiiiib,comdat
.Lfunc_end97:
	.size	_ZN5aiter24add_rmsnorm_quant_kernelIDF16_aLi256ELi8ELb0ELb1ELb1ELi1EEEvPT0_PT_PfS4_S4_S4_diiiiiiib, .Lfunc_end97-_ZN5aiter24add_rmsnorm_quant_kernelIDF16_aLi256ELi8ELb0ELb1ELb1ELi1EEEvPT0_PT_PfS4_S4_S4_diiiiiiib
                                        ; -- End function
	.section	.AMDGPU.csdata,"",@progbits
; Kernel info:
; codeLenInByte = 3064
; NumSgprs: 38
; NumVgprs: 24
; NumAgprs: 0
; TotalNumVgprs: 24
; ScratchSize: 0
; MemoryBound: 0
; FloatMode: 240
; IeeeMode: 1
; LDSByteSize: 32 bytes/workgroup (compile time only)
; SGPRBlocks: 4
; VGPRBlocks: 2
; NumSGPRsForWavesPerEU: 38
; NumVGPRsForWavesPerEU: 24
; AccumOffset: 24
; Occupancy: 8
; WaveLimiterHint : 0
; COMPUTE_PGM_RSRC2:SCRATCH_EN: 0
; COMPUTE_PGM_RSRC2:USER_SGPR: 6
; COMPUTE_PGM_RSRC2:TRAP_HANDLER: 0
; COMPUTE_PGM_RSRC2:TGID_X_EN: 1
; COMPUTE_PGM_RSRC2:TGID_Y_EN: 0
; COMPUTE_PGM_RSRC2:TGID_Z_EN: 0
; COMPUTE_PGM_RSRC2:TIDIG_COMP_CNT: 0
; COMPUTE_PGM_RSRC3_GFX90A:ACCUM_OFFSET: 5
; COMPUTE_PGM_RSRC3_GFX90A:TG_SPLIT: 0
	.section	.text._ZN5aiter24add_rmsnorm_quant_kernelItaLi256ELi8ELb0ELb1ELb1ELi1EEEvPT0_PT_PfS4_S4_S4_diiiiiiib,"axG",@progbits,_ZN5aiter24add_rmsnorm_quant_kernelItaLi256ELi8ELb0ELb1ELb1ELi1EEEvPT0_PT_PfS4_S4_S4_diiiiiiib,comdat
	.protected	_ZN5aiter24add_rmsnorm_quant_kernelItaLi256ELi8ELb0ELb1ELb1ELi1EEEvPT0_PT_PfS4_S4_S4_diiiiiiib ; -- Begin function _ZN5aiter24add_rmsnorm_quant_kernelItaLi256ELi8ELb0ELb1ELb1ELi1EEEvPT0_PT_PfS4_S4_S4_diiiiiiib
	.globl	_ZN5aiter24add_rmsnorm_quant_kernelItaLi256ELi8ELb0ELb1ELb1ELi1EEEvPT0_PT_PfS4_S4_S4_diiiiiiib
	.p2align	8
	.type	_ZN5aiter24add_rmsnorm_quant_kernelItaLi256ELi8ELb0ELb1ELb1ELi1EEEvPT0_PT_PfS4_S4_S4_diiiiiiib,@function
_ZN5aiter24add_rmsnorm_quant_kernelItaLi256ELi8ELb0ELb1ELb1ELi1EEEvPT0_PT_PfS4_S4_S4_diiiiiiib: ; @_ZN5aiter24add_rmsnorm_quant_kernelItaLi256ELi8ELb0ELb1ELb1ELi1EEEvPT0_PT_PfS4_S4_S4_diiiiiiib
; %bb.0:
	s_load_dwordx4 s[8:11], s[4:5], 0x38
	s_mov_b32 s7, 0
	s_waitcnt lgkmcnt(0)
	s_ashr_i32 s0, s8, 31
	v_mov_b32_e32 v2, s8
	v_mov_b32_e32 v3, s0
	v_cmp_ge_i64_e32 vcc, s[6:7], v[2:3]
	s_cbranch_vccnz .LBB98_49
; %bb.1:
	s_load_dwordx4 s[12:15], s[4:5], 0x10
	s_load_dwordx4 s[0:3], s[4:5], 0x28
	s_ashr_i32 s11, s10, 31
	s_mul_hi_u32 s16, s10, s6
	s_mul_i32 s11, s11, s6
	s_add_i32 s11, s16, s11
	s_mul_i32 s10, s10, s6
	s_lshl_b64 s[10:11], s[10:11], 1
	s_waitcnt lgkmcnt(0)
	s_add_u32 s16, s14, s10
	s_addc_u32 s10, s15, s11
	s_add_i32 s11, s9, 1
	s_lshr_b32 s14, s11, 31
	s_add_i32 s11, s11, s14
	s_lshl_b32 s11, s11, 1
	s_and_b32 s18, s11, -4
	s_and_b32 s17, s10, 0xffff
	s_mov_b32 s19, 0x20000
	v_lshlrev_b32_e32 v1, 4, v0
	buffer_load_dwordx4 v[14:17], v1, s[16:19], 0 offen glc slc
	s_mov_b32 s16, s0
	s_and_b32 s17, s1, 0xffff
	buffer_load_dwordx4 v[2:5], v1, s[16:19], 0 offen
	v_and_b32_e32 v22, 63, v0
	v_cmp_eq_u32_e64 s[0:1], 63, v22
	s_waitcnt vmcnt(1)
	v_cvt_f32_u32_sdwa v13, v14 dst_sel:DWORD dst_unused:UNUSED_PAD src0_sel:WORD_1
	v_cvt_f32_u32_sdwa v12, v14 dst_sel:DWORD dst_unused:UNUSED_PAD src0_sel:WORD_0
	v_cvt_f32_u32_sdwa v11, v15 dst_sel:DWORD dst_unused:UNUSED_PAD src0_sel:WORD_1
	v_cvt_f32_u32_sdwa v10, v15 dst_sel:DWORD dst_unused:UNUSED_PAD src0_sel:WORD_0
	;; [unrolled: 2-line block ×3, first 2 shown]
	v_pk_mul_f32 v[14:15], v[12:13], v[12:13]
	v_cvt_f32_u32_sdwa v7, v17 dst_sel:DWORD dst_unused:UNUSED_PAD src0_sel:WORD_1
	v_cvt_f32_u32_sdwa v6, v17 dst_sel:DWORD dst_unused:UNUSED_PAD src0_sel:WORD_0
	v_pk_mul_f32 v[16:17], v[10:11], v[10:11]
	v_add_f32_e32 v1, v14, v15
	v_add_f32_e32 v1, v16, v1
	v_pk_mul_f32 v[18:19], v[8:9], v[8:9]
	v_add_f32_e32 v1, v17, v1
	v_add_f32_e32 v1, v18, v1
	;; [unrolled: 3-line block ×3, first 2 shown]
	v_add_f32_e32 v1, v21, v1
	s_nop 1
	v_mov_b32_dpp v14, v1 quad_perm:[1,0,3,2] row_mask:0xf bank_mask:0xf
	v_add_f32_e32 v1, v1, v14
	s_nop 1
	v_mov_b32_dpp v14, v1 quad_perm:[2,3,0,1] row_mask:0xf bank_mask:0xf
	v_add_f32_e32 v1, v1, v14
	s_nop 1
	v_mov_b32_dpp v14, v1 row_half_mirror row_mask:0xf bank_mask:0xf
	v_add_f32_e32 v1, v1, v14
	s_nop 1
	v_mov_b32_dpp v14, v1 row_mirror row_mask:0xf bank_mask:0xf
	v_add_f32_e32 v1, v1, v14
	s_nop 1
	v_mov_b32_dpp v14, v1 row_bcast:15 row_mask:0xf bank_mask:0xf
	v_add_f32_e32 v1, v1, v14
	s_nop 1
	v_mov_b32_dpp v14, v1 row_bcast:31 row_mask:0xf bank_mask:0xf
	s_and_saveexec_b64 s[10:11], s[0:1]
	s_cbranch_execz .LBB98_3
; %bb.2:
	v_lshrrev_b32_e32 v15, 4, v0
	v_and_b32_e32 v15, 60, v15
	v_add_f32_e32 v1, v1, v14
	ds_write_b32 v15, v1 offset:16
.LBB98_3:
	s_or_b64 exec, exec, s[10:11]
	v_and_b32_e32 v1, 3, v0
	v_lshlrev_b32_e32 v14, 2, v1
	s_waitcnt lgkmcnt(0)
	s_barrier
	ds_read_b32 v1, v14 offset:16
	v_cvt_f32_i32_e32 v15, s9
	s_waitcnt vmcnt(0)
	v_cvt_f32_u32_sdwa v21, v3 dst_sel:DWORD dst_unused:UNUSED_PAD src0_sel:WORD_1
	v_cvt_f32_u32_sdwa v23, v5 dst_sel:DWORD dst_unused:UNUSED_PAD src0_sel:WORD_1
	v_cvt_f32_u32_sdwa v22, v5 dst_sel:DWORD dst_unused:UNUSED_PAD src0_sel:WORD_0
	s_waitcnt lgkmcnt(0)
	v_mov_b32_dpp v16, v1 quad_perm:[1,0,3,2] row_mask:0xf bank_mask:0xf
	v_add_f32_e32 v1, v1, v16
	s_nop 1
	v_mov_b32_dpp v16, v1 quad_perm:[2,3,0,1] row_mask:0xf bank_mask:0xf
	v_add_f32_e32 v1, v1, v16
	v_div_scale_f32 v16, s[10:11], v15, v15, v1
	v_rcp_f32_e32 v17, v16
	v_div_scale_f32 v18, vcc, v1, v15, v1
	s_load_dwordx2 s[10:11], s[4:5], 0x4c
	s_load_dword s14, s[4:5], 0x54
	v_fma_f32 v19, -v16, v17, 1.0
	v_fmac_f32_e32 v17, v19, v17
	v_mul_f32_e32 v19, v18, v17
	v_fma_f32 v20, -v16, v19, v18
	v_fmac_f32_e32 v19, v20, v17
	v_fma_f32 v16, -v16, v19, v18
	v_div_fmas_f32 v16, v16, v17, v19
	v_div_fixup_f32 v1, v16, v15, v1
	v_cvt_f64_f32_e32 v[16:17], v1
	v_add_f64 v[16:17], v[16:17], s[2:3]
	v_cvt_f32_f64_e32 v1, v[16:17]
	s_mov_b32 s2, 0x800000
	v_mul_f32_e32 v15, 0x4b800000, v1
	v_cmp_gt_f32_e32 vcc, s2, v1
	v_cndmask_b32_e32 v1, v1, v15, vcc
	v_rsq_f32_e32 v15, v1
	v_cvt_f32_u32_sdwa v20, v3 dst_sel:DWORD dst_unused:UNUSED_PAD src0_sel:WORD_0
	v_cvt_f32_u32_sdwa v3, v4 dst_sel:DWORD dst_unused:UNUSED_PAD src0_sel:WORD_1
	v_lshlrev_b32_e32 v1, 3, v0
	v_mul_f32_e32 v16, 0x45800000, v15
	v_cndmask_b32_e32 v16, v15, v16, vcc
	v_mov_b32_e32 v17, v16
	;;#ASMSTART
	v_pk_mul_f32 v[12:13], v[12:13], v[16:17]
	;;#ASMEND
	;;#ASMSTART
	v_pk_mul_f32 v[10:11], v[10:11], v[16:17]
	;;#ASMEND
	;; [unrolled: 3-line block ×4, first 2 shown]
	v_cvt_f32_u32_sdwa v7, v2 dst_sel:DWORD dst_unused:UNUSED_PAD src0_sel:WORD_1
	v_cvt_f32_u32_sdwa v6, v2 dst_sel:DWORD dst_unused:UNUSED_PAD src0_sel:WORD_0
	v_cvt_f32_u32_sdwa v2, v4 dst_sel:DWORD dst_unused:UNUSED_PAD src0_sel:WORD_0
	;;#ASMSTART
	v_pk_mul_f32 v[8:9], v[12:13], v[6:7]
	;;#ASMEND
	;;#ASMSTART
	v_pk_mul_f32 v[6:7], v[10:11], v[20:21]
	;;#ASMEND
	v_and_b32_e32 v10, 0x7fffffff, v8
	v_mov_b32_e32 v12, 0x2edbe6ff
	;;#ASMSTART
	v_pk_mul_f32 v[4:5], v[18:19], v[2:3]
	;;#ASMEND
	;;#ASMSTART
	v_pk_mul_f32 v[2:3], v[16:17], v[22:23]
	;;#ASMEND
	v_and_b32_e32 v11, 0x7fffffff, v9
	;;#ASMSTART
	v_max3_f32 v10, v12, v10, v11

	;;#ASMEND
	v_and_b32_e32 v12, 0x7fffffff, v7
	v_and_b32_e32 v11, 0x7fffffff, v6
	;;#ASMSTART
	v_max3_f32 v10, v10, v11, v12

	;;#ASMEND
	v_and_b32_e32 v12, 0x7fffffff, v5
	;; [unrolled: 6-line block ×3, first 2 shown]
	s_waitcnt lgkmcnt(0)
	s_cmp_lg_u32 s11, 0
	v_and_b32_e32 v11, 0x7fffffff, v2
	;;#ASMSTART
	v_max3_f32 v12, v10, v11, v12

	;;#ASMEND
	s_cbranch_scc0 .LBB98_10
; %bb.4:
	s_ashr_i32 s15, s11, 31
	s_lshr_b32 s2, s15, 29
	s_add_i32 s2, s11, s2
	s_ashr_i32 s18, s2, 3
	s_cmp_lt_i32 s18, 16
	s_cbranch_scc1 .LBB98_11
; %bb.5:
	s_cmp_lt_i32 s18, 32
	s_cbranch_scc1 .LBB98_12
; %bb.6:
	s_cmp_lt_i32 s18, 64
	s_cbranch_scc1 .LBB98_13
; %bb.7:
	s_cmp_eq_u32 s18, 64
	v_mov_b32_e32 v10, v12
	s_cbranch_scc0 .LBB98_9
; %bb.8:
	s_nop 0
	v_mov_b32_dpp v10, v12 quad_perm:[1,0,3,2] row_mask:0xf bank_mask:0xf
	v_cmp_gt_f32_e32 vcc, v12, v10
	v_cndmask_b32_e32 v10, v10, v12, vcc
	v_bfrev_b32_e32 v13, 0.5
	s_nop 0
	v_mov_b32_dpp v11, v10 quad_perm:[2,3,0,1] row_mask:0xf bank_mask:0xf
	v_cmp_gt_f32_e32 vcc, v10, v11
	v_cndmask_b32_e32 v10, v11, v10, vcc
	s_nop 1
	v_mov_b32_dpp v11, v10 row_ror:4 row_mask:0xf bank_mask:0xf
	v_cmp_gt_f32_e32 vcc, v10, v11
	v_cndmask_b32_e32 v10, v11, v10, vcc
	s_nop 1
	v_mov_b32_dpp v11, v10 row_ror:8 row_mask:0xf bank_mask:0xf
	v_cmp_gt_f32_e32 vcc, v10, v11
	v_cndmask_b32_e32 v10, v11, v10, vcc
	s_nop 1
	v_mov_b32_dpp v11, v10 row_bcast:15 row_mask:0xf bank_mask:0xf
	v_cmp_gt_f32_e32 vcc, v10, v11
	v_cndmask_b32_e32 v10, v11, v10, vcc
	s_nop 1
	v_mov_b32_dpp v11, v10 row_bcast:31 row_mask:0xf bank_mask:0xf
	v_cmp_gt_f32_e32 vcc, v10, v11
	v_cndmask_b32_e32 v10, v11, v10, vcc
	v_mbcnt_lo_u32_b32 v11, -1, 0
	v_mbcnt_hi_u32_b32 v11, -1, v11
	v_lshl_or_b32 v11, v11, 2, v13
	ds_bpermute_b32 v10, v11, v10
.LBB98_9:
	s_mov_b64 s[2:3], 0
	s_branch .LBB98_14
.LBB98_10:
	s_mov_b64 s[2:3], 0
                                        ; implicit-def: $vgpr13
                                        ; implicit-def: $vgpr10_vgpr11
	s_cbranch_execnz .LBB98_43
	s_branch .LBB98_46
.LBB98_11:
                                        ; implicit-def: $vgpr10
	s_branch .LBB98_21
.LBB98_12:
                                        ; implicit-def: $vgpr10
	s_branch .LBB98_18
.LBB98_13:
	s_mov_b64 s[2:3], -1
                                        ; implicit-def: $vgpr10
.LBB98_14:
	s_andn2_b64 vcc, exec, s[2:3]
	s_cbranch_vccnz .LBB98_17
; %bb.15:
	s_cmp_eq_u32 s18, 32
	s_waitcnt lgkmcnt(0)
	v_mov_b32_e32 v10, v12
	s_cbranch_scc0 .LBB98_17
; %bb.16:
	s_nop 0
	v_mov_b32_dpp v10, v12 quad_perm:[1,0,3,2] row_mask:0xf bank_mask:0xf
	v_cmp_gt_f32_e32 vcc, v12, v10
	v_cndmask_b32_e32 v10, v10, v12, vcc
	v_mov_b32_e32 v13, 0x7c
	s_nop 0
	v_mov_b32_dpp v11, v10 quad_perm:[2,3,0,1] row_mask:0xf bank_mask:0xf
	v_cmp_gt_f32_e32 vcc, v10, v11
	v_cndmask_b32_e32 v10, v11, v10, vcc
	s_nop 1
	v_mov_b32_dpp v11, v10 row_half_mirror row_mask:0xf bank_mask:0xf
	v_cmp_gt_f32_e32 vcc, v10, v11
	v_cndmask_b32_e32 v10, v11, v10, vcc
	s_nop 1
	v_mov_b32_dpp v11, v10 row_mirror row_mask:0xf bank_mask:0xf
	v_cmp_gt_f32_e32 vcc, v10, v11
	v_cndmask_b32_e32 v10, v11, v10, vcc
	s_nop 1
	v_mov_b32_dpp v11, v10 row_bcast:15 row_mask:0xa bank_mask:0xf
	v_cmp_gt_f32_e32 vcc, v10, v11
	v_cndmask_b32_e32 v10, v11, v10, vcc
	v_mbcnt_lo_u32_b32 v11, -1, 0
	v_mbcnt_hi_u32_b32 v11, -1, v11
	v_lshl_or_b32 v11, v11, 2, v13
	ds_bpermute_b32 v10, v11, v10
.LBB98_17:
	s_cbranch_execnz .LBB98_20
.LBB98_18:
	s_cmp_eq_u32 s18, 16
	s_waitcnt lgkmcnt(0)
	v_mov_b32_e32 v10, v12
	s_cbranch_scc0 .LBB98_20
; %bb.19:
	s_nop 0
	v_mov_b32_dpp v10, v12 quad_perm:[1,0,3,2] row_mask:0xf bank_mask:0xf
	v_cmp_gt_f32_e32 vcc, v12, v10
	v_cndmask_b32_e32 v10, v10, v12, vcc
	s_nop 1
	v_mov_b32_dpp v11, v10 quad_perm:[2,3,0,1] row_mask:0xf bank_mask:0xf
	v_cmp_gt_f32_e32 vcc, v10, v11
	v_cndmask_b32_e32 v10, v11, v10, vcc
	s_nop 1
	v_mov_b32_dpp v11, v10 row_half_mirror row_mask:0xf bank_mask:0xf
	v_cmp_gt_f32_e32 vcc, v10, v11
	v_cndmask_b32_e32 v10, v11, v10, vcc
	s_nop 1
	v_mov_b32_dpp v11, v10 row_mirror row_mask:0xf bank_mask:0xf
	v_cmp_gt_f32_e32 vcc, v10, v11
	v_cndmask_b32_e32 v10, v11, v10, vcc
.LBB98_20:
	s_cbranch_execnz .LBB98_33
.LBB98_21:
	s_cmp_lt_i32 s18, 4
	s_cbranch_scc1 .LBB98_25
; %bb.22:
	s_cmp_lt_i32 s18, 8
	s_cbranch_scc1 .LBB98_26
; %bb.23:
	s_cmp_eq_u32 s18, 8
	s_waitcnt lgkmcnt(0)
	v_mov_b32_e32 v10, v12
	s_cbranch_scc0 .LBB98_27
; %bb.24:
	s_nop 0
	v_mov_b32_dpp v10, v12 quad_perm:[1,0,3,2] row_mask:0xf bank_mask:0xf
	v_cmp_gt_f32_e32 vcc, v12, v10
	v_cndmask_b32_e32 v10, v10, v12, vcc
	s_nop 1
	v_mov_b32_dpp v11, v10 quad_perm:[2,3,0,1] row_mask:0xf bank_mask:0xf
	v_cmp_gt_f32_e32 vcc, v10, v11
	v_cndmask_b32_e32 v10, v11, v10, vcc
	s_nop 1
	v_mov_b32_dpp v11, v10 row_half_mirror row_mask:0xf bank_mask:0xf
	v_cmp_gt_f32_e32 vcc, v10, v11
	v_cndmask_b32_e32 v10, v11, v10, vcc
	s_cbranch_execz .LBB98_28
	s_branch .LBB98_30
.LBB98_25:
                                        ; implicit-def: $vgpr10
	s_branch .LBB98_31
.LBB98_26:
                                        ; implicit-def: $vgpr10
	s_branch .LBB98_28
.LBB98_27:
	s_cbranch_execnz .LBB98_30
.LBB98_28:
	s_cmp_eq_u32 s18, 4
	s_waitcnt lgkmcnt(0)
	v_mov_b32_e32 v10, v12
	s_cbranch_scc0 .LBB98_30
; %bb.29:
	s_nop 0
	v_mov_b32_dpp v10, v12 quad_perm:[1,0,3,2] row_mask:0xf bank_mask:0xf
	v_cmp_gt_f32_e32 vcc, v12, v10
	v_cndmask_b32_e32 v10, v10, v12, vcc
	s_nop 1
	v_mov_b32_dpp v11, v10 quad_perm:[2,3,0,1] row_mask:0xf bank_mask:0xf
	v_cmp_gt_f32_e32 vcc, v10, v11
	v_cndmask_b32_e32 v10, v11, v10, vcc
.LBB98_30:
	s_cbranch_execnz .LBB98_33
.LBB98_31:
	s_cmp_lg_u32 s18, 2
	s_waitcnt lgkmcnt(0)
	v_mov_b32_e32 v10, v12
	s_cbranch_scc1 .LBB98_33
; %bb.32:
	s_nop 0
	v_mov_b32_dpp v10, v12 quad_perm:[1,0,3,2] row_mask:0xf bank_mask:0xf
	v_cmp_gt_f32_e32 vcc, v12, v10
	v_cndmask_b32_e32 v10, v10, v12, vcc
.LBB98_33:
	v_cvt_f32_u32_e32 v11, s18
	s_waitcnt lgkmcnt(0)
	v_mul_f32_e32 v13, 0x3c010204, v10
	s_sub_i32 s2, 0, s18
	v_cmp_gt_u32_e32 vcc, s9, v1
	v_rcp_iflag_f32_e32 v11, v11
	s_mov_b64 s[16:17], 0
	v_mul_f32_e32 v10, 0x4f7ffffe, v11
	v_cvt_u32_f32_e32 v10, v10
	v_mul_lo_u32 v11, s2, v10
	v_mul_hi_u32 v11, v10, v11
	v_add_u32_e32 v10, v10, v11
	v_mul_hi_u32 v10, v0, v10
	v_mul_lo_u32 v11, v10, s18
	v_sub_u32_e32 v11, v0, v11
	v_add_u32_e32 v15, 1, v10
	v_cmp_le_u32_e64 s[2:3], s18, v11
	v_cndmask_b32_e64 v10, v10, v15, s[2:3]
	v_subrev_u32_e32 v15, s18, v11
	v_cndmask_b32_e64 v11, v11, v15, s[2:3]
	v_add_u32_e32 v15, 1, v10
	v_cmp_le_u32_e64 s[2:3], s18, v11
	v_cndmask_b32_e64 v15, v10, v15, s[2:3]
	v_mul_lo_u32 v10, v15, s18
	v_sub_u32_e32 v10, v0, v10
	v_cmp_eq_u32_e64 s[2:3], 0, v10
	s_and_b64 s[18:19], s[2:3], vcc
	s_mov_b64 s[2:3], 0
                                        ; implicit-def: $vgpr10_vgpr11
	s_and_saveexec_b64 s[20:21], s[18:19]
	s_xor_b64 s[18:19], exec, s[20:21]
	s_cbranch_execz .LBB98_42
; %bb.34:
	s_bitcmp0_b32 s14, 0
	s_cbranch_scc0 .LBB98_39
; %bb.35:
	s_ashr_i32 s2, s9, 31
	s_mul_hi_u32 s3, s9, s6
	s_mul_i32 s2, s2, s6
	s_add_i32 s21, s3, s2
	s_mul_i32 s20, s9, s6
	s_mov_b32 s14, s11
	s_or_b64 s[2:3], s[20:21], s[14:15]
	s_mov_b32 s2, 0
	s_cmp_lg_u64 s[2:3], 0
	s_cbranch_scc0 .LBB98_50
; %bb.36:
	s_add_u32 s2, s14, s15
	s_mov_b32 s24, s15
	s_mov_b32 s25, s15
	s_addc_u32 s3, s15, s15
	s_xor_b64 s[26:27], s[2:3], s[24:25]
	v_cvt_f32_u32_e32 v10, s26
	v_cvt_f32_u32_e32 v11, s27
	s_sub_u32 s2, 0, s26
	s_subb_u32 s3, 0, s27
	v_madmk_f32 v10, v11, 0x4f800000, v10
	v_rcp_f32_e32 v10, v10
	v_mul_f32_e32 v10, 0x5f7ffffc, v10
	v_mul_f32_e32 v11, 0x2f800000, v10
	v_trunc_f32_e32 v11, v11
	v_madmk_f32 v10, v11, 0xcf800000, v10
	v_cvt_u32_f32_e32 v11, v11
	v_cvt_u32_f32_e32 v10, v10
	v_readfirstlane_b32 s11, v11
	v_readfirstlane_b32 s15, v10
	s_mul_i32 s28, s2, s11
	s_mul_hi_u32 s30, s2, s15
	s_mul_i32 s29, s3, s15
	s_add_i32 s28, s30, s28
	s_add_i32 s28, s28, s29
	s_mul_i32 s31, s2, s15
	s_mul_hi_u32 s29, s15, s28
	s_mul_i32 s30, s15, s28
	s_mul_hi_u32 s15, s15, s31
	s_add_u32 s15, s15, s30
	s_addc_u32 s29, 0, s29
	s_mul_hi_u32 s33, s11, s31
	s_mul_i32 s31, s11, s31
	s_add_u32 s15, s15, s31
	s_mul_hi_u32 s30, s11, s28
	s_addc_u32 s15, s29, s33
	s_addc_u32 s29, s30, 0
	s_mul_i32 s28, s11, s28
	s_add_u32 s15, s15, s28
	s_addc_u32 s28, 0, s29
	v_add_co_u32_e32 v10, vcc, s15, v10
	s_cmp_lg_u64 vcc, 0
	s_addc_u32 s11, s11, s28
	v_readfirstlane_b32 s28, v10
	s_mul_i32 s15, s2, s11
	s_mul_hi_u32 s29, s2, s28
	s_add_i32 s15, s29, s15
	s_mul_i32 s3, s3, s28
	s_add_i32 s15, s15, s3
	s_mul_i32 s2, s2, s28
	s_mul_hi_u32 s29, s11, s2
	s_mul_i32 s30, s11, s2
	s_mul_i32 s33, s28, s15
	s_mul_hi_u32 s2, s28, s2
	s_mul_hi_u32 s31, s28, s15
	s_add_u32 s2, s2, s33
	s_addc_u32 s28, 0, s31
	s_add_u32 s2, s2, s30
	s_mul_hi_u32 s3, s11, s15
	s_addc_u32 s2, s28, s29
	s_addc_u32 s3, s3, 0
	s_mul_i32 s15, s11, s15
	s_add_u32 s2, s2, s15
	s_addc_u32 s3, 0, s3
	v_add_co_u32_e32 v10, vcc, s2, v10
	s_cmp_lg_u64 vcc, 0
	s_addc_u32 s11, s11, s3
	s_ashr_i32 s28, s21, 31
	s_add_u32 s2, s20, s28
	s_mov_b32 s29, s28
	s_addc_u32 s3, s21, s28
	s_xor_b64 s[30:31], s[2:3], s[28:29]
	v_readfirstlane_b32 s15, v10
	s_mul_i32 s3, s30, s11
	s_mul_hi_u32 s21, s30, s15
	s_mul_hi_u32 s2, s30, s11
	s_add_u32 s3, s21, s3
	s_addc_u32 s2, 0, s2
	s_mul_hi_u32 s33, s31, s15
	s_mul_i32 s15, s31, s15
	s_add_u32 s3, s3, s15
	s_mul_hi_u32 s21, s31, s11
	s_addc_u32 s2, s2, s33
	s_addc_u32 s3, s21, 0
	s_mul_i32 s11, s31, s11
	s_add_u32 s11, s2, s11
	s_addc_u32 s15, 0, s3
	s_mul_i32 s2, s26, s15
	s_mul_hi_u32 s3, s26, s11
	s_add_i32 s2, s3, s2
	s_mul_i32 s3, s27, s11
	s_add_i32 s21, s2, s3
	s_mul_i32 s3, s26, s11
	v_mov_b32_e32 v10, s3
	s_sub_i32 s2, s31, s21
	v_sub_co_u32_e32 v10, vcc, s30, v10
	s_cmp_lg_u64 vcc, 0
	s_subb_u32 s30, s2, s27
	v_subrev_co_u32_e64 v11, s[2:3], s26, v10
	s_cmp_lg_u64 s[2:3], 0
	s_subb_u32 s30, s30, 0
	s_cmp_ge_u32 s30, s27
	s_cselect_b32 s33, -1, 0
	v_cmp_le_u32_e64 s[2:3], s26, v11
	s_cmp_eq_u32 s30, s27
	v_cndmask_b32_e64 v11, 0, -1, s[2:3]
	v_mov_b32_e32 v16, s33
	s_cselect_b64 s[2:3], -1, 0
	v_cndmask_b32_e64 v11, v16, v11, s[2:3]
	s_add_u32 s2, s11, 1
	s_addc_u32 s30, s15, 0
	s_add_u32 s3, s11, 2
	s_addc_u32 s33, s15, 0
	v_mov_b32_e32 v16, s2
	v_mov_b32_e32 v17, s3
	v_cmp_ne_u32_e64 s[2:3], 0, v11
	v_cndmask_b32_e64 v11, v16, v17, s[2:3]
	v_mov_b32_e32 v16, s30
	v_mov_b32_e32 v17, s33
	s_cmp_lg_u64 vcc, 0
	v_cndmask_b32_e64 v16, v16, v17, s[2:3]
	s_subb_u32 s2, s31, s21
	s_cmp_ge_u32 s2, s27
	s_cselect_b32 s3, -1, 0
	v_cmp_le_u32_e32 vcc, s26, v10
	s_cmp_eq_u32 s2, s27
	v_cndmask_b32_e64 v10, 0, -1, vcc
	v_mov_b32_e32 v17, s3
	s_cselect_b64 vcc, -1, 0
	v_cndmask_b32_e32 v10, v17, v10, vcc
	v_mov_b32_e32 v17, s15
	v_cmp_ne_u32_e32 vcc, 0, v10
	v_cndmask_b32_e32 v10, v17, v16, vcc
	v_mov_b32_e32 v16, s11
	v_cndmask_b32_e32 v11, v16, v11, vcc
	s_xor_b64 s[2:3], s[28:29], s[24:25]
	v_xor_b32_e32 v11, s2, v11
	v_xor_b32_e32 v16, s3, v10
	v_mov_b32_e32 v17, s3
	v_subrev_co_u32_e32 v10, vcc, s2, v11
	v_subb_co_u32_e32 v11, vcc, v16, v17, vcc
	s_cbranch_execnz .LBB98_38
.LBB98_37:
	v_cvt_f32_u32_e32 v10, s14
	s_sub_i32 s2, 0, s14
	s_mov_b32 s3, 0
	v_rcp_iflag_f32_e32 v10, v10
	v_mul_f32_e32 v10, 0x4f7ffffe, v10
	v_cvt_u32_f32_e32 v10, v10
	v_readfirstlane_b32 s11, v10
	s_mul_i32 s2, s2, s11
	s_mul_hi_u32 s2, s11, s2
	s_add_i32 s11, s11, s2
	s_mul_hi_u32 s2, s20, s11
	s_mul_i32 s15, s2, s14
	s_sub_i32 s15, s20, s15
	s_add_i32 s11, s2, 1
	s_sub_i32 s20, s15, s14
	s_cmp_ge_u32 s15, s14
	s_cselect_b32 s2, s11, s2
	s_cselect_b32 s15, s20, s15
	s_add_i32 s11, s2, 1
	s_cmp_ge_u32 s15, s14
	s_cselect_b32 s2, s11, s2
	v_pk_mov_b32 v[10:11], s[2:3], s[2:3] op_sel:[0,1]
.LBB98_38:
	v_add_co_u32_e32 v10, vcc, v10, v15
	v_addc_co_u32_e32 v11, vcc, 0, v11, vcc
	s_branch .LBB98_41
.LBB98_39:
                                        ; implicit-def: $vgpr10_vgpr11
	s_cbranch_execz .LBB98_41
; %bb.40:
	v_mul_lo_u32 v10, v15, s8
	v_ashrrev_i32_e32 v11, 31, v10
	v_mov_b32_e32 v15, s7
	v_add_co_u32_e32 v10, vcc, s6, v10
	v_addc_co_u32_e32 v11, vcc, v11, v15, vcc
.LBB98_41:
	s_mov_b64 s[2:3], exec
.LBB98_42:
	s_or_b64 exec, exec, s[18:19]
	s_and_b64 vcc, exec, s[16:17]
	s_cbranch_vccz .LBB98_46
.LBB98_43:
	v_mov_b32_dpp v10, v12 quad_perm:[1,0,3,2] row_mask:0xf bank_mask:0xf
	v_cmp_gt_f32_e32 vcc, v12, v10
	v_cndmask_b32_e32 v10, v10, v12, vcc
	s_nop 1
	v_mov_b32_dpp v11, v10 quad_perm:[2,3,0,1] row_mask:0xf bank_mask:0xf
	v_cmp_gt_f32_e32 vcc, v10, v11
	v_cndmask_b32_e32 v10, v11, v10, vcc
	s_nop 1
	v_mov_b32_dpp v11, v10 row_half_mirror row_mask:0xf bank_mask:0xf
	v_cmp_gt_f32_e32 vcc, v10, v11
	v_cndmask_b32_e32 v10, v11, v10, vcc
	s_nop 1
	v_mov_b32_dpp v11, v10 row_mirror row_mask:0xf bank_mask:0xf
	v_cmp_gt_f32_e32 vcc, v10, v11
	v_cndmask_b32_e32 v10, v11, v10, vcc
	s_nop 1
	v_mov_b32_dpp v11, v10 row_bcast:15 row_mask:0xf bank_mask:0xf
	v_cmp_gt_f32_e32 vcc, v10, v11
	v_cndmask_b32_e32 v10, v11, v10, vcc
	s_nop 1
	v_mov_b32_dpp v11, v10 row_bcast:31 row_mask:0xf bank_mask:0xf
	s_and_saveexec_b64 s[2:3], s[0:1]
	s_cbranch_execz .LBB98_45
; %bb.44:
	v_lshrrev_b32_e32 v12, 4, v0
	v_cmp_gt_f32_e32 vcc, v10, v11
	v_and_b32_e32 v12, 60, v12
	v_cndmask_b32_e32 v10, v11, v10, vcc
	ds_write_b32 v12, v10
.LBB98_45:
	s_or_b64 exec, exec, s[2:3]
	s_waitcnt lgkmcnt(0)
	s_barrier
	ds_read_b32 v10, v14
	v_cmp_eq_u32_e64 s[2:3], 0, v0
	s_waitcnt lgkmcnt(0)
	v_mov_b32_dpp v11, v10 quad_perm:[1,0,3,2] row_mask:0xf bank_mask:0xf
	v_cmp_gt_f32_e32 vcc, v10, v11
	v_cndmask_b32_e32 v10, v11, v10, vcc
	s_nop 1
	v_mov_b32_dpp v11, v10 quad_perm:[2,3,0,1] row_mask:0xf bank_mask:0xf
	v_cmp_gt_f32_e32 vcc, v10, v11
	v_cndmask_b32_e32 v10, v11, v10, vcc
	v_mul_f32_e32 v13, 0x3c010204, v10
	v_pk_mov_b32 v[10:11], s[6:7], s[6:7] op_sel:[0,1]
.LBB98_46:
	s_and_saveexec_b64 s[0:1], s[2:3]
	s_cbranch_execz .LBB98_48
; %bb.47:
	v_lshlrev_b64 v[10:11], 2, v[10:11]
	v_mov_b32_e32 v0, s13
	v_add_co_u32_e32 v10, vcc, s12, v10
	v_addc_co_u32_e32 v11, vcc, v0, v11, vcc
	global_store_dword v[10:11], v13, off
.LBB98_48:
	s_or_b64 exec, exec, s[0:1]
	s_add_i32 s2, s9, 3
	s_load_dwordx2 s[0:1], s[4:5], 0x0
	s_ashr_i32 s3, s2, 31
	;;#ASMSTART
	v_rcp_f32 v10, v13
	;;#ASMEND
	v_mov_b32_e32 v11, v10
	;;#ASMSTART
	v_pk_mul_f32 v[8:9], v[8:9], v[10:11]
	;;#ASMEND
	;;#ASMSTART
	v_pk_mul_f32 v[6:7], v[6:7], v[10:11]
	;;#ASMEND
	s_lshr_b32 s3, s3, 30
	v_cvt_i32_f32_e32 v0, v8
	v_cvt_i32_f32_sdwa v8, v9 dst_sel:BYTE_1 dst_unused:UNUSED_PAD src0_sel:DWORD
	v_cvt_i32_f32_e32 v6, v6
	v_cvt_i32_f32_sdwa v7, v7 dst_sel:BYTE_1 dst_unused:UNUSED_PAD src0_sel:DWORD
	;;#ASMSTART
	v_pk_mul_f32 v[4:5], v[4:5], v[10:11]
	;;#ASMEND
	;;#ASMSTART
	v_pk_mul_f32 v[2:3], v[2:3], v[10:11]
	;;#ASMEND
	s_add_i32 s2, s2, s3
	s_ashr_i32 s3, s10, 31
	v_cvt_i32_f32_e32 v4, v4
	v_cvt_i32_f32_sdwa v5, v5 dst_sel:BYTE_1 dst_unused:UNUSED_PAD src0_sel:DWORD
	v_cvt_i32_f32_e32 v9, v2
	v_cvt_i32_f32_sdwa v3, v3 dst_sel:BYTE_1 dst_unused:UNUSED_PAD src0_sel:DWORD
	s_mul_hi_u32 s4, s10, s6
	s_mul_i32 s3, s3, s6
	s_and_b32 s2, s2, -4
	s_add_i32 s4, s4, s3
	s_mul_i32 s3, s10, s6
	s_waitcnt lgkmcnt(0)
	s_add_u32 s0, s0, s3
	v_or_b32_sdwa v0, v0, v8 dst_sel:DWORD dst_unused:UNUSED_PAD src0_sel:BYTE_0 src1_sel:DWORD
	v_or_b32_sdwa v2, v6, v7 dst_sel:WORD_1 dst_unused:UNUSED_PAD src0_sel:BYTE_0 src1_sel:DWORD
	s_addc_u32 s1, s1, s4
	v_or_b32_sdwa v2, v0, v2 dst_sel:DWORD dst_unused:UNUSED_PAD src0_sel:WORD_0 src1_sel:DWORD
	v_or_b32_sdwa v0, v4, v5 dst_sel:DWORD dst_unused:UNUSED_PAD src0_sel:BYTE_0 src1_sel:DWORD
	v_or_b32_sdwa v3, v9, v3 dst_sel:WORD_1 dst_unused:UNUSED_PAD src0_sel:BYTE_0 src1_sel:DWORD
	s_and_b32 s1, s1, 0xffff
	s_mov_b32 s3, 0x20000
	v_or_b32_sdwa v3, v0, v3 dst_sel:DWORD dst_unused:UNUSED_PAD src0_sel:WORD_0 src1_sel:DWORD
	buffer_store_dwordx2 v[2:3], v1, s[0:3], 0 offen
	;;#ASMSTART
	s_nop 0
	;;#ASMEND
.LBB98_49:
	s_endpgm
.LBB98_50:
                                        ; implicit-def: $vgpr10_vgpr11
	s_branch .LBB98_37
	.section	.rodata,"a",@progbits
	.p2align	6, 0x0
	.amdhsa_kernel _ZN5aiter24add_rmsnorm_quant_kernelItaLi256ELi8ELb0ELb1ELb1ELi1EEEvPT0_PT_PfS4_S4_S4_diiiiiiib
		.amdhsa_group_segment_fixed_size 32
		.amdhsa_private_segment_fixed_size 0
		.amdhsa_kernarg_size 88
		.amdhsa_user_sgpr_count 6
		.amdhsa_user_sgpr_private_segment_buffer 1
		.amdhsa_user_sgpr_dispatch_ptr 0
		.amdhsa_user_sgpr_queue_ptr 0
		.amdhsa_user_sgpr_kernarg_segment_ptr 1
		.amdhsa_user_sgpr_dispatch_id 0
		.amdhsa_user_sgpr_flat_scratch_init 0
		.amdhsa_user_sgpr_kernarg_preload_length 0
		.amdhsa_user_sgpr_kernarg_preload_offset 0
		.amdhsa_user_sgpr_private_segment_size 0
		.amdhsa_uses_dynamic_stack 0
		.amdhsa_system_sgpr_private_segment_wavefront_offset 0
		.amdhsa_system_sgpr_workgroup_id_x 1
		.amdhsa_system_sgpr_workgroup_id_y 0
		.amdhsa_system_sgpr_workgroup_id_z 0
		.amdhsa_system_sgpr_workgroup_info 0
		.amdhsa_system_vgpr_workitem_id 0
		.amdhsa_next_free_vgpr 24
		.amdhsa_next_free_sgpr 34
		.amdhsa_accum_offset 24
		.amdhsa_reserve_vcc 1
		.amdhsa_reserve_flat_scratch 0
		.amdhsa_float_round_mode_32 0
		.amdhsa_float_round_mode_16_64 0
		.amdhsa_float_denorm_mode_32 3
		.amdhsa_float_denorm_mode_16_64 3
		.amdhsa_dx10_clamp 1
		.amdhsa_ieee_mode 1
		.amdhsa_fp16_overflow 0
		.amdhsa_tg_split 0
		.amdhsa_exception_fp_ieee_invalid_op 0
		.amdhsa_exception_fp_denorm_src 0
		.amdhsa_exception_fp_ieee_div_zero 0
		.amdhsa_exception_fp_ieee_overflow 0
		.amdhsa_exception_fp_ieee_underflow 0
		.amdhsa_exception_fp_ieee_inexact 0
		.amdhsa_exception_int_div_zero 0
	.end_amdhsa_kernel
	.section	.text._ZN5aiter24add_rmsnorm_quant_kernelItaLi256ELi8ELb0ELb1ELb1ELi1EEEvPT0_PT_PfS4_S4_S4_diiiiiiib,"axG",@progbits,_ZN5aiter24add_rmsnorm_quant_kernelItaLi256ELi8ELb0ELb1ELb1ELi1EEEvPT0_PT_PfS4_S4_S4_diiiiiiib,comdat
.Lfunc_end98:
	.size	_ZN5aiter24add_rmsnorm_quant_kernelItaLi256ELi8ELb0ELb1ELb1ELi1EEEvPT0_PT_PfS4_S4_S4_diiiiiiib, .Lfunc_end98-_ZN5aiter24add_rmsnorm_quant_kernelItaLi256ELi8ELb0ELb1ELb1ELi1EEEvPT0_PT_PfS4_S4_S4_diiiiiiib
                                        ; -- End function
	.section	.AMDGPU.csdata,"",@progbits
; Kernel info:
; codeLenInByte = 3096
; NumSgprs: 38
; NumVgprs: 24
; NumAgprs: 0
; TotalNumVgprs: 24
; ScratchSize: 0
; MemoryBound: 0
; FloatMode: 240
; IeeeMode: 1
; LDSByteSize: 32 bytes/workgroup (compile time only)
; SGPRBlocks: 4
; VGPRBlocks: 2
; NumSGPRsForWavesPerEU: 38
; NumVGPRsForWavesPerEU: 24
; AccumOffset: 24
; Occupancy: 8
; WaveLimiterHint : 0
; COMPUTE_PGM_RSRC2:SCRATCH_EN: 0
; COMPUTE_PGM_RSRC2:USER_SGPR: 6
; COMPUTE_PGM_RSRC2:TRAP_HANDLER: 0
; COMPUTE_PGM_RSRC2:TGID_X_EN: 1
; COMPUTE_PGM_RSRC2:TGID_Y_EN: 0
; COMPUTE_PGM_RSRC2:TGID_Z_EN: 0
; COMPUTE_PGM_RSRC2:TIDIG_COMP_CNT: 0
; COMPUTE_PGM_RSRC3_GFX90A:ACCUM_OFFSET: 5
; COMPUTE_PGM_RSRC3_GFX90A:TG_SPLIT: 0
	.section	.text._ZN5aiter24add_rmsnorm_quant_kernelIDF16_aLi256ELi8ELb0ELb1ELb0ELi1EEEvPT0_PT_PfS4_S4_S4_diiiiiiib,"axG",@progbits,_ZN5aiter24add_rmsnorm_quant_kernelIDF16_aLi256ELi8ELb0ELb1ELb0ELi1EEEvPT0_PT_PfS4_S4_S4_diiiiiiib,comdat
	.protected	_ZN5aiter24add_rmsnorm_quant_kernelIDF16_aLi256ELi8ELb0ELb1ELb0ELi1EEEvPT0_PT_PfS4_S4_S4_diiiiiiib ; -- Begin function _ZN5aiter24add_rmsnorm_quant_kernelIDF16_aLi256ELi8ELb0ELb1ELb0ELi1EEEvPT0_PT_PfS4_S4_S4_diiiiiiib
	.globl	_ZN5aiter24add_rmsnorm_quant_kernelIDF16_aLi256ELi8ELb0ELb1ELb0ELi1EEEvPT0_PT_PfS4_S4_S4_diiiiiiib
	.p2align	8
	.type	_ZN5aiter24add_rmsnorm_quant_kernelIDF16_aLi256ELi8ELb0ELb1ELb0ELi1EEEvPT0_PT_PfS4_S4_S4_diiiiiiib,@function
_ZN5aiter24add_rmsnorm_quant_kernelIDF16_aLi256ELi8ELb0ELb1ELb0ELi1EEEvPT0_PT_PfS4_S4_S4_diiiiiiib: ; @_ZN5aiter24add_rmsnorm_quant_kernelIDF16_aLi256ELi8ELb0ELb1ELb0ELi1EEEvPT0_PT_PfS4_S4_S4_diiiiiiib
; %bb.0:
	s_load_dwordx4 s[8:11], s[4:5], 0x38
	s_mov_b32 s7, 0
	s_waitcnt lgkmcnt(0)
	s_ashr_i32 s0, s8, 31
	v_mov_b32_e32 v2, s8
	v_mov_b32_e32 v3, s0
	v_cmp_ge_i64_e32 vcc, s[6:7], v[2:3]
	s_cbranch_vccnz .LBB99_49
; %bb.1:
	s_load_dwordx4 s[12:15], s[4:5], 0x10
	s_load_dwordx4 s[0:3], s[4:5], 0x28
	s_ashr_i32 s11, s10, 31
	s_mul_hi_u32 s16, s10, s6
	s_mul_i32 s11, s11, s6
	s_add_i32 s11, s16, s11
	s_mul_i32 s10, s10, s6
	s_lshl_b64 s[10:11], s[10:11], 1
	s_waitcnt lgkmcnt(0)
	s_add_u32 s16, s14, s10
	s_addc_u32 s10, s15, s11
	s_add_i32 s11, s9, 1
	s_lshr_b32 s14, s11, 31
	s_add_i32 s11, s11, s14
	s_lshl_b32 s11, s11, 1
	s_and_b32 s18, s11, -4
	s_and_b32 s17, s10, 0xffff
	s_mov_b32 s19, 0x20000
	v_lshlrev_b32_e32 v1, 4, v0
	buffer_load_dwordx4 v[14:17], v1, s[16:19], 0 offen glc slc
	s_mov_b32 s16, s0
	s_and_b32 s17, s1, 0xffff
	buffer_load_dwordx4 v[2:5], v1, s[16:19], 0 offen
	v_and_b32_e32 v22, 63, v0
	v_cmp_eq_u32_e64 s[0:1], 63, v22
	s_waitcnt vmcnt(1)
	v_cvt_f32_f16_e32 v12, v14
	v_cvt_f32_f16_sdwa v13, v14 dst_sel:DWORD dst_unused:UNUSED_PAD src0_sel:WORD_1
	v_cvt_f32_f16_e32 v10, v15
	v_cvt_f32_f16_sdwa v11, v15 dst_sel:DWORD dst_unused:UNUSED_PAD src0_sel:WORD_1
	;; [unrolled: 2-line block ×3, first 2 shown]
	v_pk_mul_f32 v[14:15], v[12:13], v[12:13]
	v_cvt_f32_f16_e32 v6, v17
	v_cvt_f32_f16_sdwa v7, v17 dst_sel:DWORD dst_unused:UNUSED_PAD src0_sel:WORD_1
	v_pk_mul_f32 v[16:17], v[10:11], v[10:11]
	v_add_f32_e32 v1, v14, v15
	v_add_f32_e32 v1, v16, v1
	v_pk_mul_f32 v[18:19], v[8:9], v[8:9]
	v_add_f32_e32 v1, v17, v1
	v_add_f32_e32 v1, v18, v1
	;; [unrolled: 3-line block ×3, first 2 shown]
	v_add_f32_e32 v1, v21, v1
	s_nop 1
	v_mov_b32_dpp v14, v1 quad_perm:[1,0,3,2] row_mask:0xf bank_mask:0xf
	v_add_f32_e32 v1, v1, v14
	s_nop 1
	v_mov_b32_dpp v14, v1 quad_perm:[2,3,0,1] row_mask:0xf bank_mask:0xf
	v_add_f32_e32 v1, v1, v14
	s_nop 1
	v_mov_b32_dpp v14, v1 row_half_mirror row_mask:0xf bank_mask:0xf
	v_add_f32_e32 v1, v1, v14
	s_nop 1
	v_mov_b32_dpp v14, v1 row_mirror row_mask:0xf bank_mask:0xf
	v_add_f32_e32 v1, v1, v14
	s_nop 1
	v_mov_b32_dpp v14, v1 row_bcast:15 row_mask:0xf bank_mask:0xf
	v_add_f32_e32 v1, v1, v14
	s_nop 1
	v_mov_b32_dpp v14, v1 row_bcast:31 row_mask:0xf bank_mask:0xf
	s_and_saveexec_b64 s[10:11], s[0:1]
	s_cbranch_execz .LBB99_3
; %bb.2:
	v_lshrrev_b32_e32 v15, 4, v0
	v_and_b32_e32 v15, 60, v15
	v_add_f32_e32 v1, v1, v14
	ds_write_b32 v15, v1 offset:16
.LBB99_3:
	s_or_b64 exec, exec, s[10:11]
	v_and_b32_e32 v1, 3, v0
	v_lshlrev_b32_e32 v14, 2, v1
	s_waitcnt lgkmcnt(0)
	s_barrier
	ds_read_b32 v1, v14 offset:16
	v_cvt_f32_i32_e32 v15, s9
	s_waitcnt vmcnt(0)
	v_cvt_f32_f16_sdwa v21, v3 dst_sel:DWORD dst_unused:UNUSED_PAD src0_sel:WORD_1
	v_cvt_f32_f16_sdwa v23, v5 dst_sel:DWORD dst_unused:UNUSED_PAD src0_sel:WORD_1
	v_cvt_f32_f16_e32 v22, v5
	s_waitcnt lgkmcnt(0)
	v_mov_b32_dpp v16, v1 quad_perm:[1,0,3,2] row_mask:0xf bank_mask:0xf
	v_add_f32_e32 v1, v1, v16
	s_nop 1
	v_mov_b32_dpp v16, v1 quad_perm:[2,3,0,1] row_mask:0xf bank_mask:0xf
	v_add_f32_e32 v1, v1, v16
	v_div_scale_f32 v16, s[10:11], v15, v15, v1
	v_rcp_f32_e32 v17, v16
	v_div_scale_f32 v18, vcc, v1, v15, v1
	s_load_dwordx2 s[10:11], s[4:5], 0x4c
	s_load_dword s14, s[4:5], 0x54
	v_fma_f32 v19, -v16, v17, 1.0
	v_fmac_f32_e32 v17, v19, v17
	v_mul_f32_e32 v19, v18, v17
	v_fma_f32 v20, -v16, v19, v18
	v_fmac_f32_e32 v19, v20, v17
	v_fma_f32 v16, -v16, v19, v18
	v_div_fmas_f32 v16, v16, v17, v19
	v_div_fixup_f32 v1, v16, v15, v1
	v_cvt_f64_f32_e32 v[16:17], v1
	v_add_f64 v[16:17], v[16:17], s[2:3]
	v_cvt_f32_f64_e32 v1, v[16:17]
	s_mov_b32 s2, 0x800000
	v_mul_f32_e32 v15, 0x4b800000, v1
	v_cmp_gt_f32_e32 vcc, s2, v1
	v_cndmask_b32_e32 v1, v1, v15, vcc
	v_rsq_f32_e32 v15, v1
	v_cvt_f32_f16_e32 v20, v3
	v_cvt_f32_f16_sdwa v3, v4 dst_sel:DWORD dst_unused:UNUSED_PAD src0_sel:WORD_1
	v_lshlrev_b32_e32 v1, 3, v0
	v_mul_f32_e32 v16, 0x45800000, v15
	v_cndmask_b32_e32 v16, v15, v16, vcc
	v_mov_b32_e32 v17, v16
	;;#ASMSTART
	v_pk_mul_f32 v[12:13], v[12:13], v[16:17]
	;;#ASMEND
	;;#ASMSTART
	v_pk_mul_f32 v[10:11], v[10:11], v[16:17]
	;;#ASMEND
	;;#ASMSTART
	v_pk_mul_f32 v[18:19], v[8:9], v[16:17]
	;;#ASMEND
	;;#ASMSTART
	v_pk_mul_f32 v[16:17], v[6:7], v[16:17]
	;;#ASMEND
	v_cvt_f32_f16_sdwa v7, v2 dst_sel:DWORD dst_unused:UNUSED_PAD src0_sel:WORD_1
	v_cvt_f32_f16_e32 v6, v2
	v_cvt_f32_f16_e32 v2, v4
	;;#ASMSTART
	v_pk_mul_f32 v[8:9], v[12:13], v[6:7]
	;;#ASMEND
	;;#ASMSTART
	v_pk_mul_f32 v[6:7], v[10:11], v[20:21]
	;;#ASMEND
	v_and_b32_e32 v10, 0x7fffffff, v8
	v_mov_b32_e32 v12, 0x2edbe6ff
	;;#ASMSTART
	v_pk_mul_f32 v[4:5], v[18:19], v[2:3]
	;;#ASMEND
	;;#ASMSTART
	v_pk_mul_f32 v[2:3], v[16:17], v[22:23]
	;;#ASMEND
	v_and_b32_e32 v11, 0x7fffffff, v9
	;;#ASMSTART
	v_max3_f32 v10, v12, v10, v11

	;;#ASMEND
	v_and_b32_e32 v12, 0x7fffffff, v7
	v_and_b32_e32 v11, 0x7fffffff, v6
	;;#ASMSTART
	v_max3_f32 v10, v10, v11, v12

	;;#ASMEND
	v_and_b32_e32 v12, 0x7fffffff, v5
	;; [unrolled: 6-line block ×3, first 2 shown]
	s_waitcnt lgkmcnt(0)
	s_cmp_lg_u32 s11, 0
	v_and_b32_e32 v11, 0x7fffffff, v2
	;;#ASMSTART
	v_max3_f32 v12, v10, v11, v12

	;;#ASMEND
	s_cbranch_scc0 .LBB99_10
; %bb.4:
	s_ashr_i32 s15, s11, 31
	s_lshr_b32 s2, s15, 29
	s_add_i32 s2, s11, s2
	s_ashr_i32 s18, s2, 3
	s_cmp_lt_i32 s18, 16
	s_cbranch_scc1 .LBB99_11
; %bb.5:
	s_cmp_lt_i32 s18, 32
	s_cbranch_scc1 .LBB99_12
; %bb.6:
	;; [unrolled: 3-line block ×3, first 2 shown]
	s_cmp_eq_u32 s18, 64
	v_mov_b32_e32 v10, v12
	s_cbranch_scc0 .LBB99_9
; %bb.8:
	s_nop 0
	v_mov_b32_dpp v10, v12 quad_perm:[1,0,3,2] row_mask:0xf bank_mask:0xf
	v_cmp_gt_f32_e32 vcc, v12, v10
	v_cndmask_b32_e32 v10, v10, v12, vcc
	v_bfrev_b32_e32 v13, 0.5
	s_nop 0
	v_mov_b32_dpp v11, v10 quad_perm:[2,3,0,1] row_mask:0xf bank_mask:0xf
	v_cmp_gt_f32_e32 vcc, v10, v11
	v_cndmask_b32_e32 v10, v11, v10, vcc
	s_nop 1
	v_mov_b32_dpp v11, v10 row_ror:4 row_mask:0xf bank_mask:0xf
	v_cmp_gt_f32_e32 vcc, v10, v11
	v_cndmask_b32_e32 v10, v11, v10, vcc
	s_nop 1
	v_mov_b32_dpp v11, v10 row_ror:8 row_mask:0xf bank_mask:0xf
	v_cmp_gt_f32_e32 vcc, v10, v11
	v_cndmask_b32_e32 v10, v11, v10, vcc
	s_nop 1
	v_mov_b32_dpp v11, v10 row_bcast:15 row_mask:0xf bank_mask:0xf
	v_cmp_gt_f32_e32 vcc, v10, v11
	v_cndmask_b32_e32 v10, v11, v10, vcc
	s_nop 1
	v_mov_b32_dpp v11, v10 row_bcast:31 row_mask:0xf bank_mask:0xf
	v_cmp_gt_f32_e32 vcc, v10, v11
	v_cndmask_b32_e32 v10, v11, v10, vcc
	v_mbcnt_lo_u32_b32 v11, -1, 0
	v_mbcnt_hi_u32_b32 v11, -1, v11
	v_lshl_or_b32 v11, v11, 2, v13
	ds_bpermute_b32 v10, v11, v10
.LBB99_9:
	s_mov_b64 s[2:3], 0
	s_branch .LBB99_14
.LBB99_10:
	s_mov_b64 s[2:3], 0
                                        ; implicit-def: $vgpr13
                                        ; implicit-def: $vgpr10_vgpr11
	s_cbranch_execnz .LBB99_43
	s_branch .LBB99_46
.LBB99_11:
                                        ; implicit-def: $vgpr10
	s_branch .LBB99_21
.LBB99_12:
                                        ; implicit-def: $vgpr10
	s_branch .LBB99_18
.LBB99_13:
	s_mov_b64 s[2:3], -1
                                        ; implicit-def: $vgpr10
.LBB99_14:
	s_andn2_b64 vcc, exec, s[2:3]
	s_cbranch_vccnz .LBB99_17
; %bb.15:
	s_cmp_eq_u32 s18, 32
	s_waitcnt lgkmcnt(0)
	v_mov_b32_e32 v10, v12
	s_cbranch_scc0 .LBB99_17
; %bb.16:
	s_nop 0
	v_mov_b32_dpp v10, v12 quad_perm:[1,0,3,2] row_mask:0xf bank_mask:0xf
	v_cmp_gt_f32_e32 vcc, v12, v10
	v_cndmask_b32_e32 v10, v10, v12, vcc
	v_mov_b32_e32 v13, 0x7c
	s_nop 0
	v_mov_b32_dpp v11, v10 quad_perm:[2,3,0,1] row_mask:0xf bank_mask:0xf
	v_cmp_gt_f32_e32 vcc, v10, v11
	v_cndmask_b32_e32 v10, v11, v10, vcc
	s_nop 1
	v_mov_b32_dpp v11, v10 row_half_mirror row_mask:0xf bank_mask:0xf
	v_cmp_gt_f32_e32 vcc, v10, v11
	v_cndmask_b32_e32 v10, v11, v10, vcc
	s_nop 1
	v_mov_b32_dpp v11, v10 row_mirror row_mask:0xf bank_mask:0xf
	v_cmp_gt_f32_e32 vcc, v10, v11
	v_cndmask_b32_e32 v10, v11, v10, vcc
	s_nop 1
	v_mov_b32_dpp v11, v10 row_bcast:15 row_mask:0xa bank_mask:0xf
	v_cmp_gt_f32_e32 vcc, v10, v11
	v_cndmask_b32_e32 v10, v11, v10, vcc
	v_mbcnt_lo_u32_b32 v11, -1, 0
	v_mbcnt_hi_u32_b32 v11, -1, v11
	v_lshl_or_b32 v11, v11, 2, v13
	ds_bpermute_b32 v10, v11, v10
.LBB99_17:
	s_cbranch_execnz .LBB99_20
.LBB99_18:
	s_cmp_eq_u32 s18, 16
	s_waitcnt lgkmcnt(0)
	v_mov_b32_e32 v10, v12
	s_cbranch_scc0 .LBB99_20
; %bb.19:
	s_nop 0
	v_mov_b32_dpp v10, v12 quad_perm:[1,0,3,2] row_mask:0xf bank_mask:0xf
	v_cmp_gt_f32_e32 vcc, v12, v10
	v_cndmask_b32_e32 v10, v10, v12, vcc
	s_nop 1
	v_mov_b32_dpp v11, v10 quad_perm:[2,3,0,1] row_mask:0xf bank_mask:0xf
	v_cmp_gt_f32_e32 vcc, v10, v11
	v_cndmask_b32_e32 v10, v11, v10, vcc
	s_nop 1
	v_mov_b32_dpp v11, v10 row_half_mirror row_mask:0xf bank_mask:0xf
	v_cmp_gt_f32_e32 vcc, v10, v11
	v_cndmask_b32_e32 v10, v11, v10, vcc
	s_nop 1
	v_mov_b32_dpp v11, v10 row_mirror row_mask:0xf bank_mask:0xf
	v_cmp_gt_f32_e32 vcc, v10, v11
	v_cndmask_b32_e32 v10, v11, v10, vcc
.LBB99_20:
	s_cbranch_execnz .LBB99_33
.LBB99_21:
	s_cmp_lt_i32 s18, 4
	s_cbranch_scc1 .LBB99_25
; %bb.22:
	s_cmp_lt_i32 s18, 8
	s_cbranch_scc1 .LBB99_26
; %bb.23:
	s_cmp_eq_u32 s18, 8
	s_waitcnt lgkmcnt(0)
	v_mov_b32_e32 v10, v12
	s_cbranch_scc0 .LBB99_27
; %bb.24:
	s_nop 0
	v_mov_b32_dpp v10, v12 quad_perm:[1,0,3,2] row_mask:0xf bank_mask:0xf
	v_cmp_gt_f32_e32 vcc, v12, v10
	v_cndmask_b32_e32 v10, v10, v12, vcc
	s_nop 1
	v_mov_b32_dpp v11, v10 quad_perm:[2,3,0,1] row_mask:0xf bank_mask:0xf
	v_cmp_gt_f32_e32 vcc, v10, v11
	v_cndmask_b32_e32 v10, v11, v10, vcc
	s_nop 1
	v_mov_b32_dpp v11, v10 row_half_mirror row_mask:0xf bank_mask:0xf
	v_cmp_gt_f32_e32 vcc, v10, v11
	v_cndmask_b32_e32 v10, v11, v10, vcc
	s_cbranch_execz .LBB99_28
	s_branch .LBB99_30
.LBB99_25:
                                        ; implicit-def: $vgpr10
	s_branch .LBB99_31
.LBB99_26:
                                        ; implicit-def: $vgpr10
	s_branch .LBB99_28
.LBB99_27:
	s_cbranch_execnz .LBB99_30
.LBB99_28:
	s_cmp_eq_u32 s18, 4
	s_waitcnt lgkmcnt(0)
	v_mov_b32_e32 v10, v12
	s_cbranch_scc0 .LBB99_30
; %bb.29:
	s_nop 0
	v_mov_b32_dpp v10, v12 quad_perm:[1,0,3,2] row_mask:0xf bank_mask:0xf
	v_cmp_gt_f32_e32 vcc, v12, v10
	v_cndmask_b32_e32 v10, v10, v12, vcc
	s_nop 1
	v_mov_b32_dpp v11, v10 quad_perm:[2,3,0,1] row_mask:0xf bank_mask:0xf
	v_cmp_gt_f32_e32 vcc, v10, v11
	v_cndmask_b32_e32 v10, v11, v10, vcc
.LBB99_30:
	s_cbranch_execnz .LBB99_33
.LBB99_31:
	s_cmp_lg_u32 s18, 2
	s_waitcnt lgkmcnt(0)
	v_mov_b32_e32 v10, v12
	s_cbranch_scc1 .LBB99_33
; %bb.32:
	s_nop 0
	v_mov_b32_dpp v10, v12 quad_perm:[1,0,3,2] row_mask:0xf bank_mask:0xf
	v_cmp_gt_f32_e32 vcc, v12, v10
	v_cndmask_b32_e32 v10, v10, v12, vcc
.LBB99_33:
	v_cvt_f32_u32_e32 v11, s18
	s_waitcnt lgkmcnt(0)
	v_mul_f32_e32 v13, 0x3c010204, v10
	s_sub_i32 s2, 0, s18
	v_cmp_gt_u32_e32 vcc, s9, v1
	v_rcp_iflag_f32_e32 v11, v11
	s_mov_b64 s[16:17], 0
	v_mul_f32_e32 v10, 0x4f7ffffe, v11
	v_cvt_u32_f32_e32 v10, v10
	v_mul_lo_u32 v11, s2, v10
	v_mul_hi_u32 v11, v10, v11
	v_add_u32_e32 v10, v10, v11
	v_mul_hi_u32 v10, v0, v10
	v_mul_lo_u32 v11, v10, s18
	v_sub_u32_e32 v11, v0, v11
	v_add_u32_e32 v15, 1, v10
	v_cmp_le_u32_e64 s[2:3], s18, v11
	v_cndmask_b32_e64 v10, v10, v15, s[2:3]
	v_subrev_u32_e32 v15, s18, v11
	v_cndmask_b32_e64 v11, v11, v15, s[2:3]
	v_add_u32_e32 v15, 1, v10
	v_cmp_le_u32_e64 s[2:3], s18, v11
	v_cndmask_b32_e64 v15, v10, v15, s[2:3]
	v_mul_lo_u32 v10, v15, s18
	v_sub_u32_e32 v10, v0, v10
	v_cmp_eq_u32_e64 s[2:3], 0, v10
	s_and_b64 s[18:19], s[2:3], vcc
	s_mov_b64 s[2:3], 0
                                        ; implicit-def: $vgpr10_vgpr11
	s_and_saveexec_b64 s[20:21], s[18:19]
	s_xor_b64 s[18:19], exec, s[20:21]
	s_cbranch_execz .LBB99_42
; %bb.34:
	s_bitcmp0_b32 s14, 0
	s_cbranch_scc0 .LBB99_39
; %bb.35:
	s_ashr_i32 s2, s9, 31
	s_mul_hi_u32 s3, s9, s6
	s_mul_i32 s2, s2, s6
	s_add_i32 s21, s3, s2
	s_mul_i32 s20, s9, s6
	s_mov_b32 s14, s11
	s_or_b64 s[2:3], s[20:21], s[14:15]
	s_mov_b32 s2, 0
	s_cmp_lg_u64 s[2:3], 0
	s_cbranch_scc0 .LBB99_50
; %bb.36:
	s_add_u32 s2, s14, s15
	s_mov_b32 s24, s15
	s_mov_b32 s25, s15
	s_addc_u32 s3, s15, s15
	s_xor_b64 s[26:27], s[2:3], s[24:25]
	v_cvt_f32_u32_e32 v10, s26
	v_cvt_f32_u32_e32 v11, s27
	s_sub_u32 s2, 0, s26
	s_subb_u32 s3, 0, s27
	v_madmk_f32 v10, v11, 0x4f800000, v10
	v_rcp_f32_e32 v10, v10
	v_mul_f32_e32 v10, 0x5f7ffffc, v10
	v_mul_f32_e32 v11, 0x2f800000, v10
	v_trunc_f32_e32 v11, v11
	v_madmk_f32 v10, v11, 0xcf800000, v10
	v_cvt_u32_f32_e32 v11, v11
	v_cvt_u32_f32_e32 v10, v10
	v_readfirstlane_b32 s11, v11
	v_readfirstlane_b32 s15, v10
	s_mul_i32 s28, s2, s11
	s_mul_hi_u32 s30, s2, s15
	s_mul_i32 s29, s3, s15
	s_add_i32 s28, s30, s28
	s_add_i32 s28, s28, s29
	s_mul_i32 s31, s2, s15
	s_mul_hi_u32 s29, s15, s28
	s_mul_i32 s30, s15, s28
	s_mul_hi_u32 s15, s15, s31
	s_add_u32 s15, s15, s30
	s_addc_u32 s29, 0, s29
	s_mul_hi_u32 s33, s11, s31
	s_mul_i32 s31, s11, s31
	s_add_u32 s15, s15, s31
	s_mul_hi_u32 s30, s11, s28
	s_addc_u32 s15, s29, s33
	s_addc_u32 s29, s30, 0
	s_mul_i32 s28, s11, s28
	s_add_u32 s15, s15, s28
	s_addc_u32 s28, 0, s29
	v_add_co_u32_e32 v10, vcc, s15, v10
	s_cmp_lg_u64 vcc, 0
	s_addc_u32 s11, s11, s28
	v_readfirstlane_b32 s28, v10
	s_mul_i32 s15, s2, s11
	s_mul_hi_u32 s29, s2, s28
	s_add_i32 s15, s29, s15
	s_mul_i32 s3, s3, s28
	s_add_i32 s15, s15, s3
	s_mul_i32 s2, s2, s28
	s_mul_hi_u32 s29, s11, s2
	s_mul_i32 s30, s11, s2
	s_mul_i32 s33, s28, s15
	s_mul_hi_u32 s2, s28, s2
	s_mul_hi_u32 s31, s28, s15
	s_add_u32 s2, s2, s33
	s_addc_u32 s28, 0, s31
	s_add_u32 s2, s2, s30
	s_mul_hi_u32 s3, s11, s15
	s_addc_u32 s2, s28, s29
	s_addc_u32 s3, s3, 0
	s_mul_i32 s15, s11, s15
	s_add_u32 s2, s2, s15
	s_addc_u32 s3, 0, s3
	v_add_co_u32_e32 v10, vcc, s2, v10
	s_cmp_lg_u64 vcc, 0
	s_addc_u32 s11, s11, s3
	s_ashr_i32 s28, s21, 31
	s_add_u32 s2, s20, s28
	s_mov_b32 s29, s28
	s_addc_u32 s3, s21, s28
	s_xor_b64 s[30:31], s[2:3], s[28:29]
	v_readfirstlane_b32 s15, v10
	s_mul_i32 s3, s30, s11
	s_mul_hi_u32 s21, s30, s15
	s_mul_hi_u32 s2, s30, s11
	s_add_u32 s3, s21, s3
	s_addc_u32 s2, 0, s2
	s_mul_hi_u32 s33, s31, s15
	s_mul_i32 s15, s31, s15
	s_add_u32 s3, s3, s15
	s_mul_hi_u32 s21, s31, s11
	s_addc_u32 s2, s2, s33
	s_addc_u32 s3, s21, 0
	s_mul_i32 s11, s31, s11
	s_add_u32 s11, s2, s11
	s_addc_u32 s15, 0, s3
	s_mul_i32 s2, s26, s15
	s_mul_hi_u32 s3, s26, s11
	s_add_i32 s2, s3, s2
	s_mul_i32 s3, s27, s11
	s_add_i32 s21, s2, s3
	s_mul_i32 s3, s26, s11
	v_mov_b32_e32 v10, s3
	s_sub_i32 s2, s31, s21
	v_sub_co_u32_e32 v10, vcc, s30, v10
	s_cmp_lg_u64 vcc, 0
	s_subb_u32 s30, s2, s27
	v_subrev_co_u32_e64 v11, s[2:3], s26, v10
	s_cmp_lg_u64 s[2:3], 0
	s_subb_u32 s30, s30, 0
	s_cmp_ge_u32 s30, s27
	s_cselect_b32 s33, -1, 0
	v_cmp_le_u32_e64 s[2:3], s26, v11
	s_cmp_eq_u32 s30, s27
	v_cndmask_b32_e64 v11, 0, -1, s[2:3]
	v_mov_b32_e32 v16, s33
	s_cselect_b64 s[2:3], -1, 0
	v_cndmask_b32_e64 v11, v16, v11, s[2:3]
	s_add_u32 s2, s11, 1
	s_addc_u32 s30, s15, 0
	s_add_u32 s3, s11, 2
	s_addc_u32 s33, s15, 0
	v_mov_b32_e32 v16, s2
	v_mov_b32_e32 v17, s3
	v_cmp_ne_u32_e64 s[2:3], 0, v11
	v_cndmask_b32_e64 v11, v16, v17, s[2:3]
	v_mov_b32_e32 v16, s30
	v_mov_b32_e32 v17, s33
	s_cmp_lg_u64 vcc, 0
	v_cndmask_b32_e64 v16, v16, v17, s[2:3]
	s_subb_u32 s2, s31, s21
	s_cmp_ge_u32 s2, s27
	s_cselect_b32 s3, -1, 0
	v_cmp_le_u32_e32 vcc, s26, v10
	s_cmp_eq_u32 s2, s27
	v_cndmask_b32_e64 v10, 0, -1, vcc
	v_mov_b32_e32 v17, s3
	s_cselect_b64 vcc, -1, 0
	v_cndmask_b32_e32 v10, v17, v10, vcc
	v_mov_b32_e32 v17, s15
	v_cmp_ne_u32_e32 vcc, 0, v10
	v_cndmask_b32_e32 v10, v17, v16, vcc
	v_mov_b32_e32 v16, s11
	v_cndmask_b32_e32 v11, v16, v11, vcc
	s_xor_b64 s[2:3], s[28:29], s[24:25]
	v_xor_b32_e32 v11, s2, v11
	v_xor_b32_e32 v16, s3, v10
	v_mov_b32_e32 v17, s3
	v_subrev_co_u32_e32 v10, vcc, s2, v11
	v_subb_co_u32_e32 v11, vcc, v16, v17, vcc
	s_cbranch_execnz .LBB99_38
.LBB99_37:
	v_cvt_f32_u32_e32 v10, s14
	s_sub_i32 s2, 0, s14
	s_mov_b32 s3, 0
	v_rcp_iflag_f32_e32 v10, v10
	v_mul_f32_e32 v10, 0x4f7ffffe, v10
	v_cvt_u32_f32_e32 v10, v10
	v_readfirstlane_b32 s11, v10
	s_mul_i32 s2, s2, s11
	s_mul_hi_u32 s2, s11, s2
	s_add_i32 s11, s11, s2
	s_mul_hi_u32 s2, s20, s11
	s_mul_i32 s15, s2, s14
	s_sub_i32 s15, s20, s15
	s_add_i32 s11, s2, 1
	s_sub_i32 s20, s15, s14
	s_cmp_ge_u32 s15, s14
	s_cselect_b32 s2, s11, s2
	s_cselect_b32 s15, s20, s15
	s_add_i32 s11, s2, 1
	s_cmp_ge_u32 s15, s14
	s_cselect_b32 s2, s11, s2
	v_pk_mov_b32 v[10:11], s[2:3], s[2:3] op_sel:[0,1]
.LBB99_38:
	v_add_co_u32_e32 v10, vcc, v10, v15
	v_addc_co_u32_e32 v11, vcc, 0, v11, vcc
	s_branch .LBB99_41
.LBB99_39:
                                        ; implicit-def: $vgpr10_vgpr11
	s_cbranch_execz .LBB99_41
; %bb.40:
	v_mul_lo_u32 v10, v15, s8
	v_ashrrev_i32_e32 v11, 31, v10
	v_mov_b32_e32 v15, s7
	v_add_co_u32_e32 v10, vcc, s6, v10
	v_addc_co_u32_e32 v11, vcc, v11, v15, vcc
.LBB99_41:
	s_mov_b64 s[2:3], exec
.LBB99_42:
	s_or_b64 exec, exec, s[18:19]
	s_and_b64 vcc, exec, s[16:17]
	s_cbranch_vccz .LBB99_46
.LBB99_43:
	v_mov_b32_dpp v10, v12 quad_perm:[1,0,3,2] row_mask:0xf bank_mask:0xf
	v_cmp_gt_f32_e32 vcc, v12, v10
	v_cndmask_b32_e32 v10, v10, v12, vcc
	s_nop 1
	v_mov_b32_dpp v11, v10 quad_perm:[2,3,0,1] row_mask:0xf bank_mask:0xf
	v_cmp_gt_f32_e32 vcc, v10, v11
	v_cndmask_b32_e32 v10, v11, v10, vcc
	s_nop 1
	v_mov_b32_dpp v11, v10 row_half_mirror row_mask:0xf bank_mask:0xf
	v_cmp_gt_f32_e32 vcc, v10, v11
	v_cndmask_b32_e32 v10, v11, v10, vcc
	s_nop 1
	v_mov_b32_dpp v11, v10 row_mirror row_mask:0xf bank_mask:0xf
	v_cmp_gt_f32_e32 vcc, v10, v11
	v_cndmask_b32_e32 v10, v11, v10, vcc
	s_nop 1
	v_mov_b32_dpp v11, v10 row_bcast:15 row_mask:0xf bank_mask:0xf
	v_cmp_gt_f32_e32 vcc, v10, v11
	v_cndmask_b32_e32 v10, v11, v10, vcc
	s_nop 1
	v_mov_b32_dpp v11, v10 row_bcast:31 row_mask:0xf bank_mask:0xf
	s_and_saveexec_b64 s[2:3], s[0:1]
	s_cbranch_execz .LBB99_45
; %bb.44:
	v_lshrrev_b32_e32 v12, 4, v0
	v_cmp_gt_f32_e32 vcc, v10, v11
	v_and_b32_e32 v12, 60, v12
	v_cndmask_b32_e32 v10, v11, v10, vcc
	ds_write_b32 v12, v10
.LBB99_45:
	s_or_b64 exec, exec, s[2:3]
	s_waitcnt lgkmcnt(0)
	s_barrier
	ds_read_b32 v10, v14
	v_cmp_eq_u32_e64 s[2:3], 0, v0
	s_waitcnt lgkmcnt(0)
	v_mov_b32_dpp v11, v10 quad_perm:[1,0,3,2] row_mask:0xf bank_mask:0xf
	v_cmp_gt_f32_e32 vcc, v10, v11
	v_cndmask_b32_e32 v10, v11, v10, vcc
	s_nop 1
	v_mov_b32_dpp v11, v10 quad_perm:[2,3,0,1] row_mask:0xf bank_mask:0xf
	v_cmp_gt_f32_e32 vcc, v10, v11
	v_cndmask_b32_e32 v10, v11, v10, vcc
	v_mul_f32_e32 v13, 0x3c010204, v10
	v_pk_mov_b32 v[10:11], s[6:7], s[6:7] op_sel:[0,1]
.LBB99_46:
	s_and_saveexec_b64 s[0:1], s[2:3]
	s_cbranch_execz .LBB99_48
; %bb.47:
	v_lshlrev_b64 v[10:11], 2, v[10:11]
	v_mov_b32_e32 v0, s13
	v_add_co_u32_e32 v10, vcc, s12, v10
	v_addc_co_u32_e32 v11, vcc, v0, v11, vcc
	global_store_dword v[10:11], v13, off
.LBB99_48:
	s_or_b64 exec, exec, s[0:1]
	s_add_i32 s2, s9, 3
	s_load_dwordx2 s[0:1], s[4:5], 0x0
	s_ashr_i32 s3, s2, 31
	;;#ASMSTART
	v_rcp_f32 v10, v13
	;;#ASMEND
	v_mov_b32_e32 v11, v10
	;;#ASMSTART
	v_pk_mul_f32 v[8:9], v[8:9], v[10:11]
	;;#ASMEND
	;;#ASMSTART
	v_pk_mul_f32 v[6:7], v[6:7], v[10:11]
	;;#ASMEND
	s_lshr_b32 s3, s3, 30
	v_cvt_i32_f32_e32 v0, v8
	v_cvt_i32_f32_sdwa v8, v9 dst_sel:BYTE_1 dst_unused:UNUSED_PAD src0_sel:DWORD
	v_cvt_i32_f32_e32 v6, v6
	v_cvt_i32_f32_sdwa v7, v7 dst_sel:BYTE_1 dst_unused:UNUSED_PAD src0_sel:DWORD
	;;#ASMSTART
	v_pk_mul_f32 v[4:5], v[4:5], v[10:11]
	;;#ASMEND
	;;#ASMSTART
	v_pk_mul_f32 v[2:3], v[2:3], v[10:11]
	;;#ASMEND
	s_add_i32 s2, s2, s3
	s_ashr_i32 s3, s10, 31
	v_cvt_i32_f32_e32 v4, v4
	v_cvt_i32_f32_sdwa v5, v5 dst_sel:BYTE_1 dst_unused:UNUSED_PAD src0_sel:DWORD
	v_cvt_i32_f32_e32 v9, v2
	v_cvt_i32_f32_sdwa v3, v3 dst_sel:BYTE_1 dst_unused:UNUSED_PAD src0_sel:DWORD
	s_mul_hi_u32 s4, s10, s6
	s_mul_i32 s3, s3, s6
	s_and_b32 s2, s2, -4
	s_add_i32 s4, s4, s3
	s_mul_i32 s3, s10, s6
	s_waitcnt lgkmcnt(0)
	s_add_u32 s0, s0, s3
	v_or_b32_sdwa v0, v0, v8 dst_sel:DWORD dst_unused:UNUSED_PAD src0_sel:BYTE_0 src1_sel:DWORD
	v_or_b32_sdwa v2, v6, v7 dst_sel:WORD_1 dst_unused:UNUSED_PAD src0_sel:BYTE_0 src1_sel:DWORD
	s_addc_u32 s1, s1, s4
	v_or_b32_sdwa v2, v0, v2 dst_sel:DWORD dst_unused:UNUSED_PAD src0_sel:WORD_0 src1_sel:DWORD
	v_or_b32_sdwa v0, v4, v5 dst_sel:DWORD dst_unused:UNUSED_PAD src0_sel:BYTE_0 src1_sel:DWORD
	v_or_b32_sdwa v3, v9, v3 dst_sel:WORD_1 dst_unused:UNUSED_PAD src0_sel:BYTE_0 src1_sel:DWORD
	s_and_b32 s1, s1, 0xffff
	s_mov_b32 s3, 0x20000
	v_or_b32_sdwa v3, v0, v3 dst_sel:DWORD dst_unused:UNUSED_PAD src0_sel:WORD_0 src1_sel:DWORD
	buffer_store_dwordx2 v[2:3], v1, s[0:3], 0 offen
	;;#ASMSTART
	s_nop 0
	;;#ASMEND
.LBB99_49:
	s_endpgm
.LBB99_50:
                                        ; implicit-def: $vgpr10_vgpr11
	s_branch .LBB99_37
	.section	.rodata,"a",@progbits
	.p2align	6, 0x0
	.amdhsa_kernel _ZN5aiter24add_rmsnorm_quant_kernelIDF16_aLi256ELi8ELb0ELb1ELb0ELi1EEEvPT0_PT_PfS4_S4_S4_diiiiiiib
		.amdhsa_group_segment_fixed_size 32
		.amdhsa_private_segment_fixed_size 0
		.amdhsa_kernarg_size 88
		.amdhsa_user_sgpr_count 6
		.amdhsa_user_sgpr_private_segment_buffer 1
		.amdhsa_user_sgpr_dispatch_ptr 0
		.amdhsa_user_sgpr_queue_ptr 0
		.amdhsa_user_sgpr_kernarg_segment_ptr 1
		.amdhsa_user_sgpr_dispatch_id 0
		.amdhsa_user_sgpr_flat_scratch_init 0
		.amdhsa_user_sgpr_kernarg_preload_length 0
		.amdhsa_user_sgpr_kernarg_preload_offset 0
		.amdhsa_user_sgpr_private_segment_size 0
		.amdhsa_uses_dynamic_stack 0
		.amdhsa_system_sgpr_private_segment_wavefront_offset 0
		.amdhsa_system_sgpr_workgroup_id_x 1
		.amdhsa_system_sgpr_workgroup_id_y 0
		.amdhsa_system_sgpr_workgroup_id_z 0
		.amdhsa_system_sgpr_workgroup_info 0
		.amdhsa_system_vgpr_workitem_id 0
		.amdhsa_next_free_vgpr 24
		.amdhsa_next_free_sgpr 34
		.amdhsa_accum_offset 24
		.amdhsa_reserve_vcc 1
		.amdhsa_reserve_flat_scratch 0
		.amdhsa_float_round_mode_32 0
		.amdhsa_float_round_mode_16_64 0
		.amdhsa_float_denorm_mode_32 3
		.amdhsa_float_denorm_mode_16_64 3
		.amdhsa_dx10_clamp 1
		.amdhsa_ieee_mode 1
		.amdhsa_fp16_overflow 0
		.amdhsa_tg_split 0
		.amdhsa_exception_fp_ieee_invalid_op 0
		.amdhsa_exception_fp_denorm_src 0
		.amdhsa_exception_fp_ieee_div_zero 0
		.amdhsa_exception_fp_ieee_overflow 0
		.amdhsa_exception_fp_ieee_underflow 0
		.amdhsa_exception_fp_ieee_inexact 0
		.amdhsa_exception_int_div_zero 0
	.end_amdhsa_kernel
	.section	.text._ZN5aiter24add_rmsnorm_quant_kernelIDF16_aLi256ELi8ELb0ELb1ELb0ELi1EEEvPT0_PT_PfS4_S4_S4_diiiiiiib,"axG",@progbits,_ZN5aiter24add_rmsnorm_quant_kernelIDF16_aLi256ELi8ELb0ELb1ELb0ELi1EEEvPT0_PT_PfS4_S4_S4_diiiiiiib,comdat
.Lfunc_end99:
	.size	_ZN5aiter24add_rmsnorm_quant_kernelIDF16_aLi256ELi8ELb0ELb1ELb0ELi1EEEvPT0_PT_PfS4_S4_S4_diiiiiiib, .Lfunc_end99-_ZN5aiter24add_rmsnorm_quant_kernelIDF16_aLi256ELi8ELb0ELb1ELb0ELi1EEEvPT0_PT_PfS4_S4_S4_diiiiiiib
                                        ; -- End function
	.section	.AMDGPU.csdata,"",@progbits
; Kernel info:
; codeLenInByte = 3064
; NumSgprs: 38
; NumVgprs: 24
; NumAgprs: 0
; TotalNumVgprs: 24
; ScratchSize: 0
; MemoryBound: 0
; FloatMode: 240
; IeeeMode: 1
; LDSByteSize: 32 bytes/workgroup (compile time only)
; SGPRBlocks: 4
; VGPRBlocks: 2
; NumSGPRsForWavesPerEU: 38
; NumVGPRsForWavesPerEU: 24
; AccumOffset: 24
; Occupancy: 8
; WaveLimiterHint : 0
; COMPUTE_PGM_RSRC2:SCRATCH_EN: 0
; COMPUTE_PGM_RSRC2:USER_SGPR: 6
; COMPUTE_PGM_RSRC2:TRAP_HANDLER: 0
; COMPUTE_PGM_RSRC2:TGID_X_EN: 1
; COMPUTE_PGM_RSRC2:TGID_Y_EN: 0
; COMPUTE_PGM_RSRC2:TGID_Z_EN: 0
; COMPUTE_PGM_RSRC2:TIDIG_COMP_CNT: 0
; COMPUTE_PGM_RSRC3_GFX90A:ACCUM_OFFSET: 5
; COMPUTE_PGM_RSRC3_GFX90A:TG_SPLIT: 0
	.section	.text._ZN5aiter24add_rmsnorm_quant_kernelItaLi256ELi8ELb0ELb1ELb0ELi1EEEvPT0_PT_PfS4_S4_S4_diiiiiiib,"axG",@progbits,_ZN5aiter24add_rmsnorm_quant_kernelItaLi256ELi8ELb0ELb1ELb0ELi1EEEvPT0_PT_PfS4_S4_S4_diiiiiiib,comdat
	.protected	_ZN5aiter24add_rmsnorm_quant_kernelItaLi256ELi8ELb0ELb1ELb0ELi1EEEvPT0_PT_PfS4_S4_S4_diiiiiiib ; -- Begin function _ZN5aiter24add_rmsnorm_quant_kernelItaLi256ELi8ELb0ELb1ELb0ELi1EEEvPT0_PT_PfS4_S4_S4_diiiiiiib
	.globl	_ZN5aiter24add_rmsnorm_quant_kernelItaLi256ELi8ELb0ELb1ELb0ELi1EEEvPT0_PT_PfS4_S4_S4_diiiiiiib
	.p2align	8
	.type	_ZN5aiter24add_rmsnorm_quant_kernelItaLi256ELi8ELb0ELb1ELb0ELi1EEEvPT0_PT_PfS4_S4_S4_diiiiiiib,@function
_ZN5aiter24add_rmsnorm_quant_kernelItaLi256ELi8ELb0ELb1ELb0ELi1EEEvPT0_PT_PfS4_S4_S4_diiiiiiib: ; @_ZN5aiter24add_rmsnorm_quant_kernelItaLi256ELi8ELb0ELb1ELb0ELi1EEEvPT0_PT_PfS4_S4_S4_diiiiiiib
; %bb.0:
	s_load_dwordx4 s[8:11], s[4:5], 0x38
	s_mov_b32 s7, 0
	s_waitcnt lgkmcnt(0)
	s_ashr_i32 s0, s8, 31
	v_mov_b32_e32 v2, s8
	v_mov_b32_e32 v3, s0
	v_cmp_ge_i64_e32 vcc, s[6:7], v[2:3]
	s_cbranch_vccnz .LBB100_49
; %bb.1:
	s_load_dwordx4 s[12:15], s[4:5], 0x10
	s_load_dwordx4 s[0:3], s[4:5], 0x28
	s_ashr_i32 s11, s10, 31
	s_mul_hi_u32 s16, s10, s6
	s_mul_i32 s11, s11, s6
	s_add_i32 s11, s16, s11
	s_mul_i32 s10, s10, s6
	s_lshl_b64 s[10:11], s[10:11], 1
	s_waitcnt lgkmcnt(0)
	s_add_u32 s16, s14, s10
	s_addc_u32 s10, s15, s11
	s_add_i32 s11, s9, 1
	s_lshr_b32 s14, s11, 31
	s_add_i32 s11, s11, s14
	s_lshl_b32 s11, s11, 1
	s_and_b32 s18, s11, -4
	s_and_b32 s17, s10, 0xffff
	s_mov_b32 s19, 0x20000
	v_lshlrev_b32_e32 v1, 4, v0
	buffer_load_dwordx4 v[14:17], v1, s[16:19], 0 offen glc slc
	s_mov_b32 s16, s0
	s_and_b32 s17, s1, 0xffff
	buffer_load_dwordx4 v[2:5], v1, s[16:19], 0 offen
	v_and_b32_e32 v22, 63, v0
	v_cmp_eq_u32_e64 s[0:1], 63, v22
	s_waitcnt vmcnt(1)
	v_cvt_f32_u32_sdwa v13, v14 dst_sel:DWORD dst_unused:UNUSED_PAD src0_sel:WORD_1
	v_cvt_f32_u32_sdwa v12, v14 dst_sel:DWORD dst_unused:UNUSED_PAD src0_sel:WORD_0
	v_cvt_f32_u32_sdwa v11, v15 dst_sel:DWORD dst_unused:UNUSED_PAD src0_sel:WORD_1
	v_cvt_f32_u32_sdwa v10, v15 dst_sel:DWORD dst_unused:UNUSED_PAD src0_sel:WORD_0
	;; [unrolled: 2-line block ×3, first 2 shown]
	v_pk_mul_f32 v[14:15], v[12:13], v[12:13]
	v_cvt_f32_u32_sdwa v7, v17 dst_sel:DWORD dst_unused:UNUSED_PAD src0_sel:WORD_1
	v_cvt_f32_u32_sdwa v6, v17 dst_sel:DWORD dst_unused:UNUSED_PAD src0_sel:WORD_0
	v_pk_mul_f32 v[16:17], v[10:11], v[10:11]
	v_add_f32_e32 v1, v14, v15
	v_add_f32_e32 v1, v16, v1
	v_pk_mul_f32 v[18:19], v[8:9], v[8:9]
	v_add_f32_e32 v1, v17, v1
	v_add_f32_e32 v1, v18, v1
	;; [unrolled: 3-line block ×3, first 2 shown]
	v_add_f32_e32 v1, v21, v1
	s_nop 1
	v_mov_b32_dpp v14, v1 quad_perm:[1,0,3,2] row_mask:0xf bank_mask:0xf
	v_add_f32_e32 v1, v1, v14
	s_nop 1
	v_mov_b32_dpp v14, v1 quad_perm:[2,3,0,1] row_mask:0xf bank_mask:0xf
	v_add_f32_e32 v1, v1, v14
	s_nop 1
	v_mov_b32_dpp v14, v1 row_half_mirror row_mask:0xf bank_mask:0xf
	v_add_f32_e32 v1, v1, v14
	s_nop 1
	v_mov_b32_dpp v14, v1 row_mirror row_mask:0xf bank_mask:0xf
	v_add_f32_e32 v1, v1, v14
	s_nop 1
	v_mov_b32_dpp v14, v1 row_bcast:15 row_mask:0xf bank_mask:0xf
	v_add_f32_e32 v1, v1, v14
	s_nop 1
	v_mov_b32_dpp v14, v1 row_bcast:31 row_mask:0xf bank_mask:0xf
	s_and_saveexec_b64 s[10:11], s[0:1]
	s_cbranch_execz .LBB100_3
; %bb.2:
	v_lshrrev_b32_e32 v15, 4, v0
	v_and_b32_e32 v15, 60, v15
	v_add_f32_e32 v1, v1, v14
	ds_write_b32 v15, v1 offset:16
.LBB100_3:
	s_or_b64 exec, exec, s[10:11]
	v_and_b32_e32 v1, 3, v0
	v_lshlrev_b32_e32 v14, 2, v1
	s_waitcnt lgkmcnt(0)
	s_barrier
	ds_read_b32 v1, v14 offset:16
	v_cvt_f32_i32_e32 v15, s9
	s_waitcnt vmcnt(0)
	v_cvt_f32_u32_sdwa v21, v3 dst_sel:DWORD dst_unused:UNUSED_PAD src0_sel:WORD_1
	v_cvt_f32_u32_sdwa v23, v5 dst_sel:DWORD dst_unused:UNUSED_PAD src0_sel:WORD_1
	v_cvt_f32_u32_sdwa v22, v5 dst_sel:DWORD dst_unused:UNUSED_PAD src0_sel:WORD_0
	s_waitcnt lgkmcnt(0)
	v_mov_b32_dpp v16, v1 quad_perm:[1,0,3,2] row_mask:0xf bank_mask:0xf
	v_add_f32_e32 v1, v1, v16
	s_nop 1
	v_mov_b32_dpp v16, v1 quad_perm:[2,3,0,1] row_mask:0xf bank_mask:0xf
	v_add_f32_e32 v1, v1, v16
	v_div_scale_f32 v16, s[10:11], v15, v15, v1
	v_rcp_f32_e32 v17, v16
	v_div_scale_f32 v18, vcc, v1, v15, v1
	s_load_dwordx2 s[10:11], s[4:5], 0x4c
	s_load_dword s14, s[4:5], 0x54
	v_fma_f32 v19, -v16, v17, 1.0
	v_fmac_f32_e32 v17, v19, v17
	v_mul_f32_e32 v19, v18, v17
	v_fma_f32 v20, -v16, v19, v18
	v_fmac_f32_e32 v19, v20, v17
	v_fma_f32 v16, -v16, v19, v18
	v_div_fmas_f32 v16, v16, v17, v19
	v_div_fixup_f32 v1, v16, v15, v1
	v_cvt_f64_f32_e32 v[16:17], v1
	v_add_f64 v[16:17], v[16:17], s[2:3]
	v_cvt_f32_f64_e32 v1, v[16:17]
	s_mov_b32 s2, 0x800000
	v_mul_f32_e32 v15, 0x4b800000, v1
	v_cmp_gt_f32_e32 vcc, s2, v1
	v_cndmask_b32_e32 v1, v1, v15, vcc
	v_rsq_f32_e32 v15, v1
	v_cvt_f32_u32_sdwa v20, v3 dst_sel:DWORD dst_unused:UNUSED_PAD src0_sel:WORD_0
	v_cvt_f32_u32_sdwa v3, v4 dst_sel:DWORD dst_unused:UNUSED_PAD src0_sel:WORD_1
	v_lshlrev_b32_e32 v1, 3, v0
	v_mul_f32_e32 v16, 0x45800000, v15
	v_cndmask_b32_e32 v16, v15, v16, vcc
	v_mov_b32_e32 v17, v16
	;;#ASMSTART
	v_pk_mul_f32 v[12:13], v[12:13], v[16:17]
	;;#ASMEND
	;;#ASMSTART
	v_pk_mul_f32 v[10:11], v[10:11], v[16:17]
	;;#ASMEND
	;; [unrolled: 3-line block ×4, first 2 shown]
	v_cvt_f32_u32_sdwa v7, v2 dst_sel:DWORD dst_unused:UNUSED_PAD src0_sel:WORD_1
	v_cvt_f32_u32_sdwa v6, v2 dst_sel:DWORD dst_unused:UNUSED_PAD src0_sel:WORD_0
	v_cvt_f32_u32_sdwa v2, v4 dst_sel:DWORD dst_unused:UNUSED_PAD src0_sel:WORD_0
	;;#ASMSTART
	v_pk_mul_f32 v[8:9], v[12:13], v[6:7]
	;;#ASMEND
	;;#ASMSTART
	v_pk_mul_f32 v[6:7], v[10:11], v[20:21]
	;;#ASMEND
	v_and_b32_e32 v10, 0x7fffffff, v8
	v_mov_b32_e32 v12, 0x2edbe6ff
	;;#ASMSTART
	v_pk_mul_f32 v[4:5], v[18:19], v[2:3]
	;;#ASMEND
	;;#ASMSTART
	v_pk_mul_f32 v[2:3], v[16:17], v[22:23]
	;;#ASMEND
	v_and_b32_e32 v11, 0x7fffffff, v9
	;;#ASMSTART
	v_max3_f32 v10, v12, v10, v11

	;;#ASMEND
	v_and_b32_e32 v12, 0x7fffffff, v7
	v_and_b32_e32 v11, 0x7fffffff, v6
	;;#ASMSTART
	v_max3_f32 v10, v10, v11, v12

	;;#ASMEND
	v_and_b32_e32 v12, 0x7fffffff, v5
	;; [unrolled: 6-line block ×3, first 2 shown]
	s_waitcnt lgkmcnt(0)
	s_cmp_lg_u32 s11, 0
	v_and_b32_e32 v11, 0x7fffffff, v2
	;;#ASMSTART
	v_max3_f32 v12, v10, v11, v12

	;;#ASMEND
	s_cbranch_scc0 .LBB100_10
; %bb.4:
	s_ashr_i32 s15, s11, 31
	s_lshr_b32 s2, s15, 29
	s_add_i32 s2, s11, s2
	s_ashr_i32 s18, s2, 3
	s_cmp_lt_i32 s18, 16
	s_cbranch_scc1 .LBB100_11
; %bb.5:
	s_cmp_lt_i32 s18, 32
	s_cbranch_scc1 .LBB100_12
; %bb.6:
	;; [unrolled: 3-line block ×3, first 2 shown]
	s_cmp_eq_u32 s18, 64
	v_mov_b32_e32 v10, v12
	s_cbranch_scc0 .LBB100_9
; %bb.8:
	s_nop 0
	v_mov_b32_dpp v10, v12 quad_perm:[1,0,3,2] row_mask:0xf bank_mask:0xf
	v_cmp_gt_f32_e32 vcc, v12, v10
	v_cndmask_b32_e32 v10, v10, v12, vcc
	v_bfrev_b32_e32 v13, 0.5
	s_nop 0
	v_mov_b32_dpp v11, v10 quad_perm:[2,3,0,1] row_mask:0xf bank_mask:0xf
	v_cmp_gt_f32_e32 vcc, v10, v11
	v_cndmask_b32_e32 v10, v11, v10, vcc
	s_nop 1
	v_mov_b32_dpp v11, v10 row_ror:4 row_mask:0xf bank_mask:0xf
	v_cmp_gt_f32_e32 vcc, v10, v11
	v_cndmask_b32_e32 v10, v11, v10, vcc
	s_nop 1
	v_mov_b32_dpp v11, v10 row_ror:8 row_mask:0xf bank_mask:0xf
	v_cmp_gt_f32_e32 vcc, v10, v11
	v_cndmask_b32_e32 v10, v11, v10, vcc
	s_nop 1
	v_mov_b32_dpp v11, v10 row_bcast:15 row_mask:0xf bank_mask:0xf
	v_cmp_gt_f32_e32 vcc, v10, v11
	v_cndmask_b32_e32 v10, v11, v10, vcc
	s_nop 1
	v_mov_b32_dpp v11, v10 row_bcast:31 row_mask:0xf bank_mask:0xf
	v_cmp_gt_f32_e32 vcc, v10, v11
	v_cndmask_b32_e32 v10, v11, v10, vcc
	v_mbcnt_lo_u32_b32 v11, -1, 0
	v_mbcnt_hi_u32_b32 v11, -1, v11
	v_lshl_or_b32 v11, v11, 2, v13
	ds_bpermute_b32 v10, v11, v10
.LBB100_9:
	s_mov_b64 s[2:3], 0
	s_branch .LBB100_14
.LBB100_10:
	s_mov_b64 s[2:3], 0
                                        ; implicit-def: $vgpr13
                                        ; implicit-def: $vgpr10_vgpr11
	s_cbranch_execnz .LBB100_43
	s_branch .LBB100_46
.LBB100_11:
                                        ; implicit-def: $vgpr10
	s_branch .LBB100_21
.LBB100_12:
                                        ; implicit-def: $vgpr10
	s_branch .LBB100_18
.LBB100_13:
	s_mov_b64 s[2:3], -1
                                        ; implicit-def: $vgpr10
.LBB100_14:
	s_andn2_b64 vcc, exec, s[2:3]
	s_cbranch_vccnz .LBB100_17
; %bb.15:
	s_cmp_eq_u32 s18, 32
	s_waitcnt lgkmcnt(0)
	v_mov_b32_e32 v10, v12
	s_cbranch_scc0 .LBB100_17
; %bb.16:
	s_nop 0
	v_mov_b32_dpp v10, v12 quad_perm:[1,0,3,2] row_mask:0xf bank_mask:0xf
	v_cmp_gt_f32_e32 vcc, v12, v10
	v_cndmask_b32_e32 v10, v10, v12, vcc
	v_mov_b32_e32 v13, 0x7c
	s_nop 0
	v_mov_b32_dpp v11, v10 quad_perm:[2,3,0,1] row_mask:0xf bank_mask:0xf
	v_cmp_gt_f32_e32 vcc, v10, v11
	v_cndmask_b32_e32 v10, v11, v10, vcc
	s_nop 1
	v_mov_b32_dpp v11, v10 row_half_mirror row_mask:0xf bank_mask:0xf
	v_cmp_gt_f32_e32 vcc, v10, v11
	v_cndmask_b32_e32 v10, v11, v10, vcc
	s_nop 1
	v_mov_b32_dpp v11, v10 row_mirror row_mask:0xf bank_mask:0xf
	v_cmp_gt_f32_e32 vcc, v10, v11
	v_cndmask_b32_e32 v10, v11, v10, vcc
	s_nop 1
	v_mov_b32_dpp v11, v10 row_bcast:15 row_mask:0xa bank_mask:0xf
	v_cmp_gt_f32_e32 vcc, v10, v11
	v_cndmask_b32_e32 v10, v11, v10, vcc
	v_mbcnt_lo_u32_b32 v11, -1, 0
	v_mbcnt_hi_u32_b32 v11, -1, v11
	v_lshl_or_b32 v11, v11, 2, v13
	ds_bpermute_b32 v10, v11, v10
.LBB100_17:
	s_cbranch_execnz .LBB100_20
.LBB100_18:
	s_cmp_eq_u32 s18, 16
	s_waitcnt lgkmcnt(0)
	v_mov_b32_e32 v10, v12
	s_cbranch_scc0 .LBB100_20
; %bb.19:
	s_nop 0
	v_mov_b32_dpp v10, v12 quad_perm:[1,0,3,2] row_mask:0xf bank_mask:0xf
	v_cmp_gt_f32_e32 vcc, v12, v10
	v_cndmask_b32_e32 v10, v10, v12, vcc
	s_nop 1
	v_mov_b32_dpp v11, v10 quad_perm:[2,3,0,1] row_mask:0xf bank_mask:0xf
	v_cmp_gt_f32_e32 vcc, v10, v11
	v_cndmask_b32_e32 v10, v11, v10, vcc
	s_nop 1
	v_mov_b32_dpp v11, v10 row_half_mirror row_mask:0xf bank_mask:0xf
	v_cmp_gt_f32_e32 vcc, v10, v11
	v_cndmask_b32_e32 v10, v11, v10, vcc
	s_nop 1
	v_mov_b32_dpp v11, v10 row_mirror row_mask:0xf bank_mask:0xf
	v_cmp_gt_f32_e32 vcc, v10, v11
	v_cndmask_b32_e32 v10, v11, v10, vcc
.LBB100_20:
	s_cbranch_execnz .LBB100_33
.LBB100_21:
	s_cmp_lt_i32 s18, 4
	s_cbranch_scc1 .LBB100_25
; %bb.22:
	s_cmp_lt_i32 s18, 8
	s_cbranch_scc1 .LBB100_26
; %bb.23:
	s_cmp_eq_u32 s18, 8
	s_waitcnt lgkmcnt(0)
	v_mov_b32_e32 v10, v12
	s_cbranch_scc0 .LBB100_27
; %bb.24:
	s_nop 0
	v_mov_b32_dpp v10, v12 quad_perm:[1,0,3,2] row_mask:0xf bank_mask:0xf
	v_cmp_gt_f32_e32 vcc, v12, v10
	v_cndmask_b32_e32 v10, v10, v12, vcc
	s_nop 1
	v_mov_b32_dpp v11, v10 quad_perm:[2,3,0,1] row_mask:0xf bank_mask:0xf
	v_cmp_gt_f32_e32 vcc, v10, v11
	v_cndmask_b32_e32 v10, v11, v10, vcc
	s_nop 1
	v_mov_b32_dpp v11, v10 row_half_mirror row_mask:0xf bank_mask:0xf
	v_cmp_gt_f32_e32 vcc, v10, v11
	v_cndmask_b32_e32 v10, v11, v10, vcc
	s_cbranch_execz .LBB100_28
	s_branch .LBB100_30
.LBB100_25:
                                        ; implicit-def: $vgpr10
	s_branch .LBB100_31
.LBB100_26:
                                        ; implicit-def: $vgpr10
	s_branch .LBB100_28
.LBB100_27:
	s_cbranch_execnz .LBB100_30
.LBB100_28:
	s_cmp_eq_u32 s18, 4
	s_waitcnt lgkmcnt(0)
	v_mov_b32_e32 v10, v12
	s_cbranch_scc0 .LBB100_30
; %bb.29:
	s_nop 0
	v_mov_b32_dpp v10, v12 quad_perm:[1,0,3,2] row_mask:0xf bank_mask:0xf
	v_cmp_gt_f32_e32 vcc, v12, v10
	v_cndmask_b32_e32 v10, v10, v12, vcc
	s_nop 1
	v_mov_b32_dpp v11, v10 quad_perm:[2,3,0,1] row_mask:0xf bank_mask:0xf
	v_cmp_gt_f32_e32 vcc, v10, v11
	v_cndmask_b32_e32 v10, v11, v10, vcc
.LBB100_30:
	s_cbranch_execnz .LBB100_33
.LBB100_31:
	s_cmp_lg_u32 s18, 2
	s_waitcnt lgkmcnt(0)
	v_mov_b32_e32 v10, v12
	s_cbranch_scc1 .LBB100_33
; %bb.32:
	s_nop 0
	v_mov_b32_dpp v10, v12 quad_perm:[1,0,3,2] row_mask:0xf bank_mask:0xf
	v_cmp_gt_f32_e32 vcc, v12, v10
	v_cndmask_b32_e32 v10, v10, v12, vcc
.LBB100_33:
	v_cvt_f32_u32_e32 v11, s18
	s_waitcnt lgkmcnt(0)
	v_mul_f32_e32 v13, 0x3c010204, v10
	s_sub_i32 s2, 0, s18
	v_cmp_gt_u32_e32 vcc, s9, v1
	v_rcp_iflag_f32_e32 v11, v11
	s_mov_b64 s[16:17], 0
	v_mul_f32_e32 v10, 0x4f7ffffe, v11
	v_cvt_u32_f32_e32 v10, v10
	v_mul_lo_u32 v11, s2, v10
	v_mul_hi_u32 v11, v10, v11
	v_add_u32_e32 v10, v10, v11
	v_mul_hi_u32 v10, v0, v10
	v_mul_lo_u32 v11, v10, s18
	v_sub_u32_e32 v11, v0, v11
	v_add_u32_e32 v15, 1, v10
	v_cmp_le_u32_e64 s[2:3], s18, v11
	v_cndmask_b32_e64 v10, v10, v15, s[2:3]
	v_subrev_u32_e32 v15, s18, v11
	v_cndmask_b32_e64 v11, v11, v15, s[2:3]
	v_add_u32_e32 v15, 1, v10
	v_cmp_le_u32_e64 s[2:3], s18, v11
	v_cndmask_b32_e64 v15, v10, v15, s[2:3]
	v_mul_lo_u32 v10, v15, s18
	v_sub_u32_e32 v10, v0, v10
	v_cmp_eq_u32_e64 s[2:3], 0, v10
	s_and_b64 s[18:19], s[2:3], vcc
	s_mov_b64 s[2:3], 0
                                        ; implicit-def: $vgpr10_vgpr11
	s_and_saveexec_b64 s[20:21], s[18:19]
	s_xor_b64 s[18:19], exec, s[20:21]
	s_cbranch_execz .LBB100_42
; %bb.34:
	s_bitcmp0_b32 s14, 0
	s_cbranch_scc0 .LBB100_39
; %bb.35:
	s_ashr_i32 s2, s9, 31
	s_mul_hi_u32 s3, s9, s6
	s_mul_i32 s2, s2, s6
	s_add_i32 s21, s3, s2
	s_mul_i32 s20, s9, s6
	s_mov_b32 s14, s11
	s_or_b64 s[2:3], s[20:21], s[14:15]
	s_mov_b32 s2, 0
	s_cmp_lg_u64 s[2:3], 0
	s_cbranch_scc0 .LBB100_50
; %bb.36:
	s_add_u32 s2, s14, s15
	s_mov_b32 s24, s15
	s_mov_b32 s25, s15
	s_addc_u32 s3, s15, s15
	s_xor_b64 s[26:27], s[2:3], s[24:25]
	v_cvt_f32_u32_e32 v10, s26
	v_cvt_f32_u32_e32 v11, s27
	s_sub_u32 s2, 0, s26
	s_subb_u32 s3, 0, s27
	v_madmk_f32 v10, v11, 0x4f800000, v10
	v_rcp_f32_e32 v10, v10
	v_mul_f32_e32 v10, 0x5f7ffffc, v10
	v_mul_f32_e32 v11, 0x2f800000, v10
	v_trunc_f32_e32 v11, v11
	v_madmk_f32 v10, v11, 0xcf800000, v10
	v_cvt_u32_f32_e32 v11, v11
	v_cvt_u32_f32_e32 v10, v10
	v_readfirstlane_b32 s11, v11
	v_readfirstlane_b32 s15, v10
	s_mul_i32 s28, s2, s11
	s_mul_hi_u32 s30, s2, s15
	s_mul_i32 s29, s3, s15
	s_add_i32 s28, s30, s28
	s_add_i32 s28, s28, s29
	s_mul_i32 s31, s2, s15
	s_mul_hi_u32 s29, s15, s28
	s_mul_i32 s30, s15, s28
	s_mul_hi_u32 s15, s15, s31
	s_add_u32 s15, s15, s30
	s_addc_u32 s29, 0, s29
	s_mul_hi_u32 s33, s11, s31
	s_mul_i32 s31, s11, s31
	s_add_u32 s15, s15, s31
	s_mul_hi_u32 s30, s11, s28
	s_addc_u32 s15, s29, s33
	s_addc_u32 s29, s30, 0
	s_mul_i32 s28, s11, s28
	s_add_u32 s15, s15, s28
	s_addc_u32 s28, 0, s29
	v_add_co_u32_e32 v10, vcc, s15, v10
	s_cmp_lg_u64 vcc, 0
	s_addc_u32 s11, s11, s28
	v_readfirstlane_b32 s28, v10
	s_mul_i32 s15, s2, s11
	s_mul_hi_u32 s29, s2, s28
	s_add_i32 s15, s29, s15
	s_mul_i32 s3, s3, s28
	s_add_i32 s15, s15, s3
	s_mul_i32 s2, s2, s28
	s_mul_hi_u32 s29, s11, s2
	s_mul_i32 s30, s11, s2
	s_mul_i32 s33, s28, s15
	s_mul_hi_u32 s2, s28, s2
	s_mul_hi_u32 s31, s28, s15
	s_add_u32 s2, s2, s33
	s_addc_u32 s28, 0, s31
	s_add_u32 s2, s2, s30
	s_mul_hi_u32 s3, s11, s15
	s_addc_u32 s2, s28, s29
	s_addc_u32 s3, s3, 0
	s_mul_i32 s15, s11, s15
	s_add_u32 s2, s2, s15
	s_addc_u32 s3, 0, s3
	v_add_co_u32_e32 v10, vcc, s2, v10
	s_cmp_lg_u64 vcc, 0
	s_addc_u32 s11, s11, s3
	s_ashr_i32 s28, s21, 31
	s_add_u32 s2, s20, s28
	s_mov_b32 s29, s28
	s_addc_u32 s3, s21, s28
	s_xor_b64 s[30:31], s[2:3], s[28:29]
	v_readfirstlane_b32 s15, v10
	s_mul_i32 s3, s30, s11
	s_mul_hi_u32 s21, s30, s15
	s_mul_hi_u32 s2, s30, s11
	s_add_u32 s3, s21, s3
	s_addc_u32 s2, 0, s2
	s_mul_hi_u32 s33, s31, s15
	s_mul_i32 s15, s31, s15
	s_add_u32 s3, s3, s15
	s_mul_hi_u32 s21, s31, s11
	s_addc_u32 s2, s2, s33
	s_addc_u32 s3, s21, 0
	s_mul_i32 s11, s31, s11
	s_add_u32 s11, s2, s11
	s_addc_u32 s15, 0, s3
	s_mul_i32 s2, s26, s15
	s_mul_hi_u32 s3, s26, s11
	s_add_i32 s2, s3, s2
	s_mul_i32 s3, s27, s11
	s_add_i32 s21, s2, s3
	s_mul_i32 s3, s26, s11
	v_mov_b32_e32 v10, s3
	s_sub_i32 s2, s31, s21
	v_sub_co_u32_e32 v10, vcc, s30, v10
	s_cmp_lg_u64 vcc, 0
	s_subb_u32 s30, s2, s27
	v_subrev_co_u32_e64 v11, s[2:3], s26, v10
	s_cmp_lg_u64 s[2:3], 0
	s_subb_u32 s30, s30, 0
	s_cmp_ge_u32 s30, s27
	s_cselect_b32 s33, -1, 0
	v_cmp_le_u32_e64 s[2:3], s26, v11
	s_cmp_eq_u32 s30, s27
	v_cndmask_b32_e64 v11, 0, -1, s[2:3]
	v_mov_b32_e32 v16, s33
	s_cselect_b64 s[2:3], -1, 0
	v_cndmask_b32_e64 v11, v16, v11, s[2:3]
	s_add_u32 s2, s11, 1
	s_addc_u32 s30, s15, 0
	s_add_u32 s3, s11, 2
	s_addc_u32 s33, s15, 0
	v_mov_b32_e32 v16, s2
	v_mov_b32_e32 v17, s3
	v_cmp_ne_u32_e64 s[2:3], 0, v11
	v_cndmask_b32_e64 v11, v16, v17, s[2:3]
	v_mov_b32_e32 v16, s30
	v_mov_b32_e32 v17, s33
	s_cmp_lg_u64 vcc, 0
	v_cndmask_b32_e64 v16, v16, v17, s[2:3]
	s_subb_u32 s2, s31, s21
	s_cmp_ge_u32 s2, s27
	s_cselect_b32 s3, -1, 0
	v_cmp_le_u32_e32 vcc, s26, v10
	s_cmp_eq_u32 s2, s27
	v_cndmask_b32_e64 v10, 0, -1, vcc
	v_mov_b32_e32 v17, s3
	s_cselect_b64 vcc, -1, 0
	v_cndmask_b32_e32 v10, v17, v10, vcc
	v_mov_b32_e32 v17, s15
	v_cmp_ne_u32_e32 vcc, 0, v10
	v_cndmask_b32_e32 v10, v17, v16, vcc
	v_mov_b32_e32 v16, s11
	v_cndmask_b32_e32 v11, v16, v11, vcc
	s_xor_b64 s[2:3], s[28:29], s[24:25]
	v_xor_b32_e32 v11, s2, v11
	v_xor_b32_e32 v16, s3, v10
	v_mov_b32_e32 v17, s3
	v_subrev_co_u32_e32 v10, vcc, s2, v11
	v_subb_co_u32_e32 v11, vcc, v16, v17, vcc
	s_cbranch_execnz .LBB100_38
.LBB100_37:
	v_cvt_f32_u32_e32 v10, s14
	s_sub_i32 s2, 0, s14
	s_mov_b32 s3, 0
	v_rcp_iflag_f32_e32 v10, v10
	v_mul_f32_e32 v10, 0x4f7ffffe, v10
	v_cvt_u32_f32_e32 v10, v10
	v_readfirstlane_b32 s11, v10
	s_mul_i32 s2, s2, s11
	s_mul_hi_u32 s2, s11, s2
	s_add_i32 s11, s11, s2
	s_mul_hi_u32 s2, s20, s11
	s_mul_i32 s15, s2, s14
	s_sub_i32 s15, s20, s15
	s_add_i32 s11, s2, 1
	s_sub_i32 s20, s15, s14
	s_cmp_ge_u32 s15, s14
	s_cselect_b32 s2, s11, s2
	s_cselect_b32 s15, s20, s15
	s_add_i32 s11, s2, 1
	s_cmp_ge_u32 s15, s14
	s_cselect_b32 s2, s11, s2
	v_pk_mov_b32 v[10:11], s[2:3], s[2:3] op_sel:[0,1]
.LBB100_38:
	v_add_co_u32_e32 v10, vcc, v10, v15
	v_addc_co_u32_e32 v11, vcc, 0, v11, vcc
	s_branch .LBB100_41
.LBB100_39:
                                        ; implicit-def: $vgpr10_vgpr11
	s_cbranch_execz .LBB100_41
; %bb.40:
	v_mul_lo_u32 v10, v15, s8
	v_ashrrev_i32_e32 v11, 31, v10
	v_mov_b32_e32 v15, s7
	v_add_co_u32_e32 v10, vcc, s6, v10
	v_addc_co_u32_e32 v11, vcc, v11, v15, vcc
.LBB100_41:
	s_mov_b64 s[2:3], exec
.LBB100_42:
	s_or_b64 exec, exec, s[18:19]
	s_and_b64 vcc, exec, s[16:17]
	s_cbranch_vccz .LBB100_46
.LBB100_43:
	v_mov_b32_dpp v10, v12 quad_perm:[1,0,3,2] row_mask:0xf bank_mask:0xf
	v_cmp_gt_f32_e32 vcc, v12, v10
	v_cndmask_b32_e32 v10, v10, v12, vcc
	s_nop 1
	v_mov_b32_dpp v11, v10 quad_perm:[2,3,0,1] row_mask:0xf bank_mask:0xf
	v_cmp_gt_f32_e32 vcc, v10, v11
	v_cndmask_b32_e32 v10, v11, v10, vcc
	s_nop 1
	v_mov_b32_dpp v11, v10 row_half_mirror row_mask:0xf bank_mask:0xf
	v_cmp_gt_f32_e32 vcc, v10, v11
	v_cndmask_b32_e32 v10, v11, v10, vcc
	s_nop 1
	v_mov_b32_dpp v11, v10 row_mirror row_mask:0xf bank_mask:0xf
	v_cmp_gt_f32_e32 vcc, v10, v11
	v_cndmask_b32_e32 v10, v11, v10, vcc
	s_nop 1
	v_mov_b32_dpp v11, v10 row_bcast:15 row_mask:0xf bank_mask:0xf
	v_cmp_gt_f32_e32 vcc, v10, v11
	v_cndmask_b32_e32 v10, v11, v10, vcc
	s_nop 1
	v_mov_b32_dpp v11, v10 row_bcast:31 row_mask:0xf bank_mask:0xf
	s_and_saveexec_b64 s[2:3], s[0:1]
	s_cbranch_execz .LBB100_45
; %bb.44:
	v_lshrrev_b32_e32 v12, 4, v0
	v_cmp_gt_f32_e32 vcc, v10, v11
	v_and_b32_e32 v12, 60, v12
	v_cndmask_b32_e32 v10, v11, v10, vcc
	ds_write_b32 v12, v10
.LBB100_45:
	s_or_b64 exec, exec, s[2:3]
	s_waitcnt lgkmcnt(0)
	s_barrier
	ds_read_b32 v10, v14
	v_cmp_eq_u32_e64 s[2:3], 0, v0
	s_waitcnt lgkmcnt(0)
	v_mov_b32_dpp v11, v10 quad_perm:[1,0,3,2] row_mask:0xf bank_mask:0xf
	v_cmp_gt_f32_e32 vcc, v10, v11
	v_cndmask_b32_e32 v10, v11, v10, vcc
	s_nop 1
	v_mov_b32_dpp v11, v10 quad_perm:[2,3,0,1] row_mask:0xf bank_mask:0xf
	v_cmp_gt_f32_e32 vcc, v10, v11
	v_cndmask_b32_e32 v10, v11, v10, vcc
	v_mul_f32_e32 v13, 0x3c010204, v10
	v_pk_mov_b32 v[10:11], s[6:7], s[6:7] op_sel:[0,1]
.LBB100_46:
	s_and_saveexec_b64 s[0:1], s[2:3]
	s_cbranch_execz .LBB100_48
; %bb.47:
	v_lshlrev_b64 v[10:11], 2, v[10:11]
	v_mov_b32_e32 v0, s13
	v_add_co_u32_e32 v10, vcc, s12, v10
	v_addc_co_u32_e32 v11, vcc, v0, v11, vcc
	global_store_dword v[10:11], v13, off
.LBB100_48:
	s_or_b64 exec, exec, s[0:1]
	s_add_i32 s2, s9, 3
	s_load_dwordx2 s[0:1], s[4:5], 0x0
	s_ashr_i32 s3, s2, 31
	;;#ASMSTART
	v_rcp_f32 v10, v13
	;;#ASMEND
	v_mov_b32_e32 v11, v10
	;;#ASMSTART
	v_pk_mul_f32 v[8:9], v[8:9], v[10:11]
	;;#ASMEND
	;;#ASMSTART
	v_pk_mul_f32 v[6:7], v[6:7], v[10:11]
	;;#ASMEND
	s_lshr_b32 s3, s3, 30
	v_cvt_i32_f32_e32 v0, v8
	v_cvt_i32_f32_sdwa v8, v9 dst_sel:BYTE_1 dst_unused:UNUSED_PAD src0_sel:DWORD
	v_cvt_i32_f32_e32 v6, v6
	v_cvt_i32_f32_sdwa v7, v7 dst_sel:BYTE_1 dst_unused:UNUSED_PAD src0_sel:DWORD
	;;#ASMSTART
	v_pk_mul_f32 v[4:5], v[4:5], v[10:11]
	;;#ASMEND
	;;#ASMSTART
	v_pk_mul_f32 v[2:3], v[2:3], v[10:11]
	;;#ASMEND
	s_add_i32 s2, s2, s3
	s_ashr_i32 s3, s10, 31
	v_cvt_i32_f32_e32 v4, v4
	v_cvt_i32_f32_sdwa v5, v5 dst_sel:BYTE_1 dst_unused:UNUSED_PAD src0_sel:DWORD
	v_cvt_i32_f32_e32 v9, v2
	v_cvt_i32_f32_sdwa v3, v3 dst_sel:BYTE_1 dst_unused:UNUSED_PAD src0_sel:DWORD
	s_mul_hi_u32 s4, s10, s6
	s_mul_i32 s3, s3, s6
	s_and_b32 s2, s2, -4
	s_add_i32 s4, s4, s3
	s_mul_i32 s3, s10, s6
	s_waitcnt lgkmcnt(0)
	s_add_u32 s0, s0, s3
	v_or_b32_sdwa v0, v0, v8 dst_sel:DWORD dst_unused:UNUSED_PAD src0_sel:BYTE_0 src1_sel:DWORD
	v_or_b32_sdwa v2, v6, v7 dst_sel:WORD_1 dst_unused:UNUSED_PAD src0_sel:BYTE_0 src1_sel:DWORD
	s_addc_u32 s1, s1, s4
	v_or_b32_sdwa v2, v0, v2 dst_sel:DWORD dst_unused:UNUSED_PAD src0_sel:WORD_0 src1_sel:DWORD
	v_or_b32_sdwa v0, v4, v5 dst_sel:DWORD dst_unused:UNUSED_PAD src0_sel:BYTE_0 src1_sel:DWORD
	v_or_b32_sdwa v3, v9, v3 dst_sel:WORD_1 dst_unused:UNUSED_PAD src0_sel:BYTE_0 src1_sel:DWORD
	s_and_b32 s1, s1, 0xffff
	s_mov_b32 s3, 0x20000
	v_or_b32_sdwa v3, v0, v3 dst_sel:DWORD dst_unused:UNUSED_PAD src0_sel:WORD_0 src1_sel:DWORD
	buffer_store_dwordx2 v[2:3], v1, s[0:3], 0 offen
	;;#ASMSTART
	s_nop 0
	;;#ASMEND
.LBB100_49:
	s_endpgm
.LBB100_50:
                                        ; implicit-def: $vgpr10_vgpr11
	s_branch .LBB100_37
	.section	.rodata,"a",@progbits
	.p2align	6, 0x0
	.amdhsa_kernel _ZN5aiter24add_rmsnorm_quant_kernelItaLi256ELi8ELb0ELb1ELb0ELi1EEEvPT0_PT_PfS4_S4_S4_diiiiiiib
		.amdhsa_group_segment_fixed_size 32
		.amdhsa_private_segment_fixed_size 0
		.amdhsa_kernarg_size 88
		.amdhsa_user_sgpr_count 6
		.amdhsa_user_sgpr_private_segment_buffer 1
		.amdhsa_user_sgpr_dispatch_ptr 0
		.amdhsa_user_sgpr_queue_ptr 0
		.amdhsa_user_sgpr_kernarg_segment_ptr 1
		.amdhsa_user_sgpr_dispatch_id 0
		.amdhsa_user_sgpr_flat_scratch_init 0
		.amdhsa_user_sgpr_kernarg_preload_length 0
		.amdhsa_user_sgpr_kernarg_preload_offset 0
		.amdhsa_user_sgpr_private_segment_size 0
		.amdhsa_uses_dynamic_stack 0
		.amdhsa_system_sgpr_private_segment_wavefront_offset 0
		.amdhsa_system_sgpr_workgroup_id_x 1
		.amdhsa_system_sgpr_workgroup_id_y 0
		.amdhsa_system_sgpr_workgroup_id_z 0
		.amdhsa_system_sgpr_workgroup_info 0
		.amdhsa_system_vgpr_workitem_id 0
		.amdhsa_next_free_vgpr 24
		.amdhsa_next_free_sgpr 34
		.amdhsa_accum_offset 24
		.amdhsa_reserve_vcc 1
		.amdhsa_reserve_flat_scratch 0
		.amdhsa_float_round_mode_32 0
		.amdhsa_float_round_mode_16_64 0
		.amdhsa_float_denorm_mode_32 3
		.amdhsa_float_denorm_mode_16_64 3
		.amdhsa_dx10_clamp 1
		.amdhsa_ieee_mode 1
		.amdhsa_fp16_overflow 0
		.amdhsa_tg_split 0
		.amdhsa_exception_fp_ieee_invalid_op 0
		.amdhsa_exception_fp_denorm_src 0
		.amdhsa_exception_fp_ieee_div_zero 0
		.amdhsa_exception_fp_ieee_overflow 0
		.amdhsa_exception_fp_ieee_underflow 0
		.amdhsa_exception_fp_ieee_inexact 0
		.amdhsa_exception_int_div_zero 0
	.end_amdhsa_kernel
	.section	.text._ZN5aiter24add_rmsnorm_quant_kernelItaLi256ELi8ELb0ELb1ELb0ELi1EEEvPT0_PT_PfS4_S4_S4_diiiiiiib,"axG",@progbits,_ZN5aiter24add_rmsnorm_quant_kernelItaLi256ELi8ELb0ELb1ELb0ELi1EEEvPT0_PT_PfS4_S4_S4_diiiiiiib,comdat
.Lfunc_end100:
	.size	_ZN5aiter24add_rmsnorm_quant_kernelItaLi256ELi8ELb0ELb1ELb0ELi1EEEvPT0_PT_PfS4_S4_S4_diiiiiiib, .Lfunc_end100-_ZN5aiter24add_rmsnorm_quant_kernelItaLi256ELi8ELb0ELb1ELb0ELi1EEEvPT0_PT_PfS4_S4_S4_diiiiiiib
                                        ; -- End function
	.section	.AMDGPU.csdata,"",@progbits
; Kernel info:
; codeLenInByte = 3096
; NumSgprs: 38
; NumVgprs: 24
; NumAgprs: 0
; TotalNumVgprs: 24
; ScratchSize: 0
; MemoryBound: 0
; FloatMode: 240
; IeeeMode: 1
; LDSByteSize: 32 bytes/workgroup (compile time only)
; SGPRBlocks: 4
; VGPRBlocks: 2
; NumSGPRsForWavesPerEU: 38
; NumVGPRsForWavesPerEU: 24
; AccumOffset: 24
; Occupancy: 8
; WaveLimiterHint : 0
; COMPUTE_PGM_RSRC2:SCRATCH_EN: 0
; COMPUTE_PGM_RSRC2:USER_SGPR: 6
; COMPUTE_PGM_RSRC2:TRAP_HANDLER: 0
; COMPUTE_PGM_RSRC2:TGID_X_EN: 1
; COMPUTE_PGM_RSRC2:TGID_Y_EN: 0
; COMPUTE_PGM_RSRC2:TGID_Z_EN: 0
; COMPUTE_PGM_RSRC2:TIDIG_COMP_CNT: 0
; COMPUTE_PGM_RSRC3_GFX90A:ACCUM_OFFSET: 5
; COMPUTE_PGM_RSRC3_GFX90A:TG_SPLIT: 0
	.section	.text._ZN5aiter24add_rmsnorm_quant_kernelIDF16_aLi256ELi16ELb0ELb1ELb1ELi1EEEvPT0_PT_PfS4_S4_S4_diiiiiiib,"axG",@progbits,_ZN5aiter24add_rmsnorm_quant_kernelIDF16_aLi256ELi16ELb0ELb1ELb1ELi1EEEvPT0_PT_PfS4_S4_S4_diiiiiiib,comdat
	.protected	_ZN5aiter24add_rmsnorm_quant_kernelIDF16_aLi256ELi16ELb0ELb1ELb1ELi1EEEvPT0_PT_PfS4_S4_S4_diiiiiiib ; -- Begin function _ZN5aiter24add_rmsnorm_quant_kernelIDF16_aLi256ELi16ELb0ELb1ELb1ELi1EEEvPT0_PT_PfS4_S4_S4_diiiiiiib
	.globl	_ZN5aiter24add_rmsnorm_quant_kernelIDF16_aLi256ELi16ELb0ELb1ELb1ELi1EEEvPT0_PT_PfS4_S4_S4_diiiiiiib
	.p2align	8
	.type	_ZN5aiter24add_rmsnorm_quant_kernelIDF16_aLi256ELi16ELb0ELb1ELb1ELi1EEEvPT0_PT_PfS4_S4_S4_diiiiiiib,@function
_ZN5aiter24add_rmsnorm_quant_kernelIDF16_aLi256ELi16ELb0ELb1ELb1ELi1EEEvPT0_PT_PfS4_S4_S4_diiiiiiib: ; @_ZN5aiter24add_rmsnorm_quant_kernelIDF16_aLi256ELi16ELb0ELb1ELb1ELi1EEEvPT0_PT_PfS4_S4_S4_diiiiiiib
; %bb.0:
	s_load_dwordx4 s[8:11], s[4:5], 0x38
	s_mov_b32 s7, 0
	s_waitcnt lgkmcnt(0)
	s_ashr_i32 s0, s8, 31
	v_mov_b32_e32 v2, s8
	v_mov_b32_e32 v3, s0
	v_cmp_ge_i64_e32 vcc, s[6:7], v[2:3]
	s_cbranch_vccnz .LBB101_49
; %bb.1:
	s_load_dwordx4 s[12:15], s[4:5], 0x10
	s_load_dwordx4 s[0:3], s[4:5], 0x28
	s_ashr_i32 s11, s10, 31
	s_mul_hi_u32 s16, s10, s6
	s_mul_i32 s11, s11, s6
	s_add_i32 s11, s16, s11
	s_mul_i32 s10, s10, s6
	s_lshl_b64 s[10:11], s[10:11], 1
	s_waitcnt lgkmcnt(0)
	s_add_u32 s16, s14, s10
	s_addc_u32 s10, s15, s11
	s_add_i32 s11, s9, 1
	s_lshr_b32 s14, s11, 31
	v_lshlrev_b32_e32 v27, 4, v0
	s_add_i32 s11, s11, s14
	s_and_b32 s17, s10, 0xffff
	v_lshlrev_b32_e32 v1, 3, v0
	v_and_b32_e32 v2, 0x3c00, v27
	s_movk_i32 s10, 0x1f8
	s_lshl_b32 s11, s11, 1
	v_and_or_b32 v1, v1, s10, v2
	s_and_b32 s18, s11, -4
	s_mov_b32 s19, 0x20000
	v_lshlrev_b32_e32 v14, 1, v1
	buffer_load_dwordx4 v[10:13], v14, s[16:19], 0 offen glc slc
	s_movk_i32 s10, 0x400
	buffer_load_dwordx4 v[28:31], v14, s[16:19], s10 offen glc slc
	s_mov_b32 s16, s0
	s_and_b32 s17, s1, 0xffff
	buffer_load_dwordx4 v[6:9], v14, s[16:19], 0 offen
	buffer_load_dwordx4 v[2:5], v14, s[16:19], s10 offen
	v_and_b32_e32 v44, 63, v0
	v_cmp_eq_u32_e64 s[0:1], 63, v44
	s_waitcnt vmcnt(3)
	v_cvt_f32_f16_e32 v24, v10
	v_cvt_f32_f16_sdwa v25, v10 dst_sel:DWORD dst_unused:UNUSED_PAD src0_sel:WORD_1
	v_cvt_f32_f16_e32 v22, v11
	v_cvt_f32_f16_sdwa v23, v11 dst_sel:DWORD dst_unused:UNUSED_PAD src0_sel:WORD_1
	;; [unrolled: 2-line block ×3, first 2 shown]
	s_waitcnt vmcnt(2)
	v_cvt_f32_f16_e32 v16, v28
	v_cvt_f32_f16_sdwa v17, v28 dst_sel:DWORD dst_unused:UNUSED_PAD src0_sel:WORD_1
	v_cvt_f32_f16_e32 v14, v29
	v_cvt_f32_f16_sdwa v15, v29 dst_sel:DWORD dst_unused:UNUSED_PAD src0_sel:WORD_1
	v_pk_mul_f32 v[28:29], v[24:25], v[24:25]
	v_cvt_f32_f16_e32 v18, v13
	v_cvt_f32_f16_sdwa v19, v13 dst_sel:DWORD dst_unused:UNUSED_PAD src0_sel:WORD_1
	v_cvt_f32_f16_e32 v12, v30
	v_cvt_f32_f16_sdwa v13, v30 dst_sel:DWORD dst_unused:UNUSED_PAD src0_sel:WORD_1
	;; [unrolled: 2-line block ×3, first 2 shown]
	v_pk_mul_f32 v[30:31], v[22:23], v[22:23]
	v_add_f32_e32 v26, v28, v29
	v_add_f32_e32 v26, v30, v26
	v_pk_mul_f32 v[32:33], v[20:21], v[20:21]
	v_add_f32_e32 v26, v31, v26
	v_add_f32_e32 v26, v32, v26
	v_pk_mul_f32 v[34:35], v[18:19], v[18:19]
	v_add_f32_e32 v26, v33, v26
	v_add_f32_e32 v26, v34, v26
	v_pk_mul_f32 v[36:37], v[16:17], v[16:17]
	v_add_f32_e32 v26, v35, v26
	v_add_f32_e32 v26, v36, v26
	v_pk_mul_f32 v[38:39], v[14:15], v[14:15]
	v_add_f32_e32 v26, v37, v26
	v_add_f32_e32 v26, v38, v26
	v_pk_mul_f32 v[40:41], v[12:13], v[12:13]
	v_add_f32_e32 v26, v39, v26
	v_add_f32_e32 v26, v40, v26
	v_pk_mul_f32 v[42:43], v[10:11], v[10:11]
	v_add_f32_e32 v26, v41, v26
	v_add_f32_e32 v26, v42, v26
	v_add_f32_e32 v26, v43, v26
	s_nop 1
	v_mov_b32_dpp v28, v26 quad_perm:[1,0,3,2] row_mask:0xf bank_mask:0xf
	v_add_f32_e32 v26, v26, v28
	s_nop 1
	v_mov_b32_dpp v28, v26 quad_perm:[2,3,0,1] row_mask:0xf bank_mask:0xf
	v_add_f32_e32 v26, v26, v28
	s_nop 1
	v_mov_b32_dpp v28, v26 row_half_mirror row_mask:0xf bank_mask:0xf
	v_add_f32_e32 v26, v26, v28
	s_nop 1
	v_mov_b32_dpp v28, v26 row_mirror row_mask:0xf bank_mask:0xf
	v_add_f32_e32 v26, v26, v28
	s_nop 1
	v_mov_b32_dpp v28, v26 row_bcast:15 row_mask:0xf bank_mask:0xf
	v_add_f32_e32 v26, v26, v28
	s_nop 1
	v_mov_b32_dpp v28, v26 row_bcast:31 row_mask:0xf bank_mask:0xf
	s_and_saveexec_b64 s[10:11], s[0:1]
	s_cbranch_execz .LBB101_3
; %bb.2:
	v_lshrrev_b32_e32 v29, 4, v0
	v_and_b32_e32 v29, 60, v29
	v_add_f32_e32 v26, v26, v28
	ds_write_b32 v29, v26 offset:16
.LBB101_3:
	s_or_b64 exec, exec, s[10:11]
	v_and_b32_e32 v26, 3, v0
	v_lshlrev_b32_e32 v26, 2, v26
	s_waitcnt lgkmcnt(0)
	s_barrier
	ds_read_b32 v28, v26 offset:16
	v_cvt_f32_i32_e32 v29, s9
	s_waitcnt vmcnt(1)
	v_cvt_f32_f16_sdwa v37, v9 dst_sel:DWORD dst_unused:UNUSED_PAD src0_sel:WORD_1
	v_cvt_f32_f16_e32 v36, v9
	s_waitcnt lgkmcnt(0)
	v_mov_b32_dpp v30, v28 quad_perm:[1,0,3,2] row_mask:0xf bank_mask:0xf
	v_add_f32_e32 v28, v28, v30
	s_nop 1
	v_mov_b32_dpp v30, v28 quad_perm:[2,3,0,1] row_mask:0xf bank_mask:0xf
	v_add_f32_e32 v28, v28, v30
	v_div_scale_f32 v30, s[10:11], v29, v29, v28
	v_rcp_f32_e32 v31, v30
	v_div_scale_f32 v32, vcc, v28, v29, v28
	s_load_dwordx2 s[10:11], s[4:5], 0x4c
	s_load_dword s14, s[4:5], 0x54
	v_fma_f32 v33, -v30, v31, 1.0
	v_fmac_f32_e32 v31, v33, v31
	v_mul_f32_e32 v33, v32, v31
	v_fma_f32 v34, -v30, v33, v32
	v_fmac_f32_e32 v33, v34, v31
	v_fma_f32 v30, -v30, v33, v32
	v_div_fmas_f32 v30, v30, v31, v33
	v_div_fixup_f32 v28, v30, v29, v28
	v_cvt_f64_f32_e32 v[28:29], v28
	v_add_f64 v[28:29], v[28:29], s[2:3]
	v_cvt_f32_f64_e32 v28, v[28:29]
	s_mov_b32 s2, 0x800000
	v_mul_f32_e32 v29, 0x4b800000, v28
	v_cmp_gt_f32_e32 vcc, s2, v28
	v_cndmask_b32_e32 v28, v28, v29, vcc
	v_rsq_f32_e32 v28, v28
	s_waitcnt lgkmcnt(0)
	s_cmp_lg_u32 s11, 0
	v_mul_f32_e32 v29, 0x45800000, v28
	v_cndmask_b32_e32 v28, v28, v29, vcc
	v_mov_b32_e32 v29, v28
	;;#ASMSTART
	v_pk_mul_f32 v[24:25], v[24:25], v[28:29]
	;;#ASMEND
	;;#ASMSTART
	v_pk_mul_f32 v[22:23], v[22:23], v[28:29]
	;;#ASMEND
	;; [unrolled: 3-line block ×8, first 2 shown]
	v_cvt_f32_f16_sdwa v11, v6 dst_sel:DWORD dst_unused:UNUSED_PAD src0_sel:WORD_1
	v_cvt_f32_f16_e32 v10, v6
	v_cvt_f32_f16_sdwa v13, v7 dst_sel:DWORD dst_unused:UNUSED_PAD src0_sel:WORD_1
	v_cvt_f32_f16_e32 v12, v7
	;; [unrolled: 2-line block ×3, first 2 shown]
	;;#ASMSTART
	v_pk_mul_f32 v[16:17], v[24:25], v[10:11]
	;;#ASMEND
	;;#ASMSTART
	v_pk_mul_f32 v[14:15], v[22:23], v[12:13]
	;;#ASMEND
	;;#ASMSTART
	v_pk_mul_f32 v[10:11], v[20:21], v[6:7]
	;;#ASMEND
	;;#ASMSTART
	v_pk_mul_f32 v[8:9], v[18:19], v[36:37]
	;;#ASMEND
	s_waitcnt vmcnt(0)
	v_cvt_f32_f16_sdwa v7, v2 dst_sel:DWORD dst_unused:UNUSED_PAD src0_sel:WORD_1
	v_cvt_f32_f16_e32 v6, v2
	v_cvt_f32_f16_sdwa v19, v3 dst_sel:DWORD dst_unused:UNUSED_PAD src0_sel:WORD_1
	v_cvt_f32_f16_e32 v18, v3
	;; [unrolled: 2-line block ×3, first 2 shown]
	v_cvt_f32_f16_e32 v20, v5
	v_cvt_f32_f16_sdwa v21, v5 dst_sel:DWORD dst_unused:UNUSED_PAD src0_sel:WORD_1
	;;#ASMSTART
	v_pk_mul_f32 v[12:13], v[30:31], v[6:7]
	;;#ASMEND
	;;#ASMSTART
	v_pk_mul_f32 v[6:7], v[32:33], v[18:19]
	;;#ASMEND
	;; [unrolled: 3-line block ×4, first 2 shown]
	v_and_b32_e32 v18, 0x7fffffff, v16
	v_mov_b32_e32 v20, 0x2edbe6ff
	v_and_b32_e32 v19, 0x7fffffff, v17
	;;#ASMSTART
	v_max3_f32 v18, v20, v18, v19

	;;#ASMEND
	v_and_b32_e32 v20, 0x7fffffff, v15
	v_and_b32_e32 v19, 0x7fffffff, v14
	;;#ASMSTART
	v_max3_f32 v18, v18, v19, v20

	;;#ASMEND
	v_and_b32_e32 v20, 0x7fffffff, v11
	;; [unrolled: 6-line block ×7, first 2 shown]
	v_and_b32_e32 v19, 0x7fffffff, v2
	;;#ASMSTART
	v_max3_f32 v20, v18, v19, v20

	;;#ASMEND
	s_cbranch_scc0 .LBB101_10
; %bb.4:
	s_ashr_i32 s15, s11, 31
	s_lshr_b32 s2, s15, 28
	s_add_i32 s2, s11, s2
	s_ashr_i32 s18, s2, 4
	s_cmp_lt_i32 s18, 16
	s_cbranch_scc1 .LBB101_11
; %bb.5:
	s_cmp_lt_i32 s18, 32
	s_cbranch_scc1 .LBB101_12
; %bb.6:
	;; [unrolled: 3-line block ×3, first 2 shown]
	s_cmp_eq_u32 s18, 64
	v_mov_b32_e32 v18, v20
	s_cbranch_scc0 .LBB101_9
; %bb.8:
	s_nop 0
	v_mov_b32_dpp v18, v20 quad_perm:[1,0,3,2] row_mask:0xf bank_mask:0xf
	v_cmp_gt_f32_e32 vcc, v20, v18
	v_cndmask_b32_e32 v18, v18, v20, vcc
	v_bfrev_b32_e32 v21, 0.5
	s_nop 0
	v_mov_b32_dpp v19, v18 quad_perm:[2,3,0,1] row_mask:0xf bank_mask:0xf
	v_cmp_gt_f32_e32 vcc, v18, v19
	v_cndmask_b32_e32 v18, v19, v18, vcc
	s_nop 1
	v_mov_b32_dpp v19, v18 row_ror:4 row_mask:0xf bank_mask:0xf
	v_cmp_gt_f32_e32 vcc, v18, v19
	v_cndmask_b32_e32 v18, v19, v18, vcc
	s_nop 1
	v_mov_b32_dpp v19, v18 row_ror:8 row_mask:0xf bank_mask:0xf
	v_cmp_gt_f32_e32 vcc, v18, v19
	v_cndmask_b32_e32 v18, v19, v18, vcc
	s_nop 1
	v_mov_b32_dpp v19, v18 row_bcast:15 row_mask:0xf bank_mask:0xf
	v_cmp_gt_f32_e32 vcc, v18, v19
	v_cndmask_b32_e32 v18, v19, v18, vcc
	s_nop 1
	v_mov_b32_dpp v19, v18 row_bcast:31 row_mask:0xf bank_mask:0xf
	v_cmp_gt_f32_e32 vcc, v18, v19
	v_cndmask_b32_e32 v18, v19, v18, vcc
	v_mbcnt_lo_u32_b32 v19, -1, 0
	v_mbcnt_hi_u32_b32 v19, -1, v19
	v_lshl_or_b32 v19, v19, 2, v21
	ds_bpermute_b32 v18, v19, v18
.LBB101_9:
	s_mov_b64 s[2:3], 0
	s_branch .LBB101_14
.LBB101_10:
	s_mov_b64 s[2:3], 0
                                        ; implicit-def: $vgpr21
                                        ; implicit-def: $vgpr18_vgpr19
	s_cbranch_execnz .LBB101_43
	s_branch .LBB101_46
.LBB101_11:
                                        ; implicit-def: $vgpr18
	s_branch .LBB101_21
.LBB101_12:
                                        ; implicit-def: $vgpr18
	s_branch .LBB101_18
.LBB101_13:
	s_mov_b64 s[2:3], -1
                                        ; implicit-def: $vgpr18
.LBB101_14:
	s_andn2_b64 vcc, exec, s[2:3]
	s_cbranch_vccnz .LBB101_17
; %bb.15:
	s_cmp_eq_u32 s18, 32
	s_waitcnt lgkmcnt(0)
	v_mov_b32_e32 v18, v20
	s_cbranch_scc0 .LBB101_17
; %bb.16:
	s_nop 0
	v_mov_b32_dpp v18, v20 quad_perm:[1,0,3,2] row_mask:0xf bank_mask:0xf
	v_cmp_gt_f32_e32 vcc, v20, v18
	v_cndmask_b32_e32 v18, v18, v20, vcc
	v_mov_b32_e32 v21, 0x7c
	s_nop 0
	v_mov_b32_dpp v19, v18 quad_perm:[2,3,0,1] row_mask:0xf bank_mask:0xf
	v_cmp_gt_f32_e32 vcc, v18, v19
	v_cndmask_b32_e32 v18, v19, v18, vcc
	s_nop 1
	v_mov_b32_dpp v19, v18 row_half_mirror row_mask:0xf bank_mask:0xf
	v_cmp_gt_f32_e32 vcc, v18, v19
	v_cndmask_b32_e32 v18, v19, v18, vcc
	s_nop 1
	v_mov_b32_dpp v19, v18 row_mirror row_mask:0xf bank_mask:0xf
	v_cmp_gt_f32_e32 vcc, v18, v19
	v_cndmask_b32_e32 v18, v19, v18, vcc
	s_nop 1
	v_mov_b32_dpp v19, v18 row_bcast:15 row_mask:0xa bank_mask:0xf
	v_cmp_gt_f32_e32 vcc, v18, v19
	v_cndmask_b32_e32 v18, v19, v18, vcc
	v_mbcnt_lo_u32_b32 v19, -1, 0
	v_mbcnt_hi_u32_b32 v19, -1, v19
	v_lshl_or_b32 v19, v19, 2, v21
	ds_bpermute_b32 v18, v19, v18
.LBB101_17:
	s_cbranch_execnz .LBB101_20
.LBB101_18:
	s_cmp_eq_u32 s18, 16
	s_waitcnt lgkmcnt(0)
	v_mov_b32_e32 v18, v20
	s_cbranch_scc0 .LBB101_20
; %bb.19:
	s_nop 0
	v_mov_b32_dpp v18, v20 quad_perm:[1,0,3,2] row_mask:0xf bank_mask:0xf
	v_cmp_gt_f32_e32 vcc, v20, v18
	v_cndmask_b32_e32 v18, v18, v20, vcc
	s_nop 1
	v_mov_b32_dpp v19, v18 quad_perm:[2,3,0,1] row_mask:0xf bank_mask:0xf
	v_cmp_gt_f32_e32 vcc, v18, v19
	v_cndmask_b32_e32 v18, v19, v18, vcc
	s_nop 1
	v_mov_b32_dpp v19, v18 row_half_mirror row_mask:0xf bank_mask:0xf
	v_cmp_gt_f32_e32 vcc, v18, v19
	v_cndmask_b32_e32 v18, v19, v18, vcc
	s_nop 1
	v_mov_b32_dpp v19, v18 row_mirror row_mask:0xf bank_mask:0xf
	v_cmp_gt_f32_e32 vcc, v18, v19
	v_cndmask_b32_e32 v18, v19, v18, vcc
.LBB101_20:
	s_cbranch_execnz .LBB101_33
.LBB101_21:
	s_cmp_lt_i32 s18, 4
	s_cbranch_scc1 .LBB101_25
; %bb.22:
	s_cmp_lt_i32 s18, 8
	s_cbranch_scc1 .LBB101_26
; %bb.23:
	s_cmp_eq_u32 s18, 8
	s_waitcnt lgkmcnt(0)
	v_mov_b32_e32 v18, v20
	s_cbranch_scc0 .LBB101_27
; %bb.24:
	s_nop 0
	v_mov_b32_dpp v18, v20 quad_perm:[1,0,3,2] row_mask:0xf bank_mask:0xf
	v_cmp_gt_f32_e32 vcc, v20, v18
	v_cndmask_b32_e32 v18, v18, v20, vcc
	s_nop 1
	v_mov_b32_dpp v19, v18 quad_perm:[2,3,0,1] row_mask:0xf bank_mask:0xf
	v_cmp_gt_f32_e32 vcc, v18, v19
	v_cndmask_b32_e32 v18, v19, v18, vcc
	s_nop 1
	v_mov_b32_dpp v19, v18 row_half_mirror row_mask:0xf bank_mask:0xf
	v_cmp_gt_f32_e32 vcc, v18, v19
	v_cndmask_b32_e32 v18, v19, v18, vcc
	s_cbranch_execz .LBB101_28
	s_branch .LBB101_30
.LBB101_25:
                                        ; implicit-def: $vgpr18
	s_branch .LBB101_31
.LBB101_26:
                                        ; implicit-def: $vgpr18
	s_branch .LBB101_28
.LBB101_27:
	s_cbranch_execnz .LBB101_30
.LBB101_28:
	s_cmp_eq_u32 s18, 4
	s_waitcnt lgkmcnt(0)
	v_mov_b32_e32 v18, v20
	s_cbranch_scc0 .LBB101_30
; %bb.29:
	s_nop 0
	v_mov_b32_dpp v18, v20 quad_perm:[1,0,3,2] row_mask:0xf bank_mask:0xf
	v_cmp_gt_f32_e32 vcc, v20, v18
	v_cndmask_b32_e32 v18, v18, v20, vcc
	s_nop 1
	v_mov_b32_dpp v19, v18 quad_perm:[2,3,0,1] row_mask:0xf bank_mask:0xf
	v_cmp_gt_f32_e32 vcc, v18, v19
	v_cndmask_b32_e32 v18, v19, v18, vcc
.LBB101_30:
	s_cbranch_execnz .LBB101_33
.LBB101_31:
	s_cmp_lg_u32 s18, 2
	s_waitcnt lgkmcnt(0)
	v_mov_b32_e32 v18, v20
	s_cbranch_scc1 .LBB101_33
; %bb.32:
	s_nop 0
	v_mov_b32_dpp v18, v20 quad_perm:[1,0,3,2] row_mask:0xf bank_mask:0xf
	v_cmp_gt_f32_e32 vcc, v20, v18
	v_cndmask_b32_e32 v18, v18, v20, vcc
.LBB101_33:
	v_cvt_f32_u32_e32 v19, s18
	s_waitcnt lgkmcnt(0)
	v_mul_f32_e32 v21, 0x3c010204, v18
	s_sub_i32 s2, 0, s18
	v_cmp_gt_u32_e32 vcc, s9, v27
	v_rcp_iflag_f32_e32 v19, v19
	s_mov_b64 s[16:17], 0
	v_mul_f32_e32 v18, 0x4f7ffffe, v19
	v_cvt_u32_f32_e32 v18, v18
	v_mul_lo_u32 v19, s2, v18
	v_mul_hi_u32 v19, v18, v19
	v_add_u32_e32 v18, v18, v19
	v_mul_hi_u32 v18, v0, v18
	v_mul_lo_u32 v19, v18, s18
	v_sub_u32_e32 v19, v0, v19
	v_add_u32_e32 v22, 1, v18
	v_cmp_le_u32_e64 s[2:3], s18, v19
	v_cndmask_b32_e64 v18, v18, v22, s[2:3]
	v_subrev_u32_e32 v22, s18, v19
	v_cndmask_b32_e64 v19, v19, v22, s[2:3]
	v_add_u32_e32 v22, 1, v18
	v_cmp_le_u32_e64 s[2:3], s18, v19
	v_cndmask_b32_e64 v22, v18, v22, s[2:3]
	v_mul_lo_u32 v18, v22, s18
	v_sub_u32_e32 v18, v0, v18
	v_cmp_eq_u32_e64 s[2:3], 0, v18
	s_and_b64 s[18:19], s[2:3], vcc
	s_mov_b64 s[2:3], 0
                                        ; implicit-def: $vgpr18_vgpr19
	s_and_saveexec_b64 s[20:21], s[18:19]
	s_xor_b64 s[18:19], exec, s[20:21]
	s_cbranch_execz .LBB101_42
; %bb.34:
	s_bitcmp0_b32 s14, 0
	s_cbranch_scc0 .LBB101_39
; %bb.35:
	s_ashr_i32 s2, s9, 31
	s_mul_hi_u32 s3, s9, s6
	s_mul_i32 s2, s2, s6
	s_add_i32 s21, s3, s2
	s_mul_i32 s20, s9, s6
	s_mov_b32 s14, s11
	s_or_b64 s[2:3], s[20:21], s[14:15]
	s_mov_b32 s2, 0
	s_cmp_lg_u64 s[2:3], 0
	s_cbranch_scc0 .LBB101_50
; %bb.36:
	s_add_u32 s2, s14, s15
	s_mov_b32 s24, s15
	s_mov_b32 s25, s15
	s_addc_u32 s3, s15, s15
	s_xor_b64 s[26:27], s[2:3], s[24:25]
	v_cvt_f32_u32_e32 v18, s26
	v_cvt_f32_u32_e32 v19, s27
	s_sub_u32 s2, 0, s26
	s_subb_u32 s3, 0, s27
	v_madmk_f32 v18, v19, 0x4f800000, v18
	v_rcp_f32_e32 v18, v18
	v_mul_f32_e32 v18, 0x5f7ffffc, v18
	v_mul_f32_e32 v19, 0x2f800000, v18
	v_trunc_f32_e32 v19, v19
	v_madmk_f32 v18, v19, 0xcf800000, v18
	v_cvt_u32_f32_e32 v19, v19
	v_cvt_u32_f32_e32 v18, v18
	v_readfirstlane_b32 s11, v19
	v_readfirstlane_b32 s15, v18
	s_mul_i32 s28, s2, s11
	s_mul_hi_u32 s30, s2, s15
	s_mul_i32 s29, s3, s15
	s_add_i32 s28, s30, s28
	s_add_i32 s28, s28, s29
	s_mul_i32 s31, s2, s15
	s_mul_hi_u32 s29, s15, s28
	s_mul_i32 s30, s15, s28
	s_mul_hi_u32 s15, s15, s31
	s_add_u32 s15, s15, s30
	s_addc_u32 s29, 0, s29
	s_mul_hi_u32 s33, s11, s31
	s_mul_i32 s31, s11, s31
	s_add_u32 s15, s15, s31
	s_mul_hi_u32 s30, s11, s28
	s_addc_u32 s15, s29, s33
	s_addc_u32 s29, s30, 0
	s_mul_i32 s28, s11, s28
	s_add_u32 s15, s15, s28
	s_addc_u32 s28, 0, s29
	v_add_co_u32_e32 v18, vcc, s15, v18
	s_cmp_lg_u64 vcc, 0
	s_addc_u32 s11, s11, s28
	v_readfirstlane_b32 s28, v18
	s_mul_i32 s15, s2, s11
	s_mul_hi_u32 s29, s2, s28
	s_add_i32 s15, s29, s15
	s_mul_i32 s3, s3, s28
	s_add_i32 s15, s15, s3
	s_mul_i32 s2, s2, s28
	s_mul_hi_u32 s29, s11, s2
	s_mul_i32 s30, s11, s2
	s_mul_i32 s33, s28, s15
	s_mul_hi_u32 s2, s28, s2
	s_mul_hi_u32 s31, s28, s15
	s_add_u32 s2, s2, s33
	s_addc_u32 s28, 0, s31
	s_add_u32 s2, s2, s30
	s_mul_hi_u32 s3, s11, s15
	s_addc_u32 s2, s28, s29
	s_addc_u32 s3, s3, 0
	s_mul_i32 s15, s11, s15
	s_add_u32 s2, s2, s15
	s_addc_u32 s3, 0, s3
	v_add_co_u32_e32 v18, vcc, s2, v18
	s_cmp_lg_u64 vcc, 0
	s_addc_u32 s11, s11, s3
	s_ashr_i32 s28, s21, 31
	s_add_u32 s2, s20, s28
	s_mov_b32 s29, s28
	s_addc_u32 s3, s21, s28
	s_xor_b64 s[30:31], s[2:3], s[28:29]
	v_readfirstlane_b32 s15, v18
	s_mul_i32 s3, s30, s11
	s_mul_hi_u32 s21, s30, s15
	s_mul_hi_u32 s2, s30, s11
	s_add_u32 s3, s21, s3
	s_addc_u32 s2, 0, s2
	s_mul_hi_u32 s33, s31, s15
	s_mul_i32 s15, s31, s15
	s_add_u32 s3, s3, s15
	s_mul_hi_u32 s21, s31, s11
	s_addc_u32 s2, s2, s33
	s_addc_u32 s3, s21, 0
	s_mul_i32 s11, s31, s11
	s_add_u32 s11, s2, s11
	s_addc_u32 s15, 0, s3
	s_mul_i32 s2, s26, s15
	s_mul_hi_u32 s3, s26, s11
	s_add_i32 s2, s3, s2
	s_mul_i32 s3, s27, s11
	s_add_i32 s21, s2, s3
	s_mul_i32 s3, s26, s11
	v_mov_b32_e32 v18, s3
	s_sub_i32 s2, s31, s21
	v_sub_co_u32_e32 v18, vcc, s30, v18
	s_cmp_lg_u64 vcc, 0
	s_subb_u32 s30, s2, s27
	v_subrev_co_u32_e64 v19, s[2:3], s26, v18
	s_cmp_lg_u64 s[2:3], 0
	s_subb_u32 s30, s30, 0
	s_cmp_ge_u32 s30, s27
	s_cselect_b32 s33, -1, 0
	v_cmp_le_u32_e64 s[2:3], s26, v19
	s_cmp_eq_u32 s30, s27
	v_cndmask_b32_e64 v19, 0, -1, s[2:3]
	v_mov_b32_e32 v23, s33
	s_cselect_b64 s[2:3], -1, 0
	v_cndmask_b32_e64 v19, v23, v19, s[2:3]
	s_add_u32 s2, s11, 1
	s_addc_u32 s30, s15, 0
	s_add_u32 s3, s11, 2
	s_addc_u32 s33, s15, 0
	v_mov_b32_e32 v23, s2
	v_mov_b32_e32 v24, s3
	v_cmp_ne_u32_e64 s[2:3], 0, v19
	v_cndmask_b32_e64 v19, v23, v24, s[2:3]
	v_mov_b32_e32 v23, s30
	v_mov_b32_e32 v24, s33
	s_cmp_lg_u64 vcc, 0
	v_cndmask_b32_e64 v23, v23, v24, s[2:3]
	s_subb_u32 s2, s31, s21
	s_cmp_ge_u32 s2, s27
	s_cselect_b32 s3, -1, 0
	v_cmp_le_u32_e32 vcc, s26, v18
	s_cmp_eq_u32 s2, s27
	v_cndmask_b32_e64 v18, 0, -1, vcc
	v_mov_b32_e32 v24, s3
	s_cselect_b64 vcc, -1, 0
	v_cndmask_b32_e32 v18, v24, v18, vcc
	v_mov_b32_e32 v24, s15
	v_cmp_ne_u32_e32 vcc, 0, v18
	v_cndmask_b32_e32 v18, v24, v23, vcc
	v_mov_b32_e32 v23, s11
	v_cndmask_b32_e32 v19, v23, v19, vcc
	s_xor_b64 s[2:3], s[28:29], s[24:25]
	v_xor_b32_e32 v19, s2, v19
	v_xor_b32_e32 v23, s3, v18
	v_mov_b32_e32 v24, s3
	v_subrev_co_u32_e32 v18, vcc, s2, v19
	v_subb_co_u32_e32 v19, vcc, v23, v24, vcc
	s_cbranch_execnz .LBB101_38
.LBB101_37:
	v_cvt_f32_u32_e32 v18, s14
	s_sub_i32 s2, 0, s14
	s_mov_b32 s3, 0
	v_rcp_iflag_f32_e32 v18, v18
	v_mul_f32_e32 v18, 0x4f7ffffe, v18
	v_cvt_u32_f32_e32 v18, v18
	v_readfirstlane_b32 s11, v18
	s_mul_i32 s2, s2, s11
	s_mul_hi_u32 s2, s11, s2
	s_add_i32 s11, s11, s2
	s_mul_hi_u32 s2, s20, s11
	s_mul_i32 s15, s2, s14
	s_sub_i32 s15, s20, s15
	s_add_i32 s11, s2, 1
	s_sub_i32 s20, s15, s14
	s_cmp_ge_u32 s15, s14
	s_cselect_b32 s2, s11, s2
	s_cselect_b32 s15, s20, s15
	s_add_i32 s11, s2, 1
	s_cmp_ge_u32 s15, s14
	s_cselect_b32 s2, s11, s2
	v_pk_mov_b32 v[18:19], s[2:3], s[2:3] op_sel:[0,1]
.LBB101_38:
	v_add_co_u32_e32 v18, vcc, v18, v22
	v_addc_co_u32_e32 v19, vcc, 0, v19, vcc
	s_branch .LBB101_41
.LBB101_39:
                                        ; implicit-def: $vgpr18_vgpr19
	s_cbranch_execz .LBB101_41
; %bb.40:
	v_mul_lo_u32 v18, v22, s8
	v_ashrrev_i32_e32 v19, 31, v18
	v_mov_b32_e32 v22, s7
	v_add_co_u32_e32 v18, vcc, s6, v18
	v_addc_co_u32_e32 v19, vcc, v19, v22, vcc
.LBB101_41:
	s_mov_b64 s[2:3], exec
.LBB101_42:
	s_or_b64 exec, exec, s[18:19]
	s_and_b64 vcc, exec, s[16:17]
	s_cbranch_vccz .LBB101_46
.LBB101_43:
	v_mov_b32_dpp v18, v20 quad_perm:[1,0,3,2] row_mask:0xf bank_mask:0xf
	v_cmp_gt_f32_e32 vcc, v20, v18
	v_cndmask_b32_e32 v18, v18, v20, vcc
	s_nop 1
	v_mov_b32_dpp v19, v18 quad_perm:[2,3,0,1] row_mask:0xf bank_mask:0xf
	v_cmp_gt_f32_e32 vcc, v18, v19
	v_cndmask_b32_e32 v18, v19, v18, vcc
	s_nop 1
	v_mov_b32_dpp v19, v18 row_half_mirror row_mask:0xf bank_mask:0xf
	v_cmp_gt_f32_e32 vcc, v18, v19
	v_cndmask_b32_e32 v18, v19, v18, vcc
	s_nop 1
	v_mov_b32_dpp v19, v18 row_mirror row_mask:0xf bank_mask:0xf
	v_cmp_gt_f32_e32 vcc, v18, v19
	v_cndmask_b32_e32 v18, v19, v18, vcc
	s_nop 1
	v_mov_b32_dpp v19, v18 row_bcast:15 row_mask:0xf bank_mask:0xf
	v_cmp_gt_f32_e32 vcc, v18, v19
	v_cndmask_b32_e32 v18, v19, v18, vcc
	s_nop 1
	v_mov_b32_dpp v19, v18 row_bcast:31 row_mask:0xf bank_mask:0xf
	s_and_saveexec_b64 s[2:3], s[0:1]
	s_cbranch_execz .LBB101_45
; %bb.44:
	v_lshrrev_b32_e32 v20, 4, v0
	v_cmp_gt_f32_e32 vcc, v18, v19
	v_and_b32_e32 v20, 60, v20
	v_cndmask_b32_e32 v18, v19, v18, vcc
	ds_write_b32 v20, v18
.LBB101_45:
	s_or_b64 exec, exec, s[2:3]
	s_waitcnt lgkmcnt(0)
	s_barrier
	ds_read_b32 v18, v26
	v_cmp_eq_u32_e64 s[2:3], 0, v0
	s_waitcnt lgkmcnt(0)
	v_mov_b32_dpp v19, v18 quad_perm:[1,0,3,2] row_mask:0xf bank_mask:0xf
	v_cmp_gt_f32_e32 vcc, v18, v19
	v_cndmask_b32_e32 v18, v19, v18, vcc
	s_nop 1
	v_mov_b32_dpp v19, v18 quad_perm:[2,3,0,1] row_mask:0xf bank_mask:0xf
	v_cmp_gt_f32_e32 vcc, v18, v19
	v_cndmask_b32_e32 v18, v19, v18, vcc
	v_mul_f32_e32 v21, 0x3c010204, v18
	v_pk_mov_b32 v[18:19], s[6:7], s[6:7] op_sel:[0,1]
.LBB101_46:
	s_and_saveexec_b64 s[0:1], s[2:3]
	s_cbranch_execz .LBB101_48
; %bb.47:
	v_lshlrev_b64 v[18:19], 2, v[18:19]
	v_mov_b32_e32 v0, s13
	v_add_co_u32_e32 v18, vcc, s12, v18
	v_addc_co_u32_e32 v19, vcc, v0, v19, vcc
	global_store_dword v[18:19], v21, off
.LBB101_48:
	s_or_b64 exec, exec, s[0:1]
	s_add_i32 s2, s9, 3
	s_load_dwordx2 s[0:1], s[4:5], 0x0
	s_ashr_i32 s3, s2, 31
	;;#ASMSTART
	v_rcp_f32 v18, v21
	;;#ASMEND
	v_mov_b32_e32 v19, v18
	;;#ASMSTART
	v_pk_mul_f32 v[16:17], v[16:17], v[18:19]
	;;#ASMEND
	;;#ASMSTART
	v_pk_mul_f32 v[14:15], v[14:15], v[18:19]
	;;#ASMEND
	s_lshr_b32 s3, s3, 30
	v_cvt_i32_f32_e32 v0, v16
	v_cvt_i32_f32_sdwa v16, v17 dst_sel:BYTE_1 dst_unused:UNUSED_PAD src0_sel:DWORD
	v_cvt_i32_f32_e32 v14, v14
	v_cvt_i32_f32_sdwa v15, v15 dst_sel:BYTE_1 dst_unused:UNUSED_PAD src0_sel:DWORD
	;;#ASMSTART
	v_pk_mul_f32 v[10:11], v[10:11], v[18:19]
	;;#ASMEND
	;;#ASMSTART
	v_pk_mul_f32 v[8:9], v[8:9], v[18:19]
	;;#ASMEND
	s_add_i32 s2, s2, s3
	s_ashr_i32 s3, s10, 31
	v_cvt_i32_f32_e32 v10, v10
	v_cvt_i32_f32_sdwa v11, v11 dst_sel:BYTE_1 dst_unused:UNUSED_PAD src0_sel:DWORD
	v_cvt_i32_f32_e32 v17, v8
	v_cvt_i32_f32_sdwa v9, v9 dst_sel:BYTE_1 dst_unused:UNUSED_PAD src0_sel:DWORD
	s_mul_hi_u32 s4, s10, s6
	s_mul_i32 s3, s3, s6
	s_and_b32 s2, s2, -4
	s_add_i32 s4, s4, s3
	s_mul_i32 s3, s10, s6
	s_waitcnt lgkmcnt(0)
	s_add_u32 s0, s0, s3
	v_or_b32_sdwa v0, v0, v16 dst_sel:DWORD dst_unused:UNUSED_PAD src0_sel:BYTE_0 src1_sel:DWORD
	v_or_b32_sdwa v8, v14, v15 dst_sel:WORD_1 dst_unused:UNUSED_PAD src0_sel:BYTE_0 src1_sel:DWORD
	s_addc_u32 s1, s1, s4
	v_or_b32_sdwa v8, v0, v8 dst_sel:DWORD dst_unused:UNUSED_PAD src0_sel:WORD_0 src1_sel:DWORD
	v_or_b32_sdwa v0, v10, v11 dst_sel:DWORD dst_unused:UNUSED_PAD src0_sel:BYTE_0 src1_sel:DWORD
	v_or_b32_sdwa v9, v17, v9 dst_sel:WORD_1 dst_unused:UNUSED_PAD src0_sel:BYTE_0 src1_sel:DWORD
	s_and_b32 s1, s1, 0xffff
	s_mov_b32 s3, 0x20000
	v_or_b32_sdwa v9, v0, v9 dst_sel:DWORD dst_unused:UNUSED_PAD src0_sel:WORD_0 src1_sel:DWORD
	buffer_store_dwordx2 v[8:9], v1, s[0:3], 0 offen
	;;#ASMSTART
	s_nop 0
	;;#ASMEND
	;;#ASMSTART
	v_pk_mul_f32 v[8:9], v[12:13], v[18:19]
	;;#ASMEND
	;;#ASMSTART
	v_pk_mul_f32 v[6:7], v[6:7], v[18:19]
	;;#ASMEND
	v_cvt_i32_f32_e32 v0, v8
	v_cvt_i32_f32_sdwa v8, v9 dst_sel:BYTE_1 dst_unused:UNUSED_PAD src0_sel:DWORD
	v_cvt_i32_f32_e32 v6, v6
	v_cvt_i32_f32_sdwa v7, v7 dst_sel:BYTE_1 dst_unused:UNUSED_PAD src0_sel:DWORD
	;;#ASMSTART
	v_pk_mul_f32 v[4:5], v[4:5], v[18:19]
	;;#ASMEND
	;;#ASMSTART
	v_pk_mul_f32 v[2:3], v[2:3], v[18:19]
	;;#ASMEND
	v_cvt_i32_f32_e32 v4, v4
	v_cvt_i32_f32_sdwa v5, v5 dst_sel:BYTE_1 dst_unused:UNUSED_PAD src0_sel:DWORD
	v_cvt_i32_f32_e32 v9, v2
	v_cvt_i32_f32_sdwa v3, v3 dst_sel:BYTE_1 dst_unused:UNUSED_PAD src0_sel:DWORD
	v_or_b32_sdwa v0, v0, v8 dst_sel:DWORD dst_unused:UNUSED_PAD src0_sel:BYTE_0 src1_sel:DWORD
	v_or_b32_sdwa v2, v6, v7 dst_sel:WORD_1 dst_unused:UNUSED_PAD src0_sel:BYTE_0 src1_sel:DWORD
	v_or_b32_sdwa v2, v0, v2 dst_sel:DWORD dst_unused:UNUSED_PAD src0_sel:WORD_0 src1_sel:DWORD
	v_or_b32_sdwa v0, v4, v5 dst_sel:DWORD dst_unused:UNUSED_PAD src0_sel:BYTE_0 src1_sel:DWORD
	v_or_b32_sdwa v3, v9, v3 dst_sel:WORD_1 dst_unused:UNUSED_PAD src0_sel:BYTE_0 src1_sel:DWORD
	v_or_b32_sdwa v3, v0, v3 dst_sel:DWORD dst_unused:UNUSED_PAD src0_sel:WORD_0 src1_sel:DWORD
	s_movk_i32 s4, 0x200
	buffer_store_dwordx2 v[2:3], v1, s[0:3], s4 offen
	;;#ASMSTART
	s_nop 0
	;;#ASMEND
.LBB101_49:
	s_endpgm
.LBB101_50:
                                        ; implicit-def: $vgpr18_vgpr19
	s_branch .LBB101_37
	.section	.rodata,"a",@progbits
	.p2align	6, 0x0
	.amdhsa_kernel _ZN5aiter24add_rmsnorm_quant_kernelIDF16_aLi256ELi16ELb0ELb1ELb1ELi1EEEvPT0_PT_PfS4_S4_S4_diiiiiiib
		.amdhsa_group_segment_fixed_size 32
		.amdhsa_private_segment_fixed_size 0
		.amdhsa_kernarg_size 88
		.amdhsa_user_sgpr_count 6
		.amdhsa_user_sgpr_private_segment_buffer 1
		.amdhsa_user_sgpr_dispatch_ptr 0
		.amdhsa_user_sgpr_queue_ptr 0
		.amdhsa_user_sgpr_kernarg_segment_ptr 1
		.amdhsa_user_sgpr_dispatch_id 0
		.amdhsa_user_sgpr_flat_scratch_init 0
		.amdhsa_user_sgpr_kernarg_preload_length 0
		.amdhsa_user_sgpr_kernarg_preload_offset 0
		.amdhsa_user_sgpr_private_segment_size 0
		.amdhsa_uses_dynamic_stack 0
		.amdhsa_system_sgpr_private_segment_wavefront_offset 0
		.amdhsa_system_sgpr_workgroup_id_x 1
		.amdhsa_system_sgpr_workgroup_id_y 0
		.amdhsa_system_sgpr_workgroup_id_z 0
		.amdhsa_system_sgpr_workgroup_info 0
		.amdhsa_system_vgpr_workitem_id 0
		.amdhsa_next_free_vgpr 45
		.amdhsa_next_free_sgpr 34
		.amdhsa_accum_offset 48
		.amdhsa_reserve_vcc 1
		.amdhsa_reserve_flat_scratch 0
		.amdhsa_float_round_mode_32 0
		.amdhsa_float_round_mode_16_64 0
		.amdhsa_float_denorm_mode_32 3
		.amdhsa_float_denorm_mode_16_64 3
		.amdhsa_dx10_clamp 1
		.amdhsa_ieee_mode 1
		.amdhsa_fp16_overflow 0
		.amdhsa_tg_split 0
		.amdhsa_exception_fp_ieee_invalid_op 0
		.amdhsa_exception_fp_denorm_src 0
		.amdhsa_exception_fp_ieee_div_zero 0
		.amdhsa_exception_fp_ieee_overflow 0
		.amdhsa_exception_fp_ieee_underflow 0
		.amdhsa_exception_fp_ieee_inexact 0
		.amdhsa_exception_int_div_zero 0
	.end_amdhsa_kernel
	.section	.text._ZN5aiter24add_rmsnorm_quant_kernelIDF16_aLi256ELi16ELb0ELb1ELb1ELi1EEEvPT0_PT_PfS4_S4_S4_diiiiiiib,"axG",@progbits,_ZN5aiter24add_rmsnorm_quant_kernelIDF16_aLi256ELi16ELb0ELb1ELb1ELi1EEEvPT0_PT_PfS4_S4_S4_diiiiiiib,comdat
.Lfunc_end101:
	.size	_ZN5aiter24add_rmsnorm_quant_kernelIDF16_aLi256ELi16ELb0ELb1ELb1ELi1EEEvPT0_PT_PfS4_S4_S4_diiiiiiib, .Lfunc_end101-_ZN5aiter24add_rmsnorm_quant_kernelIDF16_aLi256ELi16ELb0ELb1ELb1ELi1EEEvPT0_PT_PfS4_S4_S4_diiiiiiib
                                        ; -- End function
	.section	.AMDGPU.csdata,"",@progbits
; Kernel info:
; codeLenInByte = 3584
; NumSgprs: 38
; NumVgprs: 45
; NumAgprs: 0
; TotalNumVgprs: 45
; ScratchSize: 0
; MemoryBound: 0
; FloatMode: 240
; IeeeMode: 1
; LDSByteSize: 32 bytes/workgroup (compile time only)
; SGPRBlocks: 4
; VGPRBlocks: 5
; NumSGPRsForWavesPerEU: 38
; NumVGPRsForWavesPerEU: 45
; AccumOffset: 48
; Occupancy: 8
; WaveLimiterHint : 0
; COMPUTE_PGM_RSRC2:SCRATCH_EN: 0
; COMPUTE_PGM_RSRC2:USER_SGPR: 6
; COMPUTE_PGM_RSRC2:TRAP_HANDLER: 0
; COMPUTE_PGM_RSRC2:TGID_X_EN: 1
; COMPUTE_PGM_RSRC2:TGID_Y_EN: 0
; COMPUTE_PGM_RSRC2:TGID_Z_EN: 0
; COMPUTE_PGM_RSRC2:TIDIG_COMP_CNT: 0
; COMPUTE_PGM_RSRC3_GFX90A:ACCUM_OFFSET: 11
; COMPUTE_PGM_RSRC3_GFX90A:TG_SPLIT: 0
	.section	.text._ZN5aiter24add_rmsnorm_quant_kernelItaLi256ELi16ELb0ELb1ELb1ELi1EEEvPT0_PT_PfS4_S4_S4_diiiiiiib,"axG",@progbits,_ZN5aiter24add_rmsnorm_quant_kernelItaLi256ELi16ELb0ELb1ELb1ELi1EEEvPT0_PT_PfS4_S4_S4_diiiiiiib,comdat
	.protected	_ZN5aiter24add_rmsnorm_quant_kernelItaLi256ELi16ELb0ELb1ELb1ELi1EEEvPT0_PT_PfS4_S4_S4_diiiiiiib ; -- Begin function _ZN5aiter24add_rmsnorm_quant_kernelItaLi256ELi16ELb0ELb1ELb1ELi1EEEvPT0_PT_PfS4_S4_S4_diiiiiiib
	.globl	_ZN5aiter24add_rmsnorm_quant_kernelItaLi256ELi16ELb0ELb1ELb1ELi1EEEvPT0_PT_PfS4_S4_S4_diiiiiiib
	.p2align	8
	.type	_ZN5aiter24add_rmsnorm_quant_kernelItaLi256ELi16ELb0ELb1ELb1ELi1EEEvPT0_PT_PfS4_S4_S4_diiiiiiib,@function
_ZN5aiter24add_rmsnorm_quant_kernelItaLi256ELi16ELb0ELb1ELb1ELi1EEEvPT0_PT_PfS4_S4_S4_diiiiiiib: ; @_ZN5aiter24add_rmsnorm_quant_kernelItaLi256ELi16ELb0ELb1ELb1ELi1EEEvPT0_PT_PfS4_S4_S4_diiiiiiib
; %bb.0:
	s_load_dwordx4 s[8:11], s[4:5], 0x38
	s_mov_b32 s7, 0
	s_waitcnt lgkmcnt(0)
	s_ashr_i32 s0, s8, 31
	v_mov_b32_e32 v2, s8
	v_mov_b32_e32 v3, s0
	v_cmp_ge_i64_e32 vcc, s[6:7], v[2:3]
	s_cbranch_vccnz .LBB102_49
; %bb.1:
	s_load_dwordx4 s[12:15], s[4:5], 0x10
	s_load_dwordx4 s[0:3], s[4:5], 0x28
	s_ashr_i32 s11, s10, 31
	s_mul_hi_u32 s16, s10, s6
	s_mul_i32 s11, s11, s6
	s_add_i32 s11, s16, s11
	s_mul_i32 s10, s10, s6
	s_lshl_b64 s[10:11], s[10:11], 1
	s_waitcnt lgkmcnt(0)
	s_add_u32 s16, s14, s10
	s_addc_u32 s10, s15, s11
	s_add_i32 s11, s9, 1
	s_lshr_b32 s14, s11, 31
	v_lshlrev_b32_e32 v27, 4, v0
	s_add_i32 s11, s11, s14
	s_and_b32 s17, s10, 0xffff
	v_lshlrev_b32_e32 v1, 3, v0
	v_and_b32_e32 v2, 0x3c00, v27
	s_movk_i32 s10, 0x1f8
	s_lshl_b32 s11, s11, 1
	v_and_or_b32 v1, v1, s10, v2
	s_and_b32 s18, s11, -4
	s_mov_b32 s19, 0x20000
	v_lshlrev_b32_e32 v14, 1, v1
	buffer_load_dwordx4 v[10:13], v14, s[16:19], 0 offen glc slc
	s_movk_i32 s10, 0x400
	buffer_load_dwordx4 v[28:31], v14, s[16:19], s10 offen glc slc
	s_mov_b32 s16, s0
	s_and_b32 s17, s1, 0xffff
	buffer_load_dwordx4 v[6:9], v14, s[16:19], 0 offen
	buffer_load_dwordx4 v[2:5], v14, s[16:19], s10 offen
	v_and_b32_e32 v44, 63, v0
	v_cmp_eq_u32_e64 s[0:1], 63, v44
	s_waitcnt vmcnt(3)
	v_cvt_f32_u32_sdwa v25, v10 dst_sel:DWORD dst_unused:UNUSED_PAD src0_sel:WORD_1
	v_cvt_f32_u32_sdwa v24, v10 dst_sel:DWORD dst_unused:UNUSED_PAD src0_sel:WORD_0
	v_cvt_f32_u32_sdwa v23, v11 dst_sel:DWORD dst_unused:UNUSED_PAD src0_sel:WORD_1
	v_cvt_f32_u32_sdwa v22, v11 dst_sel:DWORD dst_unused:UNUSED_PAD src0_sel:WORD_0
	;; [unrolled: 2-line block ×3, first 2 shown]
	s_waitcnt vmcnt(2)
	v_cvt_f32_u32_sdwa v17, v28 dst_sel:DWORD dst_unused:UNUSED_PAD src0_sel:WORD_1
	v_cvt_f32_u32_sdwa v16, v28 dst_sel:DWORD dst_unused:UNUSED_PAD src0_sel:WORD_0
	v_cvt_f32_u32_sdwa v15, v29 dst_sel:DWORD dst_unused:UNUSED_PAD src0_sel:WORD_1
	v_cvt_f32_u32_sdwa v14, v29 dst_sel:DWORD dst_unused:UNUSED_PAD src0_sel:WORD_0
	v_pk_mul_f32 v[28:29], v[24:25], v[24:25]
	v_cvt_f32_u32_sdwa v19, v13 dst_sel:DWORD dst_unused:UNUSED_PAD src0_sel:WORD_1
	v_cvt_f32_u32_sdwa v18, v13 dst_sel:DWORD dst_unused:UNUSED_PAD src0_sel:WORD_0
	v_cvt_f32_u32_sdwa v13, v30 dst_sel:DWORD dst_unused:UNUSED_PAD src0_sel:WORD_1
	v_cvt_f32_u32_sdwa v12, v30 dst_sel:DWORD dst_unused:UNUSED_PAD src0_sel:WORD_0
	;; [unrolled: 2-line block ×3, first 2 shown]
	v_pk_mul_f32 v[30:31], v[22:23], v[22:23]
	v_add_f32_e32 v26, v28, v29
	v_add_f32_e32 v26, v30, v26
	v_pk_mul_f32 v[32:33], v[20:21], v[20:21]
	v_add_f32_e32 v26, v31, v26
	v_add_f32_e32 v26, v32, v26
	;; [unrolled: 3-line block ×7, first 2 shown]
	v_add_f32_e32 v26, v43, v26
	s_nop 1
	v_mov_b32_dpp v28, v26 quad_perm:[1,0,3,2] row_mask:0xf bank_mask:0xf
	v_add_f32_e32 v26, v26, v28
	s_nop 1
	v_mov_b32_dpp v28, v26 quad_perm:[2,3,0,1] row_mask:0xf bank_mask:0xf
	v_add_f32_e32 v26, v26, v28
	s_nop 1
	v_mov_b32_dpp v28, v26 row_half_mirror row_mask:0xf bank_mask:0xf
	v_add_f32_e32 v26, v26, v28
	s_nop 1
	v_mov_b32_dpp v28, v26 row_mirror row_mask:0xf bank_mask:0xf
	v_add_f32_e32 v26, v26, v28
	s_nop 1
	v_mov_b32_dpp v28, v26 row_bcast:15 row_mask:0xf bank_mask:0xf
	v_add_f32_e32 v26, v26, v28
	s_nop 1
	v_mov_b32_dpp v28, v26 row_bcast:31 row_mask:0xf bank_mask:0xf
	s_and_saveexec_b64 s[10:11], s[0:1]
	s_cbranch_execz .LBB102_3
; %bb.2:
	v_lshrrev_b32_e32 v29, 4, v0
	v_and_b32_e32 v29, 60, v29
	v_add_f32_e32 v26, v26, v28
	ds_write_b32 v29, v26 offset:16
.LBB102_3:
	s_or_b64 exec, exec, s[10:11]
	v_and_b32_e32 v26, 3, v0
	v_lshlrev_b32_e32 v26, 2, v26
	s_waitcnt lgkmcnt(0)
	s_barrier
	ds_read_b32 v28, v26 offset:16
	v_cvt_f32_i32_e32 v29, s9
	s_waitcnt vmcnt(1)
	v_cvt_f32_u32_sdwa v37, v9 dst_sel:DWORD dst_unused:UNUSED_PAD src0_sel:WORD_1
	v_cvt_f32_u32_sdwa v36, v9 dst_sel:DWORD dst_unused:UNUSED_PAD src0_sel:WORD_0
	s_waitcnt lgkmcnt(0)
	v_mov_b32_dpp v30, v28 quad_perm:[1,0,3,2] row_mask:0xf bank_mask:0xf
	v_add_f32_e32 v28, v28, v30
	s_nop 1
	v_mov_b32_dpp v30, v28 quad_perm:[2,3,0,1] row_mask:0xf bank_mask:0xf
	v_add_f32_e32 v28, v28, v30
	v_div_scale_f32 v30, s[10:11], v29, v29, v28
	v_rcp_f32_e32 v31, v30
	v_div_scale_f32 v32, vcc, v28, v29, v28
	s_load_dwordx2 s[10:11], s[4:5], 0x4c
	s_load_dword s14, s[4:5], 0x54
	v_fma_f32 v33, -v30, v31, 1.0
	v_fmac_f32_e32 v31, v33, v31
	v_mul_f32_e32 v33, v32, v31
	v_fma_f32 v34, -v30, v33, v32
	v_fmac_f32_e32 v33, v34, v31
	v_fma_f32 v30, -v30, v33, v32
	v_div_fmas_f32 v30, v30, v31, v33
	v_div_fixup_f32 v28, v30, v29, v28
	v_cvt_f64_f32_e32 v[28:29], v28
	v_add_f64 v[28:29], v[28:29], s[2:3]
	v_cvt_f32_f64_e32 v28, v[28:29]
	s_mov_b32 s2, 0x800000
	v_mul_f32_e32 v29, 0x4b800000, v28
	v_cmp_gt_f32_e32 vcc, s2, v28
	v_cndmask_b32_e32 v28, v28, v29, vcc
	v_rsq_f32_e32 v28, v28
	s_waitcnt lgkmcnt(0)
	s_cmp_lg_u32 s11, 0
	v_mul_f32_e32 v29, 0x45800000, v28
	v_cndmask_b32_e32 v28, v28, v29, vcc
	v_mov_b32_e32 v29, v28
	;;#ASMSTART
	v_pk_mul_f32 v[24:25], v[24:25], v[28:29]
	;;#ASMEND
	;;#ASMSTART
	v_pk_mul_f32 v[22:23], v[22:23], v[28:29]
	;;#ASMEND
	;; [unrolled: 3-line block ×8, first 2 shown]
	v_cvt_f32_u32_sdwa v11, v6 dst_sel:DWORD dst_unused:UNUSED_PAD src0_sel:WORD_1
	v_cvt_f32_u32_sdwa v10, v6 dst_sel:DWORD dst_unused:UNUSED_PAD src0_sel:WORD_0
	v_cvt_f32_u32_sdwa v13, v7 dst_sel:DWORD dst_unused:UNUSED_PAD src0_sel:WORD_1
	v_cvt_f32_u32_sdwa v12, v7 dst_sel:DWORD dst_unused:UNUSED_PAD src0_sel:WORD_0
	;; [unrolled: 2-line block ×3, first 2 shown]
	;;#ASMSTART
	v_pk_mul_f32 v[16:17], v[24:25], v[10:11]
	;;#ASMEND
	;;#ASMSTART
	v_pk_mul_f32 v[14:15], v[22:23], v[12:13]
	;;#ASMEND
	;; [unrolled: 3-line block ×4, first 2 shown]
	s_waitcnt vmcnt(0)
	v_cvt_f32_u32_sdwa v7, v2 dst_sel:DWORD dst_unused:UNUSED_PAD src0_sel:WORD_1
	v_cvt_f32_u32_sdwa v6, v2 dst_sel:DWORD dst_unused:UNUSED_PAD src0_sel:WORD_0
	v_cvt_f32_u32_sdwa v19, v3 dst_sel:DWORD dst_unused:UNUSED_PAD src0_sel:WORD_1
	v_cvt_f32_u32_sdwa v18, v3 dst_sel:DWORD dst_unused:UNUSED_PAD src0_sel:WORD_0
	;; [unrolled: 2-line block ×3, first 2 shown]
	v_cvt_f32_u32_sdwa v20, v5 dst_sel:DWORD dst_unused:UNUSED_PAD src0_sel:WORD_0
	v_cvt_f32_u32_sdwa v21, v5 dst_sel:DWORD dst_unused:UNUSED_PAD src0_sel:WORD_1
	;;#ASMSTART
	v_pk_mul_f32 v[12:13], v[30:31], v[6:7]
	;;#ASMEND
	;;#ASMSTART
	v_pk_mul_f32 v[6:7], v[32:33], v[18:19]
	;;#ASMEND
	;; [unrolled: 3-line block ×4, first 2 shown]
	v_and_b32_e32 v18, 0x7fffffff, v16
	v_mov_b32_e32 v20, 0x2edbe6ff
	v_and_b32_e32 v19, 0x7fffffff, v17
	;;#ASMSTART
	v_max3_f32 v18, v20, v18, v19

	;;#ASMEND
	v_and_b32_e32 v20, 0x7fffffff, v15
	v_and_b32_e32 v19, 0x7fffffff, v14
	;;#ASMSTART
	v_max3_f32 v18, v18, v19, v20

	;;#ASMEND
	v_and_b32_e32 v20, 0x7fffffff, v11
	;; [unrolled: 6-line block ×7, first 2 shown]
	v_and_b32_e32 v19, 0x7fffffff, v2
	;;#ASMSTART
	v_max3_f32 v20, v18, v19, v20

	;;#ASMEND
	s_cbranch_scc0 .LBB102_10
; %bb.4:
	s_ashr_i32 s15, s11, 31
	s_lshr_b32 s2, s15, 28
	s_add_i32 s2, s11, s2
	s_ashr_i32 s18, s2, 4
	s_cmp_lt_i32 s18, 16
	s_cbranch_scc1 .LBB102_11
; %bb.5:
	s_cmp_lt_i32 s18, 32
	s_cbranch_scc1 .LBB102_12
; %bb.6:
	s_cmp_lt_i32 s18, 64
	s_cbranch_scc1 .LBB102_13
; %bb.7:
	s_cmp_eq_u32 s18, 64
	v_mov_b32_e32 v18, v20
	s_cbranch_scc0 .LBB102_9
; %bb.8:
	s_nop 0
	v_mov_b32_dpp v18, v20 quad_perm:[1,0,3,2] row_mask:0xf bank_mask:0xf
	v_cmp_gt_f32_e32 vcc, v20, v18
	v_cndmask_b32_e32 v18, v18, v20, vcc
	v_bfrev_b32_e32 v21, 0.5
	s_nop 0
	v_mov_b32_dpp v19, v18 quad_perm:[2,3,0,1] row_mask:0xf bank_mask:0xf
	v_cmp_gt_f32_e32 vcc, v18, v19
	v_cndmask_b32_e32 v18, v19, v18, vcc
	s_nop 1
	v_mov_b32_dpp v19, v18 row_ror:4 row_mask:0xf bank_mask:0xf
	v_cmp_gt_f32_e32 vcc, v18, v19
	v_cndmask_b32_e32 v18, v19, v18, vcc
	s_nop 1
	v_mov_b32_dpp v19, v18 row_ror:8 row_mask:0xf bank_mask:0xf
	v_cmp_gt_f32_e32 vcc, v18, v19
	v_cndmask_b32_e32 v18, v19, v18, vcc
	s_nop 1
	v_mov_b32_dpp v19, v18 row_bcast:15 row_mask:0xf bank_mask:0xf
	v_cmp_gt_f32_e32 vcc, v18, v19
	v_cndmask_b32_e32 v18, v19, v18, vcc
	s_nop 1
	v_mov_b32_dpp v19, v18 row_bcast:31 row_mask:0xf bank_mask:0xf
	v_cmp_gt_f32_e32 vcc, v18, v19
	v_cndmask_b32_e32 v18, v19, v18, vcc
	v_mbcnt_lo_u32_b32 v19, -1, 0
	v_mbcnt_hi_u32_b32 v19, -1, v19
	v_lshl_or_b32 v19, v19, 2, v21
	ds_bpermute_b32 v18, v19, v18
.LBB102_9:
	s_mov_b64 s[2:3], 0
	s_branch .LBB102_14
.LBB102_10:
	s_mov_b64 s[2:3], 0
                                        ; implicit-def: $vgpr21
                                        ; implicit-def: $vgpr18_vgpr19
	s_cbranch_execnz .LBB102_43
	s_branch .LBB102_46
.LBB102_11:
                                        ; implicit-def: $vgpr18
	s_branch .LBB102_21
.LBB102_12:
                                        ; implicit-def: $vgpr18
	s_branch .LBB102_18
.LBB102_13:
	s_mov_b64 s[2:3], -1
                                        ; implicit-def: $vgpr18
.LBB102_14:
	s_andn2_b64 vcc, exec, s[2:3]
	s_cbranch_vccnz .LBB102_17
; %bb.15:
	s_cmp_eq_u32 s18, 32
	s_waitcnt lgkmcnt(0)
	v_mov_b32_e32 v18, v20
	s_cbranch_scc0 .LBB102_17
; %bb.16:
	s_nop 0
	v_mov_b32_dpp v18, v20 quad_perm:[1,0,3,2] row_mask:0xf bank_mask:0xf
	v_cmp_gt_f32_e32 vcc, v20, v18
	v_cndmask_b32_e32 v18, v18, v20, vcc
	v_mov_b32_e32 v21, 0x7c
	s_nop 0
	v_mov_b32_dpp v19, v18 quad_perm:[2,3,0,1] row_mask:0xf bank_mask:0xf
	v_cmp_gt_f32_e32 vcc, v18, v19
	v_cndmask_b32_e32 v18, v19, v18, vcc
	s_nop 1
	v_mov_b32_dpp v19, v18 row_half_mirror row_mask:0xf bank_mask:0xf
	v_cmp_gt_f32_e32 vcc, v18, v19
	v_cndmask_b32_e32 v18, v19, v18, vcc
	s_nop 1
	v_mov_b32_dpp v19, v18 row_mirror row_mask:0xf bank_mask:0xf
	v_cmp_gt_f32_e32 vcc, v18, v19
	v_cndmask_b32_e32 v18, v19, v18, vcc
	s_nop 1
	v_mov_b32_dpp v19, v18 row_bcast:15 row_mask:0xa bank_mask:0xf
	v_cmp_gt_f32_e32 vcc, v18, v19
	v_cndmask_b32_e32 v18, v19, v18, vcc
	v_mbcnt_lo_u32_b32 v19, -1, 0
	v_mbcnt_hi_u32_b32 v19, -1, v19
	v_lshl_or_b32 v19, v19, 2, v21
	ds_bpermute_b32 v18, v19, v18
.LBB102_17:
	s_cbranch_execnz .LBB102_20
.LBB102_18:
	s_cmp_eq_u32 s18, 16
	s_waitcnt lgkmcnt(0)
	v_mov_b32_e32 v18, v20
	s_cbranch_scc0 .LBB102_20
; %bb.19:
	s_nop 0
	v_mov_b32_dpp v18, v20 quad_perm:[1,0,3,2] row_mask:0xf bank_mask:0xf
	v_cmp_gt_f32_e32 vcc, v20, v18
	v_cndmask_b32_e32 v18, v18, v20, vcc
	s_nop 1
	v_mov_b32_dpp v19, v18 quad_perm:[2,3,0,1] row_mask:0xf bank_mask:0xf
	v_cmp_gt_f32_e32 vcc, v18, v19
	v_cndmask_b32_e32 v18, v19, v18, vcc
	s_nop 1
	v_mov_b32_dpp v19, v18 row_half_mirror row_mask:0xf bank_mask:0xf
	v_cmp_gt_f32_e32 vcc, v18, v19
	v_cndmask_b32_e32 v18, v19, v18, vcc
	s_nop 1
	v_mov_b32_dpp v19, v18 row_mirror row_mask:0xf bank_mask:0xf
	v_cmp_gt_f32_e32 vcc, v18, v19
	v_cndmask_b32_e32 v18, v19, v18, vcc
.LBB102_20:
	s_cbranch_execnz .LBB102_33
.LBB102_21:
	s_cmp_lt_i32 s18, 4
	s_cbranch_scc1 .LBB102_25
; %bb.22:
	s_cmp_lt_i32 s18, 8
	s_cbranch_scc1 .LBB102_26
; %bb.23:
	s_cmp_eq_u32 s18, 8
	s_waitcnt lgkmcnt(0)
	v_mov_b32_e32 v18, v20
	s_cbranch_scc0 .LBB102_27
; %bb.24:
	s_nop 0
	v_mov_b32_dpp v18, v20 quad_perm:[1,0,3,2] row_mask:0xf bank_mask:0xf
	v_cmp_gt_f32_e32 vcc, v20, v18
	v_cndmask_b32_e32 v18, v18, v20, vcc
	s_nop 1
	v_mov_b32_dpp v19, v18 quad_perm:[2,3,0,1] row_mask:0xf bank_mask:0xf
	v_cmp_gt_f32_e32 vcc, v18, v19
	v_cndmask_b32_e32 v18, v19, v18, vcc
	s_nop 1
	v_mov_b32_dpp v19, v18 row_half_mirror row_mask:0xf bank_mask:0xf
	v_cmp_gt_f32_e32 vcc, v18, v19
	v_cndmask_b32_e32 v18, v19, v18, vcc
	s_cbranch_execz .LBB102_28
	s_branch .LBB102_30
.LBB102_25:
                                        ; implicit-def: $vgpr18
	s_branch .LBB102_31
.LBB102_26:
                                        ; implicit-def: $vgpr18
	s_branch .LBB102_28
.LBB102_27:
	s_cbranch_execnz .LBB102_30
.LBB102_28:
	s_cmp_eq_u32 s18, 4
	s_waitcnt lgkmcnt(0)
	v_mov_b32_e32 v18, v20
	s_cbranch_scc0 .LBB102_30
; %bb.29:
	s_nop 0
	v_mov_b32_dpp v18, v20 quad_perm:[1,0,3,2] row_mask:0xf bank_mask:0xf
	v_cmp_gt_f32_e32 vcc, v20, v18
	v_cndmask_b32_e32 v18, v18, v20, vcc
	s_nop 1
	v_mov_b32_dpp v19, v18 quad_perm:[2,3,0,1] row_mask:0xf bank_mask:0xf
	v_cmp_gt_f32_e32 vcc, v18, v19
	v_cndmask_b32_e32 v18, v19, v18, vcc
.LBB102_30:
	s_cbranch_execnz .LBB102_33
.LBB102_31:
	s_cmp_lg_u32 s18, 2
	s_waitcnt lgkmcnt(0)
	v_mov_b32_e32 v18, v20
	s_cbranch_scc1 .LBB102_33
; %bb.32:
	s_nop 0
	v_mov_b32_dpp v18, v20 quad_perm:[1,0,3,2] row_mask:0xf bank_mask:0xf
	v_cmp_gt_f32_e32 vcc, v20, v18
	v_cndmask_b32_e32 v18, v18, v20, vcc
.LBB102_33:
	v_cvt_f32_u32_e32 v19, s18
	s_waitcnt lgkmcnt(0)
	v_mul_f32_e32 v21, 0x3c010204, v18
	s_sub_i32 s2, 0, s18
	v_cmp_gt_u32_e32 vcc, s9, v27
	v_rcp_iflag_f32_e32 v19, v19
	s_mov_b64 s[16:17], 0
	v_mul_f32_e32 v18, 0x4f7ffffe, v19
	v_cvt_u32_f32_e32 v18, v18
	v_mul_lo_u32 v19, s2, v18
	v_mul_hi_u32 v19, v18, v19
	v_add_u32_e32 v18, v18, v19
	v_mul_hi_u32 v18, v0, v18
	v_mul_lo_u32 v19, v18, s18
	v_sub_u32_e32 v19, v0, v19
	v_add_u32_e32 v22, 1, v18
	v_cmp_le_u32_e64 s[2:3], s18, v19
	v_cndmask_b32_e64 v18, v18, v22, s[2:3]
	v_subrev_u32_e32 v22, s18, v19
	v_cndmask_b32_e64 v19, v19, v22, s[2:3]
	v_add_u32_e32 v22, 1, v18
	v_cmp_le_u32_e64 s[2:3], s18, v19
	v_cndmask_b32_e64 v22, v18, v22, s[2:3]
	v_mul_lo_u32 v18, v22, s18
	v_sub_u32_e32 v18, v0, v18
	v_cmp_eq_u32_e64 s[2:3], 0, v18
	s_and_b64 s[18:19], s[2:3], vcc
	s_mov_b64 s[2:3], 0
                                        ; implicit-def: $vgpr18_vgpr19
	s_and_saveexec_b64 s[20:21], s[18:19]
	s_xor_b64 s[18:19], exec, s[20:21]
	s_cbranch_execz .LBB102_42
; %bb.34:
	s_bitcmp0_b32 s14, 0
	s_cbranch_scc0 .LBB102_39
; %bb.35:
	s_ashr_i32 s2, s9, 31
	s_mul_hi_u32 s3, s9, s6
	s_mul_i32 s2, s2, s6
	s_add_i32 s21, s3, s2
	s_mul_i32 s20, s9, s6
	s_mov_b32 s14, s11
	s_or_b64 s[2:3], s[20:21], s[14:15]
	s_mov_b32 s2, 0
	s_cmp_lg_u64 s[2:3], 0
	s_cbranch_scc0 .LBB102_50
; %bb.36:
	s_add_u32 s2, s14, s15
	s_mov_b32 s24, s15
	s_mov_b32 s25, s15
	s_addc_u32 s3, s15, s15
	s_xor_b64 s[26:27], s[2:3], s[24:25]
	v_cvt_f32_u32_e32 v18, s26
	v_cvt_f32_u32_e32 v19, s27
	s_sub_u32 s2, 0, s26
	s_subb_u32 s3, 0, s27
	v_madmk_f32 v18, v19, 0x4f800000, v18
	v_rcp_f32_e32 v18, v18
	v_mul_f32_e32 v18, 0x5f7ffffc, v18
	v_mul_f32_e32 v19, 0x2f800000, v18
	v_trunc_f32_e32 v19, v19
	v_madmk_f32 v18, v19, 0xcf800000, v18
	v_cvt_u32_f32_e32 v19, v19
	v_cvt_u32_f32_e32 v18, v18
	v_readfirstlane_b32 s11, v19
	v_readfirstlane_b32 s15, v18
	s_mul_i32 s28, s2, s11
	s_mul_hi_u32 s30, s2, s15
	s_mul_i32 s29, s3, s15
	s_add_i32 s28, s30, s28
	s_add_i32 s28, s28, s29
	s_mul_i32 s31, s2, s15
	s_mul_hi_u32 s29, s15, s28
	s_mul_i32 s30, s15, s28
	s_mul_hi_u32 s15, s15, s31
	s_add_u32 s15, s15, s30
	s_addc_u32 s29, 0, s29
	s_mul_hi_u32 s33, s11, s31
	s_mul_i32 s31, s11, s31
	s_add_u32 s15, s15, s31
	s_mul_hi_u32 s30, s11, s28
	s_addc_u32 s15, s29, s33
	s_addc_u32 s29, s30, 0
	s_mul_i32 s28, s11, s28
	s_add_u32 s15, s15, s28
	s_addc_u32 s28, 0, s29
	v_add_co_u32_e32 v18, vcc, s15, v18
	s_cmp_lg_u64 vcc, 0
	s_addc_u32 s11, s11, s28
	v_readfirstlane_b32 s28, v18
	s_mul_i32 s15, s2, s11
	s_mul_hi_u32 s29, s2, s28
	s_add_i32 s15, s29, s15
	s_mul_i32 s3, s3, s28
	s_add_i32 s15, s15, s3
	s_mul_i32 s2, s2, s28
	s_mul_hi_u32 s29, s11, s2
	s_mul_i32 s30, s11, s2
	s_mul_i32 s33, s28, s15
	s_mul_hi_u32 s2, s28, s2
	s_mul_hi_u32 s31, s28, s15
	s_add_u32 s2, s2, s33
	s_addc_u32 s28, 0, s31
	s_add_u32 s2, s2, s30
	s_mul_hi_u32 s3, s11, s15
	s_addc_u32 s2, s28, s29
	s_addc_u32 s3, s3, 0
	s_mul_i32 s15, s11, s15
	s_add_u32 s2, s2, s15
	s_addc_u32 s3, 0, s3
	v_add_co_u32_e32 v18, vcc, s2, v18
	s_cmp_lg_u64 vcc, 0
	s_addc_u32 s11, s11, s3
	s_ashr_i32 s28, s21, 31
	s_add_u32 s2, s20, s28
	s_mov_b32 s29, s28
	s_addc_u32 s3, s21, s28
	s_xor_b64 s[30:31], s[2:3], s[28:29]
	v_readfirstlane_b32 s15, v18
	s_mul_i32 s3, s30, s11
	s_mul_hi_u32 s21, s30, s15
	s_mul_hi_u32 s2, s30, s11
	s_add_u32 s3, s21, s3
	s_addc_u32 s2, 0, s2
	s_mul_hi_u32 s33, s31, s15
	s_mul_i32 s15, s31, s15
	s_add_u32 s3, s3, s15
	s_mul_hi_u32 s21, s31, s11
	s_addc_u32 s2, s2, s33
	s_addc_u32 s3, s21, 0
	s_mul_i32 s11, s31, s11
	s_add_u32 s11, s2, s11
	s_addc_u32 s15, 0, s3
	s_mul_i32 s2, s26, s15
	s_mul_hi_u32 s3, s26, s11
	s_add_i32 s2, s3, s2
	s_mul_i32 s3, s27, s11
	s_add_i32 s21, s2, s3
	s_mul_i32 s3, s26, s11
	v_mov_b32_e32 v18, s3
	s_sub_i32 s2, s31, s21
	v_sub_co_u32_e32 v18, vcc, s30, v18
	s_cmp_lg_u64 vcc, 0
	s_subb_u32 s30, s2, s27
	v_subrev_co_u32_e64 v19, s[2:3], s26, v18
	s_cmp_lg_u64 s[2:3], 0
	s_subb_u32 s30, s30, 0
	s_cmp_ge_u32 s30, s27
	s_cselect_b32 s33, -1, 0
	v_cmp_le_u32_e64 s[2:3], s26, v19
	s_cmp_eq_u32 s30, s27
	v_cndmask_b32_e64 v19, 0, -1, s[2:3]
	v_mov_b32_e32 v23, s33
	s_cselect_b64 s[2:3], -1, 0
	v_cndmask_b32_e64 v19, v23, v19, s[2:3]
	s_add_u32 s2, s11, 1
	s_addc_u32 s30, s15, 0
	s_add_u32 s3, s11, 2
	s_addc_u32 s33, s15, 0
	v_mov_b32_e32 v23, s2
	v_mov_b32_e32 v24, s3
	v_cmp_ne_u32_e64 s[2:3], 0, v19
	v_cndmask_b32_e64 v19, v23, v24, s[2:3]
	v_mov_b32_e32 v23, s30
	v_mov_b32_e32 v24, s33
	s_cmp_lg_u64 vcc, 0
	v_cndmask_b32_e64 v23, v23, v24, s[2:3]
	s_subb_u32 s2, s31, s21
	s_cmp_ge_u32 s2, s27
	s_cselect_b32 s3, -1, 0
	v_cmp_le_u32_e32 vcc, s26, v18
	s_cmp_eq_u32 s2, s27
	v_cndmask_b32_e64 v18, 0, -1, vcc
	v_mov_b32_e32 v24, s3
	s_cselect_b64 vcc, -1, 0
	v_cndmask_b32_e32 v18, v24, v18, vcc
	v_mov_b32_e32 v24, s15
	v_cmp_ne_u32_e32 vcc, 0, v18
	v_cndmask_b32_e32 v18, v24, v23, vcc
	v_mov_b32_e32 v23, s11
	v_cndmask_b32_e32 v19, v23, v19, vcc
	s_xor_b64 s[2:3], s[28:29], s[24:25]
	v_xor_b32_e32 v19, s2, v19
	v_xor_b32_e32 v23, s3, v18
	v_mov_b32_e32 v24, s3
	v_subrev_co_u32_e32 v18, vcc, s2, v19
	v_subb_co_u32_e32 v19, vcc, v23, v24, vcc
	s_cbranch_execnz .LBB102_38
.LBB102_37:
	v_cvt_f32_u32_e32 v18, s14
	s_sub_i32 s2, 0, s14
	s_mov_b32 s3, 0
	v_rcp_iflag_f32_e32 v18, v18
	v_mul_f32_e32 v18, 0x4f7ffffe, v18
	v_cvt_u32_f32_e32 v18, v18
	v_readfirstlane_b32 s11, v18
	s_mul_i32 s2, s2, s11
	s_mul_hi_u32 s2, s11, s2
	s_add_i32 s11, s11, s2
	s_mul_hi_u32 s2, s20, s11
	s_mul_i32 s15, s2, s14
	s_sub_i32 s15, s20, s15
	s_add_i32 s11, s2, 1
	s_sub_i32 s20, s15, s14
	s_cmp_ge_u32 s15, s14
	s_cselect_b32 s2, s11, s2
	s_cselect_b32 s15, s20, s15
	s_add_i32 s11, s2, 1
	s_cmp_ge_u32 s15, s14
	s_cselect_b32 s2, s11, s2
	v_pk_mov_b32 v[18:19], s[2:3], s[2:3] op_sel:[0,1]
.LBB102_38:
	v_add_co_u32_e32 v18, vcc, v18, v22
	v_addc_co_u32_e32 v19, vcc, 0, v19, vcc
	s_branch .LBB102_41
.LBB102_39:
                                        ; implicit-def: $vgpr18_vgpr19
	s_cbranch_execz .LBB102_41
; %bb.40:
	v_mul_lo_u32 v18, v22, s8
	v_ashrrev_i32_e32 v19, 31, v18
	v_mov_b32_e32 v22, s7
	v_add_co_u32_e32 v18, vcc, s6, v18
	v_addc_co_u32_e32 v19, vcc, v19, v22, vcc
.LBB102_41:
	s_mov_b64 s[2:3], exec
.LBB102_42:
	s_or_b64 exec, exec, s[18:19]
	s_and_b64 vcc, exec, s[16:17]
	s_cbranch_vccz .LBB102_46
.LBB102_43:
	v_mov_b32_dpp v18, v20 quad_perm:[1,0,3,2] row_mask:0xf bank_mask:0xf
	v_cmp_gt_f32_e32 vcc, v20, v18
	v_cndmask_b32_e32 v18, v18, v20, vcc
	s_nop 1
	v_mov_b32_dpp v19, v18 quad_perm:[2,3,0,1] row_mask:0xf bank_mask:0xf
	v_cmp_gt_f32_e32 vcc, v18, v19
	v_cndmask_b32_e32 v18, v19, v18, vcc
	s_nop 1
	v_mov_b32_dpp v19, v18 row_half_mirror row_mask:0xf bank_mask:0xf
	v_cmp_gt_f32_e32 vcc, v18, v19
	v_cndmask_b32_e32 v18, v19, v18, vcc
	s_nop 1
	v_mov_b32_dpp v19, v18 row_mirror row_mask:0xf bank_mask:0xf
	v_cmp_gt_f32_e32 vcc, v18, v19
	v_cndmask_b32_e32 v18, v19, v18, vcc
	s_nop 1
	v_mov_b32_dpp v19, v18 row_bcast:15 row_mask:0xf bank_mask:0xf
	v_cmp_gt_f32_e32 vcc, v18, v19
	v_cndmask_b32_e32 v18, v19, v18, vcc
	s_nop 1
	v_mov_b32_dpp v19, v18 row_bcast:31 row_mask:0xf bank_mask:0xf
	s_and_saveexec_b64 s[2:3], s[0:1]
	s_cbranch_execz .LBB102_45
; %bb.44:
	v_lshrrev_b32_e32 v20, 4, v0
	v_cmp_gt_f32_e32 vcc, v18, v19
	v_and_b32_e32 v20, 60, v20
	v_cndmask_b32_e32 v18, v19, v18, vcc
	ds_write_b32 v20, v18
.LBB102_45:
	s_or_b64 exec, exec, s[2:3]
	s_waitcnt lgkmcnt(0)
	s_barrier
	ds_read_b32 v18, v26
	v_cmp_eq_u32_e64 s[2:3], 0, v0
	s_waitcnt lgkmcnt(0)
	v_mov_b32_dpp v19, v18 quad_perm:[1,0,3,2] row_mask:0xf bank_mask:0xf
	v_cmp_gt_f32_e32 vcc, v18, v19
	v_cndmask_b32_e32 v18, v19, v18, vcc
	s_nop 1
	v_mov_b32_dpp v19, v18 quad_perm:[2,3,0,1] row_mask:0xf bank_mask:0xf
	v_cmp_gt_f32_e32 vcc, v18, v19
	v_cndmask_b32_e32 v18, v19, v18, vcc
	v_mul_f32_e32 v21, 0x3c010204, v18
	v_pk_mov_b32 v[18:19], s[6:7], s[6:7] op_sel:[0,1]
.LBB102_46:
	s_and_saveexec_b64 s[0:1], s[2:3]
	s_cbranch_execz .LBB102_48
; %bb.47:
	v_lshlrev_b64 v[18:19], 2, v[18:19]
	v_mov_b32_e32 v0, s13
	v_add_co_u32_e32 v18, vcc, s12, v18
	v_addc_co_u32_e32 v19, vcc, v0, v19, vcc
	global_store_dword v[18:19], v21, off
.LBB102_48:
	s_or_b64 exec, exec, s[0:1]
	s_add_i32 s2, s9, 3
	s_load_dwordx2 s[0:1], s[4:5], 0x0
	s_ashr_i32 s3, s2, 31
	;;#ASMSTART
	v_rcp_f32 v18, v21
	;;#ASMEND
	v_mov_b32_e32 v19, v18
	;;#ASMSTART
	v_pk_mul_f32 v[16:17], v[16:17], v[18:19]
	;;#ASMEND
	;;#ASMSTART
	v_pk_mul_f32 v[14:15], v[14:15], v[18:19]
	;;#ASMEND
	s_lshr_b32 s3, s3, 30
	v_cvt_i32_f32_e32 v0, v16
	v_cvt_i32_f32_sdwa v16, v17 dst_sel:BYTE_1 dst_unused:UNUSED_PAD src0_sel:DWORD
	v_cvt_i32_f32_e32 v14, v14
	v_cvt_i32_f32_sdwa v15, v15 dst_sel:BYTE_1 dst_unused:UNUSED_PAD src0_sel:DWORD
	;;#ASMSTART
	v_pk_mul_f32 v[10:11], v[10:11], v[18:19]
	;;#ASMEND
	;;#ASMSTART
	v_pk_mul_f32 v[8:9], v[8:9], v[18:19]
	;;#ASMEND
	s_add_i32 s2, s2, s3
	s_ashr_i32 s3, s10, 31
	v_cvt_i32_f32_e32 v10, v10
	v_cvt_i32_f32_sdwa v11, v11 dst_sel:BYTE_1 dst_unused:UNUSED_PAD src0_sel:DWORD
	v_cvt_i32_f32_e32 v17, v8
	v_cvt_i32_f32_sdwa v9, v9 dst_sel:BYTE_1 dst_unused:UNUSED_PAD src0_sel:DWORD
	s_mul_hi_u32 s4, s10, s6
	s_mul_i32 s3, s3, s6
	s_and_b32 s2, s2, -4
	s_add_i32 s4, s4, s3
	s_mul_i32 s3, s10, s6
	s_waitcnt lgkmcnt(0)
	s_add_u32 s0, s0, s3
	v_or_b32_sdwa v0, v0, v16 dst_sel:DWORD dst_unused:UNUSED_PAD src0_sel:BYTE_0 src1_sel:DWORD
	v_or_b32_sdwa v8, v14, v15 dst_sel:WORD_1 dst_unused:UNUSED_PAD src0_sel:BYTE_0 src1_sel:DWORD
	s_addc_u32 s1, s1, s4
	v_or_b32_sdwa v8, v0, v8 dst_sel:DWORD dst_unused:UNUSED_PAD src0_sel:WORD_0 src1_sel:DWORD
	v_or_b32_sdwa v0, v10, v11 dst_sel:DWORD dst_unused:UNUSED_PAD src0_sel:BYTE_0 src1_sel:DWORD
	v_or_b32_sdwa v9, v17, v9 dst_sel:WORD_1 dst_unused:UNUSED_PAD src0_sel:BYTE_0 src1_sel:DWORD
	s_and_b32 s1, s1, 0xffff
	s_mov_b32 s3, 0x20000
	v_or_b32_sdwa v9, v0, v9 dst_sel:DWORD dst_unused:UNUSED_PAD src0_sel:WORD_0 src1_sel:DWORD
	buffer_store_dwordx2 v[8:9], v1, s[0:3], 0 offen
	;;#ASMSTART
	s_nop 0
	;;#ASMEND
	;;#ASMSTART
	v_pk_mul_f32 v[8:9], v[12:13], v[18:19]
	;;#ASMEND
	;;#ASMSTART
	v_pk_mul_f32 v[6:7], v[6:7], v[18:19]
	;;#ASMEND
	v_cvt_i32_f32_e32 v0, v8
	v_cvt_i32_f32_sdwa v8, v9 dst_sel:BYTE_1 dst_unused:UNUSED_PAD src0_sel:DWORD
	v_cvt_i32_f32_e32 v6, v6
	v_cvt_i32_f32_sdwa v7, v7 dst_sel:BYTE_1 dst_unused:UNUSED_PAD src0_sel:DWORD
	;;#ASMSTART
	v_pk_mul_f32 v[4:5], v[4:5], v[18:19]
	;;#ASMEND
	;;#ASMSTART
	v_pk_mul_f32 v[2:3], v[2:3], v[18:19]
	;;#ASMEND
	v_cvt_i32_f32_e32 v4, v4
	v_cvt_i32_f32_sdwa v5, v5 dst_sel:BYTE_1 dst_unused:UNUSED_PAD src0_sel:DWORD
	v_cvt_i32_f32_e32 v9, v2
	v_cvt_i32_f32_sdwa v3, v3 dst_sel:BYTE_1 dst_unused:UNUSED_PAD src0_sel:DWORD
	v_or_b32_sdwa v0, v0, v8 dst_sel:DWORD dst_unused:UNUSED_PAD src0_sel:BYTE_0 src1_sel:DWORD
	v_or_b32_sdwa v2, v6, v7 dst_sel:WORD_1 dst_unused:UNUSED_PAD src0_sel:BYTE_0 src1_sel:DWORD
	v_or_b32_sdwa v2, v0, v2 dst_sel:DWORD dst_unused:UNUSED_PAD src0_sel:WORD_0 src1_sel:DWORD
	v_or_b32_sdwa v0, v4, v5 dst_sel:DWORD dst_unused:UNUSED_PAD src0_sel:BYTE_0 src1_sel:DWORD
	v_or_b32_sdwa v3, v9, v3 dst_sel:WORD_1 dst_unused:UNUSED_PAD src0_sel:BYTE_0 src1_sel:DWORD
	v_or_b32_sdwa v3, v0, v3 dst_sel:DWORD dst_unused:UNUSED_PAD src0_sel:WORD_0 src1_sel:DWORD
	s_movk_i32 s4, 0x200
	buffer_store_dwordx2 v[2:3], v1, s[0:3], s4 offen
	;;#ASMSTART
	s_nop 0
	;;#ASMEND
.LBB102_49:
	s_endpgm
.LBB102_50:
                                        ; implicit-def: $vgpr18_vgpr19
	s_branch .LBB102_37
	.section	.rodata,"a",@progbits
	.p2align	6, 0x0
	.amdhsa_kernel _ZN5aiter24add_rmsnorm_quant_kernelItaLi256ELi16ELb0ELb1ELb1ELi1EEEvPT0_PT_PfS4_S4_S4_diiiiiiib
		.amdhsa_group_segment_fixed_size 32
		.amdhsa_private_segment_fixed_size 0
		.amdhsa_kernarg_size 88
		.amdhsa_user_sgpr_count 6
		.amdhsa_user_sgpr_private_segment_buffer 1
		.amdhsa_user_sgpr_dispatch_ptr 0
		.amdhsa_user_sgpr_queue_ptr 0
		.amdhsa_user_sgpr_kernarg_segment_ptr 1
		.amdhsa_user_sgpr_dispatch_id 0
		.amdhsa_user_sgpr_flat_scratch_init 0
		.amdhsa_user_sgpr_kernarg_preload_length 0
		.amdhsa_user_sgpr_kernarg_preload_offset 0
		.amdhsa_user_sgpr_private_segment_size 0
		.amdhsa_uses_dynamic_stack 0
		.amdhsa_system_sgpr_private_segment_wavefront_offset 0
		.amdhsa_system_sgpr_workgroup_id_x 1
		.amdhsa_system_sgpr_workgroup_id_y 0
		.amdhsa_system_sgpr_workgroup_id_z 0
		.amdhsa_system_sgpr_workgroup_info 0
		.amdhsa_system_vgpr_workitem_id 0
		.amdhsa_next_free_vgpr 45
		.amdhsa_next_free_sgpr 34
		.amdhsa_accum_offset 48
		.amdhsa_reserve_vcc 1
		.amdhsa_reserve_flat_scratch 0
		.amdhsa_float_round_mode_32 0
		.amdhsa_float_round_mode_16_64 0
		.amdhsa_float_denorm_mode_32 3
		.amdhsa_float_denorm_mode_16_64 3
		.amdhsa_dx10_clamp 1
		.amdhsa_ieee_mode 1
		.amdhsa_fp16_overflow 0
		.amdhsa_tg_split 0
		.amdhsa_exception_fp_ieee_invalid_op 0
		.amdhsa_exception_fp_denorm_src 0
		.amdhsa_exception_fp_ieee_div_zero 0
		.amdhsa_exception_fp_ieee_overflow 0
		.amdhsa_exception_fp_ieee_underflow 0
		.amdhsa_exception_fp_ieee_inexact 0
		.amdhsa_exception_int_div_zero 0
	.end_amdhsa_kernel
	.section	.text._ZN5aiter24add_rmsnorm_quant_kernelItaLi256ELi16ELb0ELb1ELb1ELi1EEEvPT0_PT_PfS4_S4_S4_diiiiiiib,"axG",@progbits,_ZN5aiter24add_rmsnorm_quant_kernelItaLi256ELi16ELb0ELb1ELb1ELi1EEEvPT0_PT_PfS4_S4_S4_diiiiiiib,comdat
.Lfunc_end102:
	.size	_ZN5aiter24add_rmsnorm_quant_kernelItaLi256ELi16ELb0ELb1ELb1ELi1EEEvPT0_PT_PfS4_S4_S4_diiiiiiib, .Lfunc_end102-_ZN5aiter24add_rmsnorm_quant_kernelItaLi256ELi16ELb0ELb1ELb1ELi1EEEvPT0_PT_PfS4_S4_S4_diiiiiiib
                                        ; -- End function
	.section	.AMDGPU.csdata,"",@progbits
; Kernel info:
; codeLenInByte = 3648
; NumSgprs: 38
; NumVgprs: 45
; NumAgprs: 0
; TotalNumVgprs: 45
; ScratchSize: 0
; MemoryBound: 0
; FloatMode: 240
; IeeeMode: 1
; LDSByteSize: 32 bytes/workgroup (compile time only)
; SGPRBlocks: 4
; VGPRBlocks: 5
; NumSGPRsForWavesPerEU: 38
; NumVGPRsForWavesPerEU: 45
; AccumOffset: 48
; Occupancy: 8
; WaveLimiterHint : 0
; COMPUTE_PGM_RSRC2:SCRATCH_EN: 0
; COMPUTE_PGM_RSRC2:USER_SGPR: 6
; COMPUTE_PGM_RSRC2:TRAP_HANDLER: 0
; COMPUTE_PGM_RSRC2:TGID_X_EN: 1
; COMPUTE_PGM_RSRC2:TGID_Y_EN: 0
; COMPUTE_PGM_RSRC2:TGID_Z_EN: 0
; COMPUTE_PGM_RSRC2:TIDIG_COMP_CNT: 0
; COMPUTE_PGM_RSRC3_GFX90A:ACCUM_OFFSET: 11
; COMPUTE_PGM_RSRC3_GFX90A:TG_SPLIT: 0
	.section	.text._ZN5aiter24add_rmsnorm_quant_kernelIDF16_aLi256ELi16ELb0ELb1ELb0ELi1EEEvPT0_PT_PfS4_S4_S4_diiiiiiib,"axG",@progbits,_ZN5aiter24add_rmsnorm_quant_kernelIDF16_aLi256ELi16ELb0ELb1ELb0ELi1EEEvPT0_PT_PfS4_S4_S4_diiiiiiib,comdat
	.protected	_ZN5aiter24add_rmsnorm_quant_kernelIDF16_aLi256ELi16ELb0ELb1ELb0ELi1EEEvPT0_PT_PfS4_S4_S4_diiiiiiib ; -- Begin function _ZN5aiter24add_rmsnorm_quant_kernelIDF16_aLi256ELi16ELb0ELb1ELb0ELi1EEEvPT0_PT_PfS4_S4_S4_diiiiiiib
	.globl	_ZN5aiter24add_rmsnorm_quant_kernelIDF16_aLi256ELi16ELb0ELb1ELb0ELi1EEEvPT0_PT_PfS4_S4_S4_diiiiiiib
	.p2align	8
	.type	_ZN5aiter24add_rmsnorm_quant_kernelIDF16_aLi256ELi16ELb0ELb1ELb0ELi1EEEvPT0_PT_PfS4_S4_S4_diiiiiiib,@function
_ZN5aiter24add_rmsnorm_quant_kernelIDF16_aLi256ELi16ELb0ELb1ELb0ELi1EEEvPT0_PT_PfS4_S4_S4_diiiiiiib: ; @_ZN5aiter24add_rmsnorm_quant_kernelIDF16_aLi256ELi16ELb0ELb1ELb0ELi1EEEvPT0_PT_PfS4_S4_S4_diiiiiiib
; %bb.0:
	s_load_dwordx4 s[8:11], s[4:5], 0x38
	s_mov_b32 s7, 0
	s_waitcnt lgkmcnt(0)
	s_ashr_i32 s0, s8, 31
	v_mov_b32_e32 v2, s8
	v_mov_b32_e32 v3, s0
	v_cmp_ge_i64_e32 vcc, s[6:7], v[2:3]
	s_cbranch_vccnz .LBB103_49
; %bb.1:
	s_load_dwordx4 s[12:15], s[4:5], 0x10
	s_load_dwordx4 s[0:3], s[4:5], 0x28
	s_ashr_i32 s11, s10, 31
	s_mul_hi_u32 s16, s10, s6
	s_mul_i32 s11, s11, s6
	s_add_i32 s11, s16, s11
	s_mul_i32 s10, s10, s6
	s_lshl_b64 s[10:11], s[10:11], 1
	s_waitcnt lgkmcnt(0)
	s_add_u32 s16, s14, s10
	s_addc_u32 s10, s15, s11
	s_add_i32 s11, s9, 1
	s_lshr_b32 s14, s11, 31
	s_add_i32 s11, s11, s14
	s_lshl_b32 s11, s11, 1
	s_and_b32 s18, s11, -4
	s_and_b32 s17, s10, 0xffff
	s_mov_b32 s19, 0x20000
	v_lshlrev_b32_e32 v1, 5, v0
	buffer_load_dwordx4 v[10:13], v1, s[16:19], 0 offen
	buffer_load_dwordx4 v[26:29], v1, s[16:19], 16 offen
	s_mov_b32 s16, s0
	s_and_b32 s17, s1, 0xffff
	buffer_load_dwordx4 v[6:9], v1, s[16:19], 0 offen
	buffer_load_dwordx4 v[2:5], v1, s[16:19], 16 offen
	v_and_b32_e32 v42, 63, v0
	v_cmp_eq_u32_e64 s[0:1], 63, v42
	s_waitcnt vmcnt(3)
	v_cvt_f32_f16_e32 v24, v10
	v_cvt_f32_f16_sdwa v25, v10 dst_sel:DWORD dst_unused:UNUSED_PAD src0_sel:WORD_1
	v_cvt_f32_f16_e32 v22, v11
	v_cvt_f32_f16_sdwa v23, v11 dst_sel:DWORD dst_unused:UNUSED_PAD src0_sel:WORD_1
	v_cvt_f32_f16_e32 v20, v12
	v_cvt_f32_f16_sdwa v21, v12 dst_sel:DWORD dst_unused:UNUSED_PAD src0_sel:WORD_1
	s_waitcnt vmcnt(2)
	v_cvt_f32_f16_e32 v16, v26
	v_cvt_f32_f16_sdwa v17, v26 dst_sel:DWORD dst_unused:UNUSED_PAD src0_sel:WORD_1
	v_cvt_f32_f16_e32 v14, v27
	v_cvt_f32_f16_sdwa v15, v27 dst_sel:DWORD dst_unused:UNUSED_PAD src0_sel:WORD_1
	v_pk_mul_f32 v[26:27], v[24:25], v[24:25]
	v_cvt_f32_f16_e32 v18, v13
	v_cvt_f32_f16_sdwa v19, v13 dst_sel:DWORD dst_unused:UNUSED_PAD src0_sel:WORD_1
	v_cvt_f32_f16_e32 v12, v28
	v_cvt_f32_f16_sdwa v13, v28 dst_sel:DWORD dst_unused:UNUSED_PAD src0_sel:WORD_1
	;; [unrolled: 2-line block ×3, first 2 shown]
	v_pk_mul_f32 v[28:29], v[22:23], v[22:23]
	v_add_f32_e32 v1, v26, v27
	v_add_f32_e32 v1, v28, v1
	v_pk_mul_f32 v[30:31], v[20:21], v[20:21]
	v_add_f32_e32 v1, v29, v1
	v_add_f32_e32 v1, v30, v1
	;; [unrolled: 3-line block ×7, first 2 shown]
	v_add_f32_e32 v1, v41, v1
	s_nop 1
	v_mov_b32_dpp v26, v1 quad_perm:[1,0,3,2] row_mask:0xf bank_mask:0xf
	v_add_f32_e32 v1, v1, v26
	s_nop 1
	v_mov_b32_dpp v26, v1 quad_perm:[2,3,0,1] row_mask:0xf bank_mask:0xf
	v_add_f32_e32 v1, v1, v26
	s_nop 1
	v_mov_b32_dpp v26, v1 row_half_mirror row_mask:0xf bank_mask:0xf
	v_add_f32_e32 v1, v1, v26
	s_nop 1
	v_mov_b32_dpp v26, v1 row_mirror row_mask:0xf bank_mask:0xf
	v_add_f32_e32 v1, v1, v26
	s_nop 1
	v_mov_b32_dpp v26, v1 row_bcast:15 row_mask:0xf bank_mask:0xf
	v_add_f32_e32 v1, v1, v26
	s_nop 1
	v_mov_b32_dpp v26, v1 row_bcast:31 row_mask:0xf bank_mask:0xf
	s_and_saveexec_b64 s[10:11], s[0:1]
	s_cbranch_execz .LBB103_3
; %bb.2:
	v_lshrrev_b32_e32 v27, 4, v0
	v_and_b32_e32 v27, 60, v27
	v_add_f32_e32 v1, v1, v26
	ds_write_b32 v27, v1 offset:16
.LBB103_3:
	s_or_b64 exec, exec, s[10:11]
	v_and_b32_e32 v1, 3, v0
	v_lshlrev_b32_e32 v26, 2, v1
	s_waitcnt lgkmcnt(0)
	s_barrier
	ds_read_b32 v1, v26 offset:16
	v_cvt_f32_i32_e32 v27, s9
	s_waitcnt vmcnt(1)
	v_cvt_f32_f16_sdwa v33, v7 dst_sel:DWORD dst_unused:UNUSED_PAD src0_sel:WORD_1
	v_cvt_f32_f16_sdwa v35, v9 dst_sel:DWORD dst_unused:UNUSED_PAD src0_sel:WORD_1
	v_cvt_f32_f16_e32 v34, v9
	s_waitcnt lgkmcnt(0)
	v_mov_b32_dpp v28, v1 quad_perm:[1,0,3,2] row_mask:0xf bank_mask:0xf
	v_add_f32_e32 v1, v1, v28
	s_nop 1
	v_mov_b32_dpp v28, v1 quad_perm:[2,3,0,1] row_mask:0xf bank_mask:0xf
	v_add_f32_e32 v1, v1, v28
	v_div_scale_f32 v28, s[10:11], v27, v27, v1
	v_rcp_f32_e32 v29, v28
	v_div_scale_f32 v30, vcc, v1, v27, v1
	s_load_dwordx2 s[10:11], s[4:5], 0x4c
	s_load_dword s14, s[4:5], 0x54
	v_fma_f32 v31, -v28, v29, 1.0
	v_fmac_f32_e32 v29, v31, v29
	v_mul_f32_e32 v31, v30, v29
	v_fma_f32 v32, -v28, v31, v30
	v_fmac_f32_e32 v31, v32, v29
	v_fma_f32 v28, -v28, v31, v30
	v_div_fmas_f32 v28, v28, v29, v31
	v_div_fixup_f32 v1, v28, v27, v1
	v_cvt_f64_f32_e32 v[28:29], v1
	v_add_f64 v[28:29], v[28:29], s[2:3]
	v_cvt_f32_f64_e32 v1, v[28:29]
	s_mov_b32 s2, 0x800000
	v_mul_f32_e32 v27, 0x4b800000, v1
	v_cmp_gt_f32_e32 vcc, s2, v1
	v_cndmask_b32_e32 v1, v1, v27, vcc
	v_rsq_f32_e32 v27, v1
	v_cvt_f32_f16_e32 v32, v7
	v_cvt_f32_f16_sdwa v7, v8 dst_sel:DWORD dst_unused:UNUSED_PAD src0_sel:WORD_1
	v_lshlrev_b32_e32 v1, 4, v0
	v_mul_f32_e32 v28, 0x45800000, v27
	v_cndmask_b32_e32 v28, v27, v28, vcc
	v_mov_b32_e32 v29, v28
	;;#ASMSTART
	v_pk_mul_f32 v[24:25], v[24:25], v[28:29]
	;;#ASMEND
	;;#ASMSTART
	v_pk_mul_f32 v[22:23], v[22:23], v[28:29]
	;;#ASMEND
	;; [unrolled: 3-line block ×8, first 2 shown]
	v_cvt_f32_f16_sdwa v11, v6 dst_sel:DWORD dst_unused:UNUSED_PAD src0_sel:WORD_1
	v_cvt_f32_f16_e32 v10, v6
	v_cvt_f32_f16_e32 v6, v8
	;;#ASMSTART
	v_pk_mul_f32 v[12:13], v[24:25], v[10:11]
	;;#ASMEND
	;;#ASMSTART
	v_pk_mul_f32 v[10:11], v[22:23], v[32:33]
	;;#ASMEND
	;; [unrolled: 3-line block ×4, first 2 shown]
	s_waitcnt vmcnt(0)
	v_cvt_f32_f16_e32 v18, v2
	v_cvt_f32_f16_e32 v20, v3
	v_cvt_f32_f16_sdwa v19, v2 dst_sel:DWORD dst_unused:UNUSED_PAD src0_sel:WORD_1
	v_cvt_f32_f16_sdwa v21, v3 dst_sel:DWORD dst_unused:UNUSED_PAD src0_sel:WORD_1
	;; [unrolled: 1-line block ×3, first 2 shown]
	v_cvt_f32_f16_e32 v2, v4
	;;#ASMSTART
	v_pk_mul_f32 v[16:17], v[16:17], v[18:19]
	;;#ASMEND
	;;#ASMSTART
	v_pk_mul_f32 v[14:15], v[14:15], v[20:21]
	;;#ASMEND
	v_and_b32_e32 v18, 0x7fffffff, v12
	v_mov_b32_e32 v20, 0x2edbe6ff
	v_cvt_f32_f16_sdwa v23, v5 dst_sel:DWORD dst_unused:UNUSED_PAD src0_sel:WORD_1
	v_cvt_f32_f16_e32 v22, v5
	;;#ASMSTART
	v_pk_mul_f32 v[4:5], v[30:31], v[2:3]
	;;#ASMEND
	;;#ASMSTART
	v_pk_mul_f32 v[2:3], v[28:29], v[22:23]
	;;#ASMEND
	v_and_b32_e32 v19, 0x7fffffff, v13
	;;#ASMSTART
	v_max3_f32 v18, v20, v18, v19

	;;#ASMEND
	v_and_b32_e32 v20, 0x7fffffff, v11
	v_and_b32_e32 v19, 0x7fffffff, v10
	;;#ASMSTART
	v_max3_f32 v18, v18, v19, v20

	;;#ASMEND
	v_and_b32_e32 v20, 0x7fffffff, v9
	;; [unrolled: 6-line block ×7, first 2 shown]
	s_waitcnt lgkmcnt(0)
	s_cmp_lg_u32 s11, 0
	v_and_b32_e32 v19, 0x7fffffff, v2
	;;#ASMSTART
	v_max3_f32 v20, v18, v19, v20

	;;#ASMEND
	s_cbranch_scc0 .LBB103_10
; %bb.4:
	s_ashr_i32 s15, s11, 31
	s_lshr_b32 s2, s15, 28
	s_add_i32 s2, s11, s2
	s_ashr_i32 s18, s2, 4
	s_cmp_lt_i32 s18, 16
	s_cbranch_scc1 .LBB103_11
; %bb.5:
	s_cmp_lt_i32 s18, 32
	s_cbranch_scc1 .LBB103_12
; %bb.6:
	;; [unrolled: 3-line block ×3, first 2 shown]
	s_cmp_eq_u32 s18, 64
	v_mov_b32_e32 v18, v20
	s_cbranch_scc0 .LBB103_9
; %bb.8:
	s_nop 0
	v_mov_b32_dpp v18, v20 quad_perm:[1,0,3,2] row_mask:0xf bank_mask:0xf
	v_cmp_gt_f32_e32 vcc, v20, v18
	v_cndmask_b32_e32 v18, v18, v20, vcc
	v_bfrev_b32_e32 v21, 0.5
	s_nop 0
	v_mov_b32_dpp v19, v18 quad_perm:[2,3,0,1] row_mask:0xf bank_mask:0xf
	v_cmp_gt_f32_e32 vcc, v18, v19
	v_cndmask_b32_e32 v18, v19, v18, vcc
	s_nop 1
	v_mov_b32_dpp v19, v18 row_ror:4 row_mask:0xf bank_mask:0xf
	v_cmp_gt_f32_e32 vcc, v18, v19
	v_cndmask_b32_e32 v18, v19, v18, vcc
	s_nop 1
	v_mov_b32_dpp v19, v18 row_ror:8 row_mask:0xf bank_mask:0xf
	v_cmp_gt_f32_e32 vcc, v18, v19
	v_cndmask_b32_e32 v18, v19, v18, vcc
	s_nop 1
	v_mov_b32_dpp v19, v18 row_bcast:15 row_mask:0xf bank_mask:0xf
	v_cmp_gt_f32_e32 vcc, v18, v19
	v_cndmask_b32_e32 v18, v19, v18, vcc
	s_nop 1
	v_mov_b32_dpp v19, v18 row_bcast:31 row_mask:0xf bank_mask:0xf
	v_cmp_gt_f32_e32 vcc, v18, v19
	v_cndmask_b32_e32 v18, v19, v18, vcc
	v_mbcnt_lo_u32_b32 v19, -1, 0
	v_mbcnt_hi_u32_b32 v19, -1, v19
	v_lshl_or_b32 v19, v19, 2, v21
	ds_bpermute_b32 v18, v19, v18
.LBB103_9:
	s_mov_b64 s[2:3], 0
	s_branch .LBB103_14
.LBB103_10:
	s_mov_b64 s[2:3], 0
                                        ; implicit-def: $vgpr21
                                        ; implicit-def: $vgpr18_vgpr19
	s_cbranch_execnz .LBB103_43
	s_branch .LBB103_46
.LBB103_11:
                                        ; implicit-def: $vgpr18
	s_branch .LBB103_21
.LBB103_12:
                                        ; implicit-def: $vgpr18
	s_branch .LBB103_18
.LBB103_13:
	s_mov_b64 s[2:3], -1
                                        ; implicit-def: $vgpr18
.LBB103_14:
	s_andn2_b64 vcc, exec, s[2:3]
	s_cbranch_vccnz .LBB103_17
; %bb.15:
	s_cmp_eq_u32 s18, 32
	s_waitcnt lgkmcnt(0)
	v_mov_b32_e32 v18, v20
	s_cbranch_scc0 .LBB103_17
; %bb.16:
	s_nop 0
	v_mov_b32_dpp v18, v20 quad_perm:[1,0,3,2] row_mask:0xf bank_mask:0xf
	v_cmp_gt_f32_e32 vcc, v20, v18
	v_cndmask_b32_e32 v18, v18, v20, vcc
	v_mov_b32_e32 v21, 0x7c
	s_nop 0
	v_mov_b32_dpp v19, v18 quad_perm:[2,3,0,1] row_mask:0xf bank_mask:0xf
	v_cmp_gt_f32_e32 vcc, v18, v19
	v_cndmask_b32_e32 v18, v19, v18, vcc
	s_nop 1
	v_mov_b32_dpp v19, v18 row_half_mirror row_mask:0xf bank_mask:0xf
	v_cmp_gt_f32_e32 vcc, v18, v19
	v_cndmask_b32_e32 v18, v19, v18, vcc
	s_nop 1
	v_mov_b32_dpp v19, v18 row_mirror row_mask:0xf bank_mask:0xf
	v_cmp_gt_f32_e32 vcc, v18, v19
	v_cndmask_b32_e32 v18, v19, v18, vcc
	s_nop 1
	v_mov_b32_dpp v19, v18 row_bcast:15 row_mask:0xa bank_mask:0xf
	v_cmp_gt_f32_e32 vcc, v18, v19
	v_cndmask_b32_e32 v18, v19, v18, vcc
	v_mbcnt_lo_u32_b32 v19, -1, 0
	v_mbcnt_hi_u32_b32 v19, -1, v19
	v_lshl_or_b32 v19, v19, 2, v21
	ds_bpermute_b32 v18, v19, v18
.LBB103_17:
	s_cbranch_execnz .LBB103_20
.LBB103_18:
	s_cmp_eq_u32 s18, 16
	s_waitcnt lgkmcnt(0)
	v_mov_b32_e32 v18, v20
	s_cbranch_scc0 .LBB103_20
; %bb.19:
	s_nop 0
	v_mov_b32_dpp v18, v20 quad_perm:[1,0,3,2] row_mask:0xf bank_mask:0xf
	v_cmp_gt_f32_e32 vcc, v20, v18
	v_cndmask_b32_e32 v18, v18, v20, vcc
	s_nop 1
	v_mov_b32_dpp v19, v18 quad_perm:[2,3,0,1] row_mask:0xf bank_mask:0xf
	v_cmp_gt_f32_e32 vcc, v18, v19
	v_cndmask_b32_e32 v18, v19, v18, vcc
	s_nop 1
	v_mov_b32_dpp v19, v18 row_half_mirror row_mask:0xf bank_mask:0xf
	v_cmp_gt_f32_e32 vcc, v18, v19
	v_cndmask_b32_e32 v18, v19, v18, vcc
	s_nop 1
	v_mov_b32_dpp v19, v18 row_mirror row_mask:0xf bank_mask:0xf
	v_cmp_gt_f32_e32 vcc, v18, v19
	v_cndmask_b32_e32 v18, v19, v18, vcc
.LBB103_20:
	s_cbranch_execnz .LBB103_33
.LBB103_21:
	s_cmp_lt_i32 s18, 4
	s_cbranch_scc1 .LBB103_25
; %bb.22:
	s_cmp_lt_i32 s18, 8
	s_cbranch_scc1 .LBB103_26
; %bb.23:
	s_cmp_eq_u32 s18, 8
	s_waitcnt lgkmcnt(0)
	v_mov_b32_e32 v18, v20
	s_cbranch_scc0 .LBB103_27
; %bb.24:
	s_nop 0
	v_mov_b32_dpp v18, v20 quad_perm:[1,0,3,2] row_mask:0xf bank_mask:0xf
	v_cmp_gt_f32_e32 vcc, v20, v18
	v_cndmask_b32_e32 v18, v18, v20, vcc
	s_nop 1
	v_mov_b32_dpp v19, v18 quad_perm:[2,3,0,1] row_mask:0xf bank_mask:0xf
	v_cmp_gt_f32_e32 vcc, v18, v19
	v_cndmask_b32_e32 v18, v19, v18, vcc
	s_nop 1
	v_mov_b32_dpp v19, v18 row_half_mirror row_mask:0xf bank_mask:0xf
	v_cmp_gt_f32_e32 vcc, v18, v19
	v_cndmask_b32_e32 v18, v19, v18, vcc
	s_cbranch_execz .LBB103_28
	s_branch .LBB103_30
.LBB103_25:
                                        ; implicit-def: $vgpr18
	s_branch .LBB103_31
.LBB103_26:
                                        ; implicit-def: $vgpr18
	s_branch .LBB103_28
.LBB103_27:
	s_cbranch_execnz .LBB103_30
.LBB103_28:
	s_cmp_eq_u32 s18, 4
	s_waitcnt lgkmcnt(0)
	v_mov_b32_e32 v18, v20
	s_cbranch_scc0 .LBB103_30
; %bb.29:
	s_nop 0
	v_mov_b32_dpp v18, v20 quad_perm:[1,0,3,2] row_mask:0xf bank_mask:0xf
	v_cmp_gt_f32_e32 vcc, v20, v18
	v_cndmask_b32_e32 v18, v18, v20, vcc
	s_nop 1
	v_mov_b32_dpp v19, v18 quad_perm:[2,3,0,1] row_mask:0xf bank_mask:0xf
	v_cmp_gt_f32_e32 vcc, v18, v19
	v_cndmask_b32_e32 v18, v19, v18, vcc
.LBB103_30:
	s_cbranch_execnz .LBB103_33
.LBB103_31:
	s_cmp_lg_u32 s18, 2
	s_waitcnt lgkmcnt(0)
	v_mov_b32_e32 v18, v20
	s_cbranch_scc1 .LBB103_33
; %bb.32:
	s_nop 0
	v_mov_b32_dpp v18, v20 quad_perm:[1,0,3,2] row_mask:0xf bank_mask:0xf
	v_cmp_gt_f32_e32 vcc, v20, v18
	v_cndmask_b32_e32 v18, v18, v20, vcc
.LBB103_33:
	v_cvt_f32_u32_e32 v19, s18
	s_waitcnt lgkmcnt(0)
	v_mul_f32_e32 v21, 0x3c010204, v18
	s_sub_i32 s2, 0, s18
	v_cmp_gt_u32_e32 vcc, s9, v1
	v_rcp_iflag_f32_e32 v19, v19
	s_mov_b64 s[16:17], 0
	v_mul_f32_e32 v18, 0x4f7ffffe, v19
	v_cvt_u32_f32_e32 v18, v18
	v_mul_lo_u32 v19, s2, v18
	v_mul_hi_u32 v19, v18, v19
	v_add_u32_e32 v18, v18, v19
	v_mul_hi_u32 v18, v0, v18
	v_mul_lo_u32 v19, v18, s18
	v_sub_u32_e32 v19, v0, v19
	v_add_u32_e32 v22, 1, v18
	v_cmp_le_u32_e64 s[2:3], s18, v19
	v_cndmask_b32_e64 v18, v18, v22, s[2:3]
	v_subrev_u32_e32 v22, s18, v19
	v_cndmask_b32_e64 v19, v19, v22, s[2:3]
	v_add_u32_e32 v22, 1, v18
	v_cmp_le_u32_e64 s[2:3], s18, v19
	v_cndmask_b32_e64 v22, v18, v22, s[2:3]
	v_mul_lo_u32 v18, v22, s18
	v_sub_u32_e32 v18, v0, v18
	v_cmp_eq_u32_e64 s[2:3], 0, v18
	s_and_b64 s[18:19], s[2:3], vcc
	s_mov_b64 s[2:3], 0
                                        ; implicit-def: $vgpr18_vgpr19
	s_and_saveexec_b64 s[20:21], s[18:19]
	s_xor_b64 s[18:19], exec, s[20:21]
	s_cbranch_execz .LBB103_42
; %bb.34:
	s_bitcmp0_b32 s14, 0
	s_cbranch_scc0 .LBB103_39
; %bb.35:
	s_ashr_i32 s2, s9, 31
	s_mul_hi_u32 s3, s9, s6
	s_mul_i32 s2, s2, s6
	s_add_i32 s21, s3, s2
	s_mul_i32 s20, s9, s6
	s_mov_b32 s14, s11
	s_or_b64 s[2:3], s[20:21], s[14:15]
	s_mov_b32 s2, 0
	s_cmp_lg_u64 s[2:3], 0
	s_cbranch_scc0 .LBB103_50
; %bb.36:
	s_add_u32 s2, s14, s15
	s_mov_b32 s24, s15
	s_mov_b32 s25, s15
	s_addc_u32 s3, s15, s15
	s_xor_b64 s[26:27], s[2:3], s[24:25]
	v_cvt_f32_u32_e32 v18, s26
	v_cvt_f32_u32_e32 v19, s27
	s_sub_u32 s2, 0, s26
	s_subb_u32 s3, 0, s27
	v_madmk_f32 v18, v19, 0x4f800000, v18
	v_rcp_f32_e32 v18, v18
	v_mul_f32_e32 v18, 0x5f7ffffc, v18
	v_mul_f32_e32 v19, 0x2f800000, v18
	v_trunc_f32_e32 v19, v19
	v_madmk_f32 v18, v19, 0xcf800000, v18
	v_cvt_u32_f32_e32 v19, v19
	v_cvt_u32_f32_e32 v18, v18
	v_readfirstlane_b32 s11, v19
	v_readfirstlane_b32 s15, v18
	s_mul_i32 s28, s2, s11
	s_mul_hi_u32 s30, s2, s15
	s_mul_i32 s29, s3, s15
	s_add_i32 s28, s30, s28
	s_add_i32 s28, s28, s29
	s_mul_i32 s31, s2, s15
	s_mul_hi_u32 s29, s15, s28
	s_mul_i32 s30, s15, s28
	s_mul_hi_u32 s15, s15, s31
	s_add_u32 s15, s15, s30
	s_addc_u32 s29, 0, s29
	s_mul_hi_u32 s33, s11, s31
	s_mul_i32 s31, s11, s31
	s_add_u32 s15, s15, s31
	s_mul_hi_u32 s30, s11, s28
	s_addc_u32 s15, s29, s33
	s_addc_u32 s29, s30, 0
	s_mul_i32 s28, s11, s28
	s_add_u32 s15, s15, s28
	s_addc_u32 s28, 0, s29
	v_add_co_u32_e32 v18, vcc, s15, v18
	s_cmp_lg_u64 vcc, 0
	s_addc_u32 s11, s11, s28
	v_readfirstlane_b32 s28, v18
	s_mul_i32 s15, s2, s11
	s_mul_hi_u32 s29, s2, s28
	s_add_i32 s15, s29, s15
	s_mul_i32 s3, s3, s28
	s_add_i32 s15, s15, s3
	s_mul_i32 s2, s2, s28
	s_mul_hi_u32 s29, s11, s2
	s_mul_i32 s30, s11, s2
	s_mul_i32 s33, s28, s15
	s_mul_hi_u32 s2, s28, s2
	s_mul_hi_u32 s31, s28, s15
	s_add_u32 s2, s2, s33
	s_addc_u32 s28, 0, s31
	s_add_u32 s2, s2, s30
	s_mul_hi_u32 s3, s11, s15
	s_addc_u32 s2, s28, s29
	s_addc_u32 s3, s3, 0
	s_mul_i32 s15, s11, s15
	s_add_u32 s2, s2, s15
	s_addc_u32 s3, 0, s3
	v_add_co_u32_e32 v18, vcc, s2, v18
	s_cmp_lg_u64 vcc, 0
	s_addc_u32 s11, s11, s3
	s_ashr_i32 s28, s21, 31
	s_add_u32 s2, s20, s28
	s_mov_b32 s29, s28
	s_addc_u32 s3, s21, s28
	s_xor_b64 s[30:31], s[2:3], s[28:29]
	v_readfirstlane_b32 s15, v18
	s_mul_i32 s3, s30, s11
	s_mul_hi_u32 s21, s30, s15
	s_mul_hi_u32 s2, s30, s11
	s_add_u32 s3, s21, s3
	s_addc_u32 s2, 0, s2
	s_mul_hi_u32 s33, s31, s15
	s_mul_i32 s15, s31, s15
	s_add_u32 s3, s3, s15
	s_mul_hi_u32 s21, s31, s11
	s_addc_u32 s2, s2, s33
	s_addc_u32 s3, s21, 0
	s_mul_i32 s11, s31, s11
	s_add_u32 s11, s2, s11
	s_addc_u32 s15, 0, s3
	s_mul_i32 s2, s26, s15
	s_mul_hi_u32 s3, s26, s11
	s_add_i32 s2, s3, s2
	s_mul_i32 s3, s27, s11
	s_add_i32 s21, s2, s3
	s_mul_i32 s3, s26, s11
	v_mov_b32_e32 v18, s3
	s_sub_i32 s2, s31, s21
	v_sub_co_u32_e32 v18, vcc, s30, v18
	s_cmp_lg_u64 vcc, 0
	s_subb_u32 s30, s2, s27
	v_subrev_co_u32_e64 v19, s[2:3], s26, v18
	s_cmp_lg_u64 s[2:3], 0
	s_subb_u32 s30, s30, 0
	s_cmp_ge_u32 s30, s27
	s_cselect_b32 s33, -1, 0
	v_cmp_le_u32_e64 s[2:3], s26, v19
	s_cmp_eq_u32 s30, s27
	v_cndmask_b32_e64 v19, 0, -1, s[2:3]
	v_mov_b32_e32 v23, s33
	s_cselect_b64 s[2:3], -1, 0
	v_cndmask_b32_e64 v19, v23, v19, s[2:3]
	s_add_u32 s2, s11, 1
	s_addc_u32 s30, s15, 0
	s_add_u32 s3, s11, 2
	s_addc_u32 s33, s15, 0
	v_mov_b32_e32 v23, s2
	v_mov_b32_e32 v24, s3
	v_cmp_ne_u32_e64 s[2:3], 0, v19
	v_cndmask_b32_e64 v19, v23, v24, s[2:3]
	v_mov_b32_e32 v23, s30
	v_mov_b32_e32 v24, s33
	s_cmp_lg_u64 vcc, 0
	v_cndmask_b32_e64 v23, v23, v24, s[2:3]
	s_subb_u32 s2, s31, s21
	s_cmp_ge_u32 s2, s27
	s_cselect_b32 s3, -1, 0
	v_cmp_le_u32_e32 vcc, s26, v18
	s_cmp_eq_u32 s2, s27
	v_cndmask_b32_e64 v18, 0, -1, vcc
	v_mov_b32_e32 v24, s3
	s_cselect_b64 vcc, -1, 0
	v_cndmask_b32_e32 v18, v24, v18, vcc
	v_mov_b32_e32 v24, s15
	v_cmp_ne_u32_e32 vcc, 0, v18
	v_cndmask_b32_e32 v18, v24, v23, vcc
	v_mov_b32_e32 v23, s11
	v_cndmask_b32_e32 v19, v23, v19, vcc
	s_xor_b64 s[2:3], s[28:29], s[24:25]
	v_xor_b32_e32 v19, s2, v19
	v_xor_b32_e32 v23, s3, v18
	v_mov_b32_e32 v24, s3
	v_subrev_co_u32_e32 v18, vcc, s2, v19
	v_subb_co_u32_e32 v19, vcc, v23, v24, vcc
	s_cbranch_execnz .LBB103_38
.LBB103_37:
	v_cvt_f32_u32_e32 v18, s14
	s_sub_i32 s2, 0, s14
	s_mov_b32 s3, 0
	v_rcp_iflag_f32_e32 v18, v18
	v_mul_f32_e32 v18, 0x4f7ffffe, v18
	v_cvt_u32_f32_e32 v18, v18
	v_readfirstlane_b32 s11, v18
	s_mul_i32 s2, s2, s11
	s_mul_hi_u32 s2, s11, s2
	s_add_i32 s11, s11, s2
	s_mul_hi_u32 s2, s20, s11
	s_mul_i32 s15, s2, s14
	s_sub_i32 s15, s20, s15
	s_add_i32 s11, s2, 1
	s_sub_i32 s20, s15, s14
	s_cmp_ge_u32 s15, s14
	s_cselect_b32 s2, s11, s2
	s_cselect_b32 s15, s20, s15
	s_add_i32 s11, s2, 1
	s_cmp_ge_u32 s15, s14
	s_cselect_b32 s2, s11, s2
	v_pk_mov_b32 v[18:19], s[2:3], s[2:3] op_sel:[0,1]
.LBB103_38:
	v_add_co_u32_e32 v18, vcc, v18, v22
	v_addc_co_u32_e32 v19, vcc, 0, v19, vcc
	s_branch .LBB103_41
.LBB103_39:
                                        ; implicit-def: $vgpr18_vgpr19
	s_cbranch_execz .LBB103_41
; %bb.40:
	v_mul_lo_u32 v18, v22, s8
	v_ashrrev_i32_e32 v19, 31, v18
	v_mov_b32_e32 v22, s7
	v_add_co_u32_e32 v18, vcc, s6, v18
	v_addc_co_u32_e32 v19, vcc, v19, v22, vcc
.LBB103_41:
	s_mov_b64 s[2:3], exec
.LBB103_42:
	s_or_b64 exec, exec, s[18:19]
	s_and_b64 vcc, exec, s[16:17]
	s_cbranch_vccz .LBB103_46
.LBB103_43:
	v_mov_b32_dpp v18, v20 quad_perm:[1,0,3,2] row_mask:0xf bank_mask:0xf
	v_cmp_gt_f32_e32 vcc, v20, v18
	v_cndmask_b32_e32 v18, v18, v20, vcc
	s_nop 1
	v_mov_b32_dpp v19, v18 quad_perm:[2,3,0,1] row_mask:0xf bank_mask:0xf
	v_cmp_gt_f32_e32 vcc, v18, v19
	v_cndmask_b32_e32 v18, v19, v18, vcc
	s_nop 1
	v_mov_b32_dpp v19, v18 row_half_mirror row_mask:0xf bank_mask:0xf
	v_cmp_gt_f32_e32 vcc, v18, v19
	v_cndmask_b32_e32 v18, v19, v18, vcc
	s_nop 1
	v_mov_b32_dpp v19, v18 row_mirror row_mask:0xf bank_mask:0xf
	v_cmp_gt_f32_e32 vcc, v18, v19
	v_cndmask_b32_e32 v18, v19, v18, vcc
	s_nop 1
	v_mov_b32_dpp v19, v18 row_bcast:15 row_mask:0xf bank_mask:0xf
	v_cmp_gt_f32_e32 vcc, v18, v19
	v_cndmask_b32_e32 v18, v19, v18, vcc
	s_nop 1
	v_mov_b32_dpp v19, v18 row_bcast:31 row_mask:0xf bank_mask:0xf
	s_and_saveexec_b64 s[2:3], s[0:1]
	s_cbranch_execz .LBB103_45
; %bb.44:
	v_lshrrev_b32_e32 v20, 4, v0
	v_cmp_gt_f32_e32 vcc, v18, v19
	v_and_b32_e32 v20, 60, v20
	v_cndmask_b32_e32 v18, v19, v18, vcc
	ds_write_b32 v20, v18
.LBB103_45:
	s_or_b64 exec, exec, s[2:3]
	s_waitcnt lgkmcnt(0)
	s_barrier
	ds_read_b32 v18, v26
	v_cmp_eq_u32_e64 s[2:3], 0, v0
	s_waitcnt lgkmcnt(0)
	v_mov_b32_dpp v19, v18 quad_perm:[1,0,3,2] row_mask:0xf bank_mask:0xf
	v_cmp_gt_f32_e32 vcc, v18, v19
	v_cndmask_b32_e32 v18, v19, v18, vcc
	s_nop 1
	v_mov_b32_dpp v19, v18 quad_perm:[2,3,0,1] row_mask:0xf bank_mask:0xf
	v_cmp_gt_f32_e32 vcc, v18, v19
	v_cndmask_b32_e32 v18, v19, v18, vcc
	v_mul_f32_e32 v21, 0x3c010204, v18
	v_pk_mov_b32 v[18:19], s[6:7], s[6:7] op_sel:[0,1]
.LBB103_46:
	s_and_saveexec_b64 s[0:1], s[2:3]
	s_cbranch_execz .LBB103_48
; %bb.47:
	v_lshlrev_b64 v[18:19], 2, v[18:19]
	v_mov_b32_e32 v0, s13
	v_add_co_u32_e32 v18, vcc, s12, v18
	v_addc_co_u32_e32 v19, vcc, v0, v19, vcc
	global_store_dword v[18:19], v21, off
.LBB103_48:
	s_or_b64 exec, exec, s[0:1]
	;;#ASMSTART
	v_rcp_f32 v18, v21
	;;#ASMEND
	v_mov_b32_e32 v19, v18
	;;#ASMSTART
	v_pk_mul_f32 v[12:13], v[12:13], v[18:19]
	;;#ASMEND
	;;#ASMSTART
	v_pk_mul_f32 v[10:11], v[10:11], v[18:19]
	;;#ASMEND
	;; [unrolled: 3-line block ×4, first 2 shown]
	s_add_i32 s2, s9, 3
	v_cvt_i32_f32_e32 v0, v12
	v_cvt_i32_f32_sdwa v12, v13 dst_sel:BYTE_1 dst_unused:UNUSED_PAD src0_sel:DWORD
	v_cvt_i32_f32_e32 v10, v10
	v_cvt_i32_f32_sdwa v11, v11 dst_sel:BYTE_1 dst_unused:UNUSED_PAD src0_sel:DWORD
	;; [unrolled: 2-line block ×3, first 2 shown]
	;;#ASMSTART
	v_pk_mul_f32 v[6:7], v[16:17], v[18:19]
	;;#ASMEND
	s_load_dwordx2 s[0:1], s[4:5], 0x0
	s_ashr_i32 s3, s2, 31
	v_cvt_i32_f32_e32 v8, v8
	v_cvt_i32_f32_sdwa v9, v9 dst_sel:BYTE_1 dst_unused:UNUSED_PAD src0_sel:DWORD
	v_cvt_i32_f32_e32 v16, v6
	v_cvt_i32_f32_sdwa v17, v7 dst_sel:BYTE_1 dst_unused:UNUSED_PAD src0_sel:DWORD
	;;#ASMSTART
	v_pk_mul_f32 v[6:7], v[14:15], v[18:19]
	;;#ASMEND
	s_lshr_b32 s3, s3, 30
	v_cvt_i32_f32_e32 v6, v6
	v_cvt_i32_f32_sdwa v7, v7 dst_sel:BYTE_1 dst_unused:UNUSED_PAD src0_sel:DWORD
	;;#ASMSTART
	v_pk_mul_f32 v[4:5], v[4:5], v[18:19]
	;;#ASMEND
	s_add_i32 s2, s2, s3
	s_ashr_i32 s3, s10, 31
	v_cvt_i32_f32_e32 v14, v4
	v_cvt_i32_f32_sdwa v5, v5 dst_sel:BYTE_1 dst_unused:UNUSED_PAD src0_sel:DWORD
	;;#ASMSTART
	v_pk_mul_f32 v[2:3], v[2:3], v[18:19]
	;;#ASMEND
	v_cvt_i32_f32_e32 v15, v2
	v_cvt_i32_f32_sdwa v18, v3 dst_sel:BYTE_1 dst_unused:UNUSED_PAD src0_sel:DWORD
	s_mul_hi_u32 s4, s10, s6
	s_mul_i32 s3, s3, s6
	v_or_b32_sdwa v0, v0, v12 dst_sel:DWORD dst_unused:UNUSED_PAD src0_sel:BYTE_0 src1_sel:DWORD
	v_or_b32_sdwa v2, v10, v11 dst_sel:WORD_1 dst_unused:UNUSED_PAD src0_sel:BYTE_0 src1_sel:DWORD
	s_and_b32 s2, s2, -4
	s_add_i32 s4, s4, s3
	s_mul_i32 s3, s10, s6
	v_or_b32_sdwa v2, v0, v2 dst_sel:DWORD dst_unused:UNUSED_PAD src0_sel:WORD_0 src1_sel:DWORD
	v_or_b32_sdwa v0, v8, v9 dst_sel:DWORD dst_unused:UNUSED_PAD src0_sel:BYTE_0 src1_sel:DWORD
	v_or_b32_sdwa v3, v13, v20 dst_sel:WORD_1 dst_unused:UNUSED_PAD src0_sel:BYTE_0 src1_sel:DWORD
	s_waitcnt lgkmcnt(0)
	s_add_u32 s0, s0, s3
	v_or_b32_sdwa v3, v0, v3 dst_sel:DWORD dst_unused:UNUSED_PAD src0_sel:WORD_0 src1_sel:DWORD
	v_or_b32_sdwa v0, v16, v17 dst_sel:DWORD dst_unused:UNUSED_PAD src0_sel:BYTE_0 src1_sel:DWORD
	v_or_b32_sdwa v4, v6, v7 dst_sel:WORD_1 dst_unused:UNUSED_PAD src0_sel:BYTE_0 src1_sel:DWORD
	s_addc_u32 s1, s1, s4
	v_or_b32_sdwa v4, v0, v4 dst_sel:DWORD dst_unused:UNUSED_PAD src0_sel:WORD_0 src1_sel:DWORD
	v_or_b32_sdwa v0, v14, v5 dst_sel:DWORD dst_unused:UNUSED_PAD src0_sel:BYTE_0 src1_sel:DWORD
	v_or_b32_sdwa v5, v15, v18 dst_sel:WORD_1 dst_unused:UNUSED_PAD src0_sel:BYTE_0 src1_sel:DWORD
	s_and_b32 s1, s1, 0xffff
	s_mov_b32 s3, 0x20000
	v_or_b32_sdwa v5, v0, v5 dst_sel:DWORD dst_unused:UNUSED_PAD src0_sel:WORD_0 src1_sel:DWORD
	buffer_store_dwordx4 v[2:5], v1, s[0:3], 0 offen
	;;#ASMSTART
	s_nop 0
	;;#ASMEND
.LBB103_49:
	s_endpgm
.LBB103_50:
                                        ; implicit-def: $vgpr18_vgpr19
	s_branch .LBB103_37
	.section	.rodata,"a",@progbits
	.p2align	6, 0x0
	.amdhsa_kernel _ZN5aiter24add_rmsnorm_quant_kernelIDF16_aLi256ELi16ELb0ELb1ELb0ELi1EEEvPT0_PT_PfS4_S4_S4_diiiiiiib
		.amdhsa_group_segment_fixed_size 32
		.amdhsa_private_segment_fixed_size 0
		.amdhsa_kernarg_size 88
		.amdhsa_user_sgpr_count 6
		.amdhsa_user_sgpr_private_segment_buffer 1
		.amdhsa_user_sgpr_dispatch_ptr 0
		.amdhsa_user_sgpr_queue_ptr 0
		.amdhsa_user_sgpr_kernarg_segment_ptr 1
		.amdhsa_user_sgpr_dispatch_id 0
		.amdhsa_user_sgpr_flat_scratch_init 0
		.amdhsa_user_sgpr_kernarg_preload_length 0
		.amdhsa_user_sgpr_kernarg_preload_offset 0
		.amdhsa_user_sgpr_private_segment_size 0
		.amdhsa_uses_dynamic_stack 0
		.amdhsa_system_sgpr_private_segment_wavefront_offset 0
		.amdhsa_system_sgpr_workgroup_id_x 1
		.amdhsa_system_sgpr_workgroup_id_y 0
		.amdhsa_system_sgpr_workgroup_id_z 0
		.amdhsa_system_sgpr_workgroup_info 0
		.amdhsa_system_vgpr_workitem_id 0
		.amdhsa_next_free_vgpr 43
		.amdhsa_next_free_sgpr 34
		.amdhsa_accum_offset 44
		.amdhsa_reserve_vcc 1
		.amdhsa_reserve_flat_scratch 0
		.amdhsa_float_round_mode_32 0
		.amdhsa_float_round_mode_16_64 0
		.amdhsa_float_denorm_mode_32 3
		.amdhsa_float_denorm_mode_16_64 3
		.amdhsa_dx10_clamp 1
		.amdhsa_ieee_mode 1
		.amdhsa_fp16_overflow 0
		.amdhsa_tg_split 0
		.amdhsa_exception_fp_ieee_invalid_op 0
		.amdhsa_exception_fp_denorm_src 0
		.amdhsa_exception_fp_ieee_div_zero 0
		.amdhsa_exception_fp_ieee_overflow 0
		.amdhsa_exception_fp_ieee_underflow 0
		.amdhsa_exception_fp_ieee_inexact 0
		.amdhsa_exception_int_div_zero 0
	.end_amdhsa_kernel
	.section	.text._ZN5aiter24add_rmsnorm_quant_kernelIDF16_aLi256ELi16ELb0ELb1ELb0ELi1EEEvPT0_PT_PfS4_S4_S4_diiiiiiib,"axG",@progbits,_ZN5aiter24add_rmsnorm_quant_kernelIDF16_aLi256ELi16ELb0ELb1ELb0ELi1EEEvPT0_PT_PfS4_S4_S4_diiiiiiib,comdat
.Lfunc_end103:
	.size	_ZN5aiter24add_rmsnorm_quant_kernelIDF16_aLi256ELi16ELb0ELb1ELb0ELi1EEEvPT0_PT_PfS4_S4_S4_diiiiiiib, .Lfunc_end103-_ZN5aiter24add_rmsnorm_quant_kernelIDF16_aLi256ELi16ELb0ELb1ELb0ELi1EEEvPT0_PT_PfS4_S4_S4_diiiiiiib
                                        ; -- End function
	.section	.AMDGPU.csdata,"",@progbits
; Kernel info:
; codeLenInByte = 3536
; NumSgprs: 38
; NumVgprs: 43
; NumAgprs: 0
; TotalNumVgprs: 43
; ScratchSize: 0
; MemoryBound: 0
; FloatMode: 240
; IeeeMode: 1
; LDSByteSize: 32 bytes/workgroup (compile time only)
; SGPRBlocks: 4
; VGPRBlocks: 5
; NumSGPRsForWavesPerEU: 38
; NumVGPRsForWavesPerEU: 43
; AccumOffset: 44
; Occupancy: 8
; WaveLimiterHint : 0
; COMPUTE_PGM_RSRC2:SCRATCH_EN: 0
; COMPUTE_PGM_RSRC2:USER_SGPR: 6
; COMPUTE_PGM_RSRC2:TRAP_HANDLER: 0
; COMPUTE_PGM_RSRC2:TGID_X_EN: 1
; COMPUTE_PGM_RSRC2:TGID_Y_EN: 0
; COMPUTE_PGM_RSRC2:TGID_Z_EN: 0
; COMPUTE_PGM_RSRC2:TIDIG_COMP_CNT: 0
; COMPUTE_PGM_RSRC3_GFX90A:ACCUM_OFFSET: 10
; COMPUTE_PGM_RSRC3_GFX90A:TG_SPLIT: 0
	.section	.text._ZN5aiter24add_rmsnorm_quant_kernelItaLi256ELi16ELb0ELb1ELb0ELi1EEEvPT0_PT_PfS4_S4_S4_diiiiiiib,"axG",@progbits,_ZN5aiter24add_rmsnorm_quant_kernelItaLi256ELi16ELb0ELb1ELb0ELi1EEEvPT0_PT_PfS4_S4_S4_diiiiiiib,comdat
	.protected	_ZN5aiter24add_rmsnorm_quant_kernelItaLi256ELi16ELb0ELb1ELb0ELi1EEEvPT0_PT_PfS4_S4_S4_diiiiiiib ; -- Begin function _ZN5aiter24add_rmsnorm_quant_kernelItaLi256ELi16ELb0ELb1ELb0ELi1EEEvPT0_PT_PfS4_S4_S4_diiiiiiib
	.globl	_ZN5aiter24add_rmsnorm_quant_kernelItaLi256ELi16ELb0ELb1ELb0ELi1EEEvPT0_PT_PfS4_S4_S4_diiiiiiib
	.p2align	8
	.type	_ZN5aiter24add_rmsnorm_quant_kernelItaLi256ELi16ELb0ELb1ELb0ELi1EEEvPT0_PT_PfS4_S4_S4_diiiiiiib,@function
_ZN5aiter24add_rmsnorm_quant_kernelItaLi256ELi16ELb0ELb1ELb0ELi1EEEvPT0_PT_PfS4_S4_S4_diiiiiiib: ; @_ZN5aiter24add_rmsnorm_quant_kernelItaLi256ELi16ELb0ELb1ELb0ELi1EEEvPT0_PT_PfS4_S4_S4_diiiiiiib
; %bb.0:
	s_load_dwordx4 s[8:11], s[4:5], 0x38
	s_mov_b32 s7, 0
	s_waitcnt lgkmcnt(0)
	s_ashr_i32 s0, s8, 31
	v_mov_b32_e32 v2, s8
	v_mov_b32_e32 v3, s0
	v_cmp_ge_i64_e32 vcc, s[6:7], v[2:3]
	s_cbranch_vccnz .LBB104_49
; %bb.1:
	s_load_dwordx4 s[12:15], s[4:5], 0x10
	s_load_dwordx4 s[0:3], s[4:5], 0x28
	s_ashr_i32 s11, s10, 31
	s_mul_hi_u32 s16, s10, s6
	s_mul_i32 s11, s11, s6
	s_add_i32 s11, s16, s11
	s_mul_i32 s10, s10, s6
	s_lshl_b64 s[10:11], s[10:11], 1
	s_waitcnt lgkmcnt(0)
	s_add_u32 s16, s14, s10
	s_addc_u32 s10, s15, s11
	s_add_i32 s11, s9, 1
	s_lshr_b32 s14, s11, 31
	s_add_i32 s11, s11, s14
	s_lshl_b32 s11, s11, 1
	s_and_b32 s18, s11, -4
	s_and_b32 s17, s10, 0xffff
	s_mov_b32 s19, 0x20000
	v_lshlrev_b32_e32 v1, 5, v0
	buffer_load_dwordx4 v[10:13], v1, s[16:19], 0 offen
	buffer_load_dwordx4 v[26:29], v1, s[16:19], 16 offen
	s_mov_b32 s16, s0
	s_and_b32 s17, s1, 0xffff
	buffer_load_dwordx4 v[6:9], v1, s[16:19], 0 offen
	buffer_load_dwordx4 v[2:5], v1, s[16:19], 16 offen
	v_and_b32_e32 v42, 63, v0
	v_cmp_eq_u32_e64 s[0:1], 63, v42
	s_waitcnt vmcnt(3)
	v_cvt_f32_u32_sdwa v25, v10 dst_sel:DWORD dst_unused:UNUSED_PAD src0_sel:WORD_1
	v_cvt_f32_u32_sdwa v24, v10 dst_sel:DWORD dst_unused:UNUSED_PAD src0_sel:WORD_0
	v_cvt_f32_u32_sdwa v23, v11 dst_sel:DWORD dst_unused:UNUSED_PAD src0_sel:WORD_1
	v_cvt_f32_u32_sdwa v22, v11 dst_sel:DWORD dst_unused:UNUSED_PAD src0_sel:WORD_0
	;; [unrolled: 2-line block ×3, first 2 shown]
	s_waitcnt vmcnt(2)
	v_cvt_f32_u32_sdwa v17, v26 dst_sel:DWORD dst_unused:UNUSED_PAD src0_sel:WORD_1
	v_cvt_f32_u32_sdwa v16, v26 dst_sel:DWORD dst_unused:UNUSED_PAD src0_sel:WORD_0
	v_cvt_f32_u32_sdwa v15, v27 dst_sel:DWORD dst_unused:UNUSED_PAD src0_sel:WORD_1
	v_cvt_f32_u32_sdwa v14, v27 dst_sel:DWORD dst_unused:UNUSED_PAD src0_sel:WORD_0
	v_pk_mul_f32 v[26:27], v[24:25], v[24:25]
	v_cvt_f32_u32_sdwa v19, v13 dst_sel:DWORD dst_unused:UNUSED_PAD src0_sel:WORD_1
	v_cvt_f32_u32_sdwa v18, v13 dst_sel:DWORD dst_unused:UNUSED_PAD src0_sel:WORD_0
	v_cvt_f32_u32_sdwa v13, v28 dst_sel:DWORD dst_unused:UNUSED_PAD src0_sel:WORD_1
	v_cvt_f32_u32_sdwa v12, v28 dst_sel:DWORD dst_unused:UNUSED_PAD src0_sel:WORD_0
	;; [unrolled: 2-line block ×3, first 2 shown]
	v_pk_mul_f32 v[28:29], v[22:23], v[22:23]
	v_add_f32_e32 v1, v26, v27
	v_add_f32_e32 v1, v28, v1
	v_pk_mul_f32 v[30:31], v[20:21], v[20:21]
	v_add_f32_e32 v1, v29, v1
	v_add_f32_e32 v1, v30, v1
	;; [unrolled: 3-line block ×7, first 2 shown]
	v_add_f32_e32 v1, v41, v1
	s_nop 1
	v_mov_b32_dpp v26, v1 quad_perm:[1,0,3,2] row_mask:0xf bank_mask:0xf
	v_add_f32_e32 v1, v1, v26
	s_nop 1
	v_mov_b32_dpp v26, v1 quad_perm:[2,3,0,1] row_mask:0xf bank_mask:0xf
	v_add_f32_e32 v1, v1, v26
	s_nop 1
	v_mov_b32_dpp v26, v1 row_half_mirror row_mask:0xf bank_mask:0xf
	v_add_f32_e32 v1, v1, v26
	s_nop 1
	v_mov_b32_dpp v26, v1 row_mirror row_mask:0xf bank_mask:0xf
	v_add_f32_e32 v1, v1, v26
	s_nop 1
	v_mov_b32_dpp v26, v1 row_bcast:15 row_mask:0xf bank_mask:0xf
	v_add_f32_e32 v1, v1, v26
	s_nop 1
	v_mov_b32_dpp v26, v1 row_bcast:31 row_mask:0xf bank_mask:0xf
	s_and_saveexec_b64 s[10:11], s[0:1]
	s_cbranch_execz .LBB104_3
; %bb.2:
	v_lshrrev_b32_e32 v27, 4, v0
	v_and_b32_e32 v27, 60, v27
	v_add_f32_e32 v1, v1, v26
	ds_write_b32 v27, v1 offset:16
.LBB104_3:
	s_or_b64 exec, exec, s[10:11]
	v_and_b32_e32 v1, 3, v0
	v_lshlrev_b32_e32 v26, 2, v1
	s_waitcnt lgkmcnt(0)
	s_barrier
	ds_read_b32 v1, v26 offset:16
	v_cvt_f32_i32_e32 v27, s9
	s_waitcnt vmcnt(1)
	v_cvt_f32_u32_sdwa v33, v7 dst_sel:DWORD dst_unused:UNUSED_PAD src0_sel:WORD_1
	v_cvt_f32_u32_sdwa v35, v9 dst_sel:DWORD dst_unused:UNUSED_PAD src0_sel:WORD_1
	v_cvt_f32_u32_sdwa v34, v9 dst_sel:DWORD dst_unused:UNUSED_PAD src0_sel:WORD_0
	s_waitcnt lgkmcnt(0)
	v_mov_b32_dpp v28, v1 quad_perm:[1,0,3,2] row_mask:0xf bank_mask:0xf
	v_add_f32_e32 v1, v1, v28
	s_nop 1
	v_mov_b32_dpp v28, v1 quad_perm:[2,3,0,1] row_mask:0xf bank_mask:0xf
	v_add_f32_e32 v1, v1, v28
	v_div_scale_f32 v28, s[10:11], v27, v27, v1
	v_rcp_f32_e32 v29, v28
	v_div_scale_f32 v30, vcc, v1, v27, v1
	s_load_dwordx2 s[10:11], s[4:5], 0x4c
	s_load_dword s14, s[4:5], 0x54
	v_fma_f32 v31, -v28, v29, 1.0
	v_fmac_f32_e32 v29, v31, v29
	v_mul_f32_e32 v31, v30, v29
	v_fma_f32 v32, -v28, v31, v30
	v_fmac_f32_e32 v31, v32, v29
	v_fma_f32 v28, -v28, v31, v30
	v_div_fmas_f32 v28, v28, v29, v31
	v_div_fixup_f32 v1, v28, v27, v1
	v_cvt_f64_f32_e32 v[28:29], v1
	v_add_f64 v[28:29], v[28:29], s[2:3]
	v_cvt_f32_f64_e32 v1, v[28:29]
	s_mov_b32 s2, 0x800000
	v_mul_f32_e32 v27, 0x4b800000, v1
	v_cmp_gt_f32_e32 vcc, s2, v1
	v_cndmask_b32_e32 v1, v1, v27, vcc
	v_rsq_f32_e32 v27, v1
	v_cvt_f32_u32_sdwa v32, v7 dst_sel:DWORD dst_unused:UNUSED_PAD src0_sel:WORD_0
	v_cvt_f32_u32_sdwa v7, v8 dst_sel:DWORD dst_unused:UNUSED_PAD src0_sel:WORD_1
	v_lshlrev_b32_e32 v1, 4, v0
	v_mul_f32_e32 v28, 0x45800000, v27
	v_cndmask_b32_e32 v28, v27, v28, vcc
	v_mov_b32_e32 v29, v28
	;;#ASMSTART
	v_pk_mul_f32 v[24:25], v[24:25], v[28:29]
	;;#ASMEND
	;;#ASMSTART
	v_pk_mul_f32 v[22:23], v[22:23], v[28:29]
	;;#ASMEND
	;; [unrolled: 3-line block ×8, first 2 shown]
	v_cvt_f32_u32_sdwa v11, v6 dst_sel:DWORD dst_unused:UNUSED_PAD src0_sel:WORD_1
	v_cvt_f32_u32_sdwa v10, v6 dst_sel:DWORD dst_unused:UNUSED_PAD src0_sel:WORD_0
	v_cvt_f32_u32_sdwa v6, v8 dst_sel:DWORD dst_unused:UNUSED_PAD src0_sel:WORD_0
	;;#ASMSTART
	v_pk_mul_f32 v[12:13], v[24:25], v[10:11]
	;;#ASMEND
	;;#ASMSTART
	v_pk_mul_f32 v[10:11], v[22:23], v[32:33]
	;;#ASMEND
	;; [unrolled: 3-line block ×4, first 2 shown]
	s_waitcnt vmcnt(0)
	v_cvt_f32_u32_sdwa v18, v2 dst_sel:DWORD dst_unused:UNUSED_PAD src0_sel:WORD_0
	v_cvt_f32_u32_sdwa v20, v3 dst_sel:DWORD dst_unused:UNUSED_PAD src0_sel:WORD_0
	v_cvt_f32_u32_sdwa v19, v2 dst_sel:DWORD dst_unused:UNUSED_PAD src0_sel:WORD_1
	v_cvt_f32_u32_sdwa v21, v3 dst_sel:DWORD dst_unused:UNUSED_PAD src0_sel:WORD_1
	;; [unrolled: 1-line block ×3, first 2 shown]
	v_cvt_f32_u32_sdwa v2, v4 dst_sel:DWORD dst_unused:UNUSED_PAD src0_sel:WORD_0
	;;#ASMSTART
	v_pk_mul_f32 v[16:17], v[16:17], v[18:19]
	;;#ASMEND
	;;#ASMSTART
	v_pk_mul_f32 v[14:15], v[14:15], v[20:21]
	;;#ASMEND
	v_and_b32_e32 v18, 0x7fffffff, v12
	v_mov_b32_e32 v20, 0x2edbe6ff
	v_cvt_f32_u32_sdwa v23, v5 dst_sel:DWORD dst_unused:UNUSED_PAD src0_sel:WORD_1
	v_cvt_f32_u32_sdwa v22, v5 dst_sel:DWORD dst_unused:UNUSED_PAD src0_sel:WORD_0
	;;#ASMSTART
	v_pk_mul_f32 v[4:5], v[30:31], v[2:3]
	;;#ASMEND
	;;#ASMSTART
	v_pk_mul_f32 v[2:3], v[28:29], v[22:23]
	;;#ASMEND
	v_and_b32_e32 v19, 0x7fffffff, v13
	;;#ASMSTART
	v_max3_f32 v18, v20, v18, v19

	;;#ASMEND
	v_and_b32_e32 v20, 0x7fffffff, v11
	v_and_b32_e32 v19, 0x7fffffff, v10
	;;#ASMSTART
	v_max3_f32 v18, v18, v19, v20

	;;#ASMEND
	v_and_b32_e32 v20, 0x7fffffff, v9
	;; [unrolled: 6-line block ×7, first 2 shown]
	s_waitcnt lgkmcnt(0)
	s_cmp_lg_u32 s11, 0
	v_and_b32_e32 v19, 0x7fffffff, v2
	;;#ASMSTART
	v_max3_f32 v20, v18, v19, v20

	;;#ASMEND
	s_cbranch_scc0 .LBB104_10
; %bb.4:
	s_ashr_i32 s15, s11, 31
	s_lshr_b32 s2, s15, 28
	s_add_i32 s2, s11, s2
	s_ashr_i32 s18, s2, 4
	s_cmp_lt_i32 s18, 16
	s_cbranch_scc1 .LBB104_11
; %bb.5:
	s_cmp_lt_i32 s18, 32
	s_cbranch_scc1 .LBB104_12
; %bb.6:
	;; [unrolled: 3-line block ×3, first 2 shown]
	s_cmp_eq_u32 s18, 64
	v_mov_b32_e32 v18, v20
	s_cbranch_scc0 .LBB104_9
; %bb.8:
	s_nop 0
	v_mov_b32_dpp v18, v20 quad_perm:[1,0,3,2] row_mask:0xf bank_mask:0xf
	v_cmp_gt_f32_e32 vcc, v20, v18
	v_cndmask_b32_e32 v18, v18, v20, vcc
	v_bfrev_b32_e32 v21, 0.5
	s_nop 0
	v_mov_b32_dpp v19, v18 quad_perm:[2,3,0,1] row_mask:0xf bank_mask:0xf
	v_cmp_gt_f32_e32 vcc, v18, v19
	v_cndmask_b32_e32 v18, v19, v18, vcc
	s_nop 1
	v_mov_b32_dpp v19, v18 row_ror:4 row_mask:0xf bank_mask:0xf
	v_cmp_gt_f32_e32 vcc, v18, v19
	v_cndmask_b32_e32 v18, v19, v18, vcc
	s_nop 1
	v_mov_b32_dpp v19, v18 row_ror:8 row_mask:0xf bank_mask:0xf
	v_cmp_gt_f32_e32 vcc, v18, v19
	v_cndmask_b32_e32 v18, v19, v18, vcc
	s_nop 1
	v_mov_b32_dpp v19, v18 row_bcast:15 row_mask:0xf bank_mask:0xf
	v_cmp_gt_f32_e32 vcc, v18, v19
	v_cndmask_b32_e32 v18, v19, v18, vcc
	s_nop 1
	v_mov_b32_dpp v19, v18 row_bcast:31 row_mask:0xf bank_mask:0xf
	v_cmp_gt_f32_e32 vcc, v18, v19
	v_cndmask_b32_e32 v18, v19, v18, vcc
	v_mbcnt_lo_u32_b32 v19, -1, 0
	v_mbcnt_hi_u32_b32 v19, -1, v19
	v_lshl_or_b32 v19, v19, 2, v21
	ds_bpermute_b32 v18, v19, v18
.LBB104_9:
	s_mov_b64 s[2:3], 0
	s_branch .LBB104_14
.LBB104_10:
	s_mov_b64 s[2:3], 0
                                        ; implicit-def: $vgpr21
                                        ; implicit-def: $vgpr18_vgpr19
	s_cbranch_execnz .LBB104_43
	s_branch .LBB104_46
.LBB104_11:
                                        ; implicit-def: $vgpr18
	s_branch .LBB104_21
.LBB104_12:
                                        ; implicit-def: $vgpr18
	s_branch .LBB104_18
.LBB104_13:
	s_mov_b64 s[2:3], -1
                                        ; implicit-def: $vgpr18
.LBB104_14:
	s_andn2_b64 vcc, exec, s[2:3]
	s_cbranch_vccnz .LBB104_17
; %bb.15:
	s_cmp_eq_u32 s18, 32
	s_waitcnt lgkmcnt(0)
	v_mov_b32_e32 v18, v20
	s_cbranch_scc0 .LBB104_17
; %bb.16:
	s_nop 0
	v_mov_b32_dpp v18, v20 quad_perm:[1,0,3,2] row_mask:0xf bank_mask:0xf
	v_cmp_gt_f32_e32 vcc, v20, v18
	v_cndmask_b32_e32 v18, v18, v20, vcc
	v_mov_b32_e32 v21, 0x7c
	s_nop 0
	v_mov_b32_dpp v19, v18 quad_perm:[2,3,0,1] row_mask:0xf bank_mask:0xf
	v_cmp_gt_f32_e32 vcc, v18, v19
	v_cndmask_b32_e32 v18, v19, v18, vcc
	s_nop 1
	v_mov_b32_dpp v19, v18 row_half_mirror row_mask:0xf bank_mask:0xf
	v_cmp_gt_f32_e32 vcc, v18, v19
	v_cndmask_b32_e32 v18, v19, v18, vcc
	s_nop 1
	v_mov_b32_dpp v19, v18 row_mirror row_mask:0xf bank_mask:0xf
	v_cmp_gt_f32_e32 vcc, v18, v19
	v_cndmask_b32_e32 v18, v19, v18, vcc
	s_nop 1
	v_mov_b32_dpp v19, v18 row_bcast:15 row_mask:0xa bank_mask:0xf
	v_cmp_gt_f32_e32 vcc, v18, v19
	v_cndmask_b32_e32 v18, v19, v18, vcc
	v_mbcnt_lo_u32_b32 v19, -1, 0
	v_mbcnt_hi_u32_b32 v19, -1, v19
	v_lshl_or_b32 v19, v19, 2, v21
	ds_bpermute_b32 v18, v19, v18
.LBB104_17:
	s_cbranch_execnz .LBB104_20
.LBB104_18:
	s_cmp_eq_u32 s18, 16
	s_waitcnt lgkmcnt(0)
	v_mov_b32_e32 v18, v20
	s_cbranch_scc0 .LBB104_20
; %bb.19:
	s_nop 0
	v_mov_b32_dpp v18, v20 quad_perm:[1,0,3,2] row_mask:0xf bank_mask:0xf
	v_cmp_gt_f32_e32 vcc, v20, v18
	v_cndmask_b32_e32 v18, v18, v20, vcc
	s_nop 1
	v_mov_b32_dpp v19, v18 quad_perm:[2,3,0,1] row_mask:0xf bank_mask:0xf
	v_cmp_gt_f32_e32 vcc, v18, v19
	v_cndmask_b32_e32 v18, v19, v18, vcc
	s_nop 1
	v_mov_b32_dpp v19, v18 row_half_mirror row_mask:0xf bank_mask:0xf
	v_cmp_gt_f32_e32 vcc, v18, v19
	v_cndmask_b32_e32 v18, v19, v18, vcc
	s_nop 1
	v_mov_b32_dpp v19, v18 row_mirror row_mask:0xf bank_mask:0xf
	v_cmp_gt_f32_e32 vcc, v18, v19
	v_cndmask_b32_e32 v18, v19, v18, vcc
.LBB104_20:
	s_cbranch_execnz .LBB104_33
.LBB104_21:
	s_cmp_lt_i32 s18, 4
	s_cbranch_scc1 .LBB104_25
; %bb.22:
	s_cmp_lt_i32 s18, 8
	s_cbranch_scc1 .LBB104_26
; %bb.23:
	s_cmp_eq_u32 s18, 8
	s_waitcnt lgkmcnt(0)
	v_mov_b32_e32 v18, v20
	s_cbranch_scc0 .LBB104_27
; %bb.24:
	s_nop 0
	v_mov_b32_dpp v18, v20 quad_perm:[1,0,3,2] row_mask:0xf bank_mask:0xf
	v_cmp_gt_f32_e32 vcc, v20, v18
	v_cndmask_b32_e32 v18, v18, v20, vcc
	s_nop 1
	v_mov_b32_dpp v19, v18 quad_perm:[2,3,0,1] row_mask:0xf bank_mask:0xf
	v_cmp_gt_f32_e32 vcc, v18, v19
	v_cndmask_b32_e32 v18, v19, v18, vcc
	s_nop 1
	v_mov_b32_dpp v19, v18 row_half_mirror row_mask:0xf bank_mask:0xf
	v_cmp_gt_f32_e32 vcc, v18, v19
	v_cndmask_b32_e32 v18, v19, v18, vcc
	s_cbranch_execz .LBB104_28
	s_branch .LBB104_30
.LBB104_25:
                                        ; implicit-def: $vgpr18
	s_branch .LBB104_31
.LBB104_26:
                                        ; implicit-def: $vgpr18
	s_branch .LBB104_28
.LBB104_27:
	s_cbranch_execnz .LBB104_30
.LBB104_28:
	s_cmp_eq_u32 s18, 4
	s_waitcnt lgkmcnt(0)
	v_mov_b32_e32 v18, v20
	s_cbranch_scc0 .LBB104_30
; %bb.29:
	s_nop 0
	v_mov_b32_dpp v18, v20 quad_perm:[1,0,3,2] row_mask:0xf bank_mask:0xf
	v_cmp_gt_f32_e32 vcc, v20, v18
	v_cndmask_b32_e32 v18, v18, v20, vcc
	s_nop 1
	v_mov_b32_dpp v19, v18 quad_perm:[2,3,0,1] row_mask:0xf bank_mask:0xf
	v_cmp_gt_f32_e32 vcc, v18, v19
	v_cndmask_b32_e32 v18, v19, v18, vcc
.LBB104_30:
	s_cbranch_execnz .LBB104_33
.LBB104_31:
	s_cmp_lg_u32 s18, 2
	s_waitcnt lgkmcnt(0)
	v_mov_b32_e32 v18, v20
	s_cbranch_scc1 .LBB104_33
; %bb.32:
	s_nop 0
	v_mov_b32_dpp v18, v20 quad_perm:[1,0,3,2] row_mask:0xf bank_mask:0xf
	v_cmp_gt_f32_e32 vcc, v20, v18
	v_cndmask_b32_e32 v18, v18, v20, vcc
.LBB104_33:
	v_cvt_f32_u32_e32 v19, s18
	s_waitcnt lgkmcnt(0)
	v_mul_f32_e32 v21, 0x3c010204, v18
	s_sub_i32 s2, 0, s18
	v_cmp_gt_u32_e32 vcc, s9, v1
	v_rcp_iflag_f32_e32 v19, v19
	s_mov_b64 s[16:17], 0
	v_mul_f32_e32 v18, 0x4f7ffffe, v19
	v_cvt_u32_f32_e32 v18, v18
	v_mul_lo_u32 v19, s2, v18
	v_mul_hi_u32 v19, v18, v19
	v_add_u32_e32 v18, v18, v19
	v_mul_hi_u32 v18, v0, v18
	v_mul_lo_u32 v19, v18, s18
	v_sub_u32_e32 v19, v0, v19
	v_add_u32_e32 v22, 1, v18
	v_cmp_le_u32_e64 s[2:3], s18, v19
	v_cndmask_b32_e64 v18, v18, v22, s[2:3]
	v_subrev_u32_e32 v22, s18, v19
	v_cndmask_b32_e64 v19, v19, v22, s[2:3]
	v_add_u32_e32 v22, 1, v18
	v_cmp_le_u32_e64 s[2:3], s18, v19
	v_cndmask_b32_e64 v22, v18, v22, s[2:3]
	v_mul_lo_u32 v18, v22, s18
	v_sub_u32_e32 v18, v0, v18
	v_cmp_eq_u32_e64 s[2:3], 0, v18
	s_and_b64 s[18:19], s[2:3], vcc
	s_mov_b64 s[2:3], 0
                                        ; implicit-def: $vgpr18_vgpr19
	s_and_saveexec_b64 s[20:21], s[18:19]
	s_xor_b64 s[18:19], exec, s[20:21]
	s_cbranch_execz .LBB104_42
; %bb.34:
	s_bitcmp0_b32 s14, 0
	s_cbranch_scc0 .LBB104_39
; %bb.35:
	s_ashr_i32 s2, s9, 31
	s_mul_hi_u32 s3, s9, s6
	s_mul_i32 s2, s2, s6
	s_add_i32 s21, s3, s2
	s_mul_i32 s20, s9, s6
	s_mov_b32 s14, s11
	s_or_b64 s[2:3], s[20:21], s[14:15]
	s_mov_b32 s2, 0
	s_cmp_lg_u64 s[2:3], 0
	s_cbranch_scc0 .LBB104_50
; %bb.36:
	s_add_u32 s2, s14, s15
	s_mov_b32 s24, s15
	s_mov_b32 s25, s15
	s_addc_u32 s3, s15, s15
	s_xor_b64 s[26:27], s[2:3], s[24:25]
	v_cvt_f32_u32_e32 v18, s26
	v_cvt_f32_u32_e32 v19, s27
	s_sub_u32 s2, 0, s26
	s_subb_u32 s3, 0, s27
	v_madmk_f32 v18, v19, 0x4f800000, v18
	v_rcp_f32_e32 v18, v18
	v_mul_f32_e32 v18, 0x5f7ffffc, v18
	v_mul_f32_e32 v19, 0x2f800000, v18
	v_trunc_f32_e32 v19, v19
	v_madmk_f32 v18, v19, 0xcf800000, v18
	v_cvt_u32_f32_e32 v19, v19
	v_cvt_u32_f32_e32 v18, v18
	v_readfirstlane_b32 s11, v19
	v_readfirstlane_b32 s15, v18
	s_mul_i32 s28, s2, s11
	s_mul_hi_u32 s30, s2, s15
	s_mul_i32 s29, s3, s15
	s_add_i32 s28, s30, s28
	s_add_i32 s28, s28, s29
	s_mul_i32 s31, s2, s15
	s_mul_hi_u32 s29, s15, s28
	s_mul_i32 s30, s15, s28
	s_mul_hi_u32 s15, s15, s31
	s_add_u32 s15, s15, s30
	s_addc_u32 s29, 0, s29
	s_mul_hi_u32 s33, s11, s31
	s_mul_i32 s31, s11, s31
	s_add_u32 s15, s15, s31
	s_mul_hi_u32 s30, s11, s28
	s_addc_u32 s15, s29, s33
	s_addc_u32 s29, s30, 0
	s_mul_i32 s28, s11, s28
	s_add_u32 s15, s15, s28
	s_addc_u32 s28, 0, s29
	v_add_co_u32_e32 v18, vcc, s15, v18
	s_cmp_lg_u64 vcc, 0
	s_addc_u32 s11, s11, s28
	v_readfirstlane_b32 s28, v18
	s_mul_i32 s15, s2, s11
	s_mul_hi_u32 s29, s2, s28
	s_add_i32 s15, s29, s15
	s_mul_i32 s3, s3, s28
	s_add_i32 s15, s15, s3
	s_mul_i32 s2, s2, s28
	s_mul_hi_u32 s29, s11, s2
	s_mul_i32 s30, s11, s2
	s_mul_i32 s33, s28, s15
	s_mul_hi_u32 s2, s28, s2
	s_mul_hi_u32 s31, s28, s15
	s_add_u32 s2, s2, s33
	s_addc_u32 s28, 0, s31
	s_add_u32 s2, s2, s30
	s_mul_hi_u32 s3, s11, s15
	s_addc_u32 s2, s28, s29
	s_addc_u32 s3, s3, 0
	s_mul_i32 s15, s11, s15
	s_add_u32 s2, s2, s15
	s_addc_u32 s3, 0, s3
	v_add_co_u32_e32 v18, vcc, s2, v18
	s_cmp_lg_u64 vcc, 0
	s_addc_u32 s11, s11, s3
	s_ashr_i32 s28, s21, 31
	s_add_u32 s2, s20, s28
	s_mov_b32 s29, s28
	s_addc_u32 s3, s21, s28
	s_xor_b64 s[30:31], s[2:3], s[28:29]
	v_readfirstlane_b32 s15, v18
	s_mul_i32 s3, s30, s11
	s_mul_hi_u32 s21, s30, s15
	s_mul_hi_u32 s2, s30, s11
	s_add_u32 s3, s21, s3
	s_addc_u32 s2, 0, s2
	s_mul_hi_u32 s33, s31, s15
	s_mul_i32 s15, s31, s15
	s_add_u32 s3, s3, s15
	s_mul_hi_u32 s21, s31, s11
	s_addc_u32 s2, s2, s33
	s_addc_u32 s3, s21, 0
	s_mul_i32 s11, s31, s11
	s_add_u32 s11, s2, s11
	s_addc_u32 s15, 0, s3
	s_mul_i32 s2, s26, s15
	s_mul_hi_u32 s3, s26, s11
	s_add_i32 s2, s3, s2
	s_mul_i32 s3, s27, s11
	s_add_i32 s21, s2, s3
	s_mul_i32 s3, s26, s11
	v_mov_b32_e32 v18, s3
	s_sub_i32 s2, s31, s21
	v_sub_co_u32_e32 v18, vcc, s30, v18
	s_cmp_lg_u64 vcc, 0
	s_subb_u32 s30, s2, s27
	v_subrev_co_u32_e64 v19, s[2:3], s26, v18
	s_cmp_lg_u64 s[2:3], 0
	s_subb_u32 s30, s30, 0
	s_cmp_ge_u32 s30, s27
	s_cselect_b32 s33, -1, 0
	v_cmp_le_u32_e64 s[2:3], s26, v19
	s_cmp_eq_u32 s30, s27
	v_cndmask_b32_e64 v19, 0, -1, s[2:3]
	v_mov_b32_e32 v23, s33
	s_cselect_b64 s[2:3], -1, 0
	v_cndmask_b32_e64 v19, v23, v19, s[2:3]
	s_add_u32 s2, s11, 1
	s_addc_u32 s30, s15, 0
	s_add_u32 s3, s11, 2
	s_addc_u32 s33, s15, 0
	v_mov_b32_e32 v23, s2
	v_mov_b32_e32 v24, s3
	v_cmp_ne_u32_e64 s[2:3], 0, v19
	v_cndmask_b32_e64 v19, v23, v24, s[2:3]
	v_mov_b32_e32 v23, s30
	v_mov_b32_e32 v24, s33
	s_cmp_lg_u64 vcc, 0
	v_cndmask_b32_e64 v23, v23, v24, s[2:3]
	s_subb_u32 s2, s31, s21
	s_cmp_ge_u32 s2, s27
	s_cselect_b32 s3, -1, 0
	v_cmp_le_u32_e32 vcc, s26, v18
	s_cmp_eq_u32 s2, s27
	v_cndmask_b32_e64 v18, 0, -1, vcc
	v_mov_b32_e32 v24, s3
	s_cselect_b64 vcc, -1, 0
	v_cndmask_b32_e32 v18, v24, v18, vcc
	v_mov_b32_e32 v24, s15
	v_cmp_ne_u32_e32 vcc, 0, v18
	v_cndmask_b32_e32 v18, v24, v23, vcc
	v_mov_b32_e32 v23, s11
	v_cndmask_b32_e32 v19, v23, v19, vcc
	s_xor_b64 s[2:3], s[28:29], s[24:25]
	v_xor_b32_e32 v19, s2, v19
	v_xor_b32_e32 v23, s3, v18
	v_mov_b32_e32 v24, s3
	v_subrev_co_u32_e32 v18, vcc, s2, v19
	v_subb_co_u32_e32 v19, vcc, v23, v24, vcc
	s_cbranch_execnz .LBB104_38
.LBB104_37:
	v_cvt_f32_u32_e32 v18, s14
	s_sub_i32 s2, 0, s14
	s_mov_b32 s3, 0
	v_rcp_iflag_f32_e32 v18, v18
	v_mul_f32_e32 v18, 0x4f7ffffe, v18
	v_cvt_u32_f32_e32 v18, v18
	v_readfirstlane_b32 s11, v18
	s_mul_i32 s2, s2, s11
	s_mul_hi_u32 s2, s11, s2
	s_add_i32 s11, s11, s2
	s_mul_hi_u32 s2, s20, s11
	s_mul_i32 s15, s2, s14
	s_sub_i32 s15, s20, s15
	s_add_i32 s11, s2, 1
	s_sub_i32 s20, s15, s14
	s_cmp_ge_u32 s15, s14
	s_cselect_b32 s2, s11, s2
	s_cselect_b32 s15, s20, s15
	s_add_i32 s11, s2, 1
	s_cmp_ge_u32 s15, s14
	s_cselect_b32 s2, s11, s2
	v_pk_mov_b32 v[18:19], s[2:3], s[2:3] op_sel:[0,1]
.LBB104_38:
	v_add_co_u32_e32 v18, vcc, v18, v22
	v_addc_co_u32_e32 v19, vcc, 0, v19, vcc
	s_branch .LBB104_41
.LBB104_39:
                                        ; implicit-def: $vgpr18_vgpr19
	s_cbranch_execz .LBB104_41
; %bb.40:
	v_mul_lo_u32 v18, v22, s8
	v_ashrrev_i32_e32 v19, 31, v18
	v_mov_b32_e32 v22, s7
	v_add_co_u32_e32 v18, vcc, s6, v18
	v_addc_co_u32_e32 v19, vcc, v19, v22, vcc
.LBB104_41:
	s_mov_b64 s[2:3], exec
.LBB104_42:
	s_or_b64 exec, exec, s[18:19]
	s_and_b64 vcc, exec, s[16:17]
	s_cbranch_vccz .LBB104_46
.LBB104_43:
	v_mov_b32_dpp v18, v20 quad_perm:[1,0,3,2] row_mask:0xf bank_mask:0xf
	v_cmp_gt_f32_e32 vcc, v20, v18
	v_cndmask_b32_e32 v18, v18, v20, vcc
	s_nop 1
	v_mov_b32_dpp v19, v18 quad_perm:[2,3,0,1] row_mask:0xf bank_mask:0xf
	v_cmp_gt_f32_e32 vcc, v18, v19
	v_cndmask_b32_e32 v18, v19, v18, vcc
	s_nop 1
	v_mov_b32_dpp v19, v18 row_half_mirror row_mask:0xf bank_mask:0xf
	v_cmp_gt_f32_e32 vcc, v18, v19
	v_cndmask_b32_e32 v18, v19, v18, vcc
	s_nop 1
	v_mov_b32_dpp v19, v18 row_mirror row_mask:0xf bank_mask:0xf
	v_cmp_gt_f32_e32 vcc, v18, v19
	v_cndmask_b32_e32 v18, v19, v18, vcc
	s_nop 1
	v_mov_b32_dpp v19, v18 row_bcast:15 row_mask:0xf bank_mask:0xf
	v_cmp_gt_f32_e32 vcc, v18, v19
	v_cndmask_b32_e32 v18, v19, v18, vcc
	s_nop 1
	v_mov_b32_dpp v19, v18 row_bcast:31 row_mask:0xf bank_mask:0xf
	s_and_saveexec_b64 s[2:3], s[0:1]
	s_cbranch_execz .LBB104_45
; %bb.44:
	v_lshrrev_b32_e32 v20, 4, v0
	v_cmp_gt_f32_e32 vcc, v18, v19
	v_and_b32_e32 v20, 60, v20
	v_cndmask_b32_e32 v18, v19, v18, vcc
	ds_write_b32 v20, v18
.LBB104_45:
	s_or_b64 exec, exec, s[2:3]
	s_waitcnt lgkmcnt(0)
	s_barrier
	ds_read_b32 v18, v26
	v_cmp_eq_u32_e64 s[2:3], 0, v0
	s_waitcnt lgkmcnt(0)
	v_mov_b32_dpp v19, v18 quad_perm:[1,0,3,2] row_mask:0xf bank_mask:0xf
	v_cmp_gt_f32_e32 vcc, v18, v19
	v_cndmask_b32_e32 v18, v19, v18, vcc
	s_nop 1
	v_mov_b32_dpp v19, v18 quad_perm:[2,3,0,1] row_mask:0xf bank_mask:0xf
	v_cmp_gt_f32_e32 vcc, v18, v19
	v_cndmask_b32_e32 v18, v19, v18, vcc
	v_mul_f32_e32 v21, 0x3c010204, v18
	v_pk_mov_b32 v[18:19], s[6:7], s[6:7] op_sel:[0,1]
.LBB104_46:
	s_and_saveexec_b64 s[0:1], s[2:3]
	s_cbranch_execz .LBB104_48
; %bb.47:
	v_lshlrev_b64 v[18:19], 2, v[18:19]
	v_mov_b32_e32 v0, s13
	v_add_co_u32_e32 v18, vcc, s12, v18
	v_addc_co_u32_e32 v19, vcc, v0, v19, vcc
	global_store_dword v[18:19], v21, off
.LBB104_48:
	s_or_b64 exec, exec, s[0:1]
	;;#ASMSTART
	v_rcp_f32 v18, v21
	;;#ASMEND
	v_mov_b32_e32 v19, v18
	;;#ASMSTART
	v_pk_mul_f32 v[12:13], v[12:13], v[18:19]
	;;#ASMEND
	;;#ASMSTART
	v_pk_mul_f32 v[10:11], v[10:11], v[18:19]
	;;#ASMEND
	;; [unrolled: 3-line block ×4, first 2 shown]
	s_add_i32 s2, s9, 3
	v_cvt_i32_f32_e32 v0, v12
	v_cvt_i32_f32_sdwa v12, v13 dst_sel:BYTE_1 dst_unused:UNUSED_PAD src0_sel:DWORD
	v_cvt_i32_f32_e32 v10, v10
	v_cvt_i32_f32_sdwa v11, v11 dst_sel:BYTE_1 dst_unused:UNUSED_PAD src0_sel:DWORD
	;; [unrolled: 2-line block ×3, first 2 shown]
	;;#ASMSTART
	v_pk_mul_f32 v[6:7], v[16:17], v[18:19]
	;;#ASMEND
	s_load_dwordx2 s[0:1], s[4:5], 0x0
	s_ashr_i32 s3, s2, 31
	v_cvt_i32_f32_e32 v8, v8
	v_cvt_i32_f32_sdwa v9, v9 dst_sel:BYTE_1 dst_unused:UNUSED_PAD src0_sel:DWORD
	v_cvt_i32_f32_e32 v16, v6
	v_cvt_i32_f32_sdwa v17, v7 dst_sel:BYTE_1 dst_unused:UNUSED_PAD src0_sel:DWORD
	;;#ASMSTART
	v_pk_mul_f32 v[6:7], v[14:15], v[18:19]
	;;#ASMEND
	s_lshr_b32 s3, s3, 30
	v_cvt_i32_f32_e32 v6, v6
	v_cvt_i32_f32_sdwa v7, v7 dst_sel:BYTE_1 dst_unused:UNUSED_PAD src0_sel:DWORD
	;;#ASMSTART
	v_pk_mul_f32 v[4:5], v[4:5], v[18:19]
	;;#ASMEND
	s_add_i32 s2, s2, s3
	s_ashr_i32 s3, s10, 31
	v_cvt_i32_f32_e32 v14, v4
	v_cvt_i32_f32_sdwa v5, v5 dst_sel:BYTE_1 dst_unused:UNUSED_PAD src0_sel:DWORD
	;;#ASMSTART
	v_pk_mul_f32 v[2:3], v[2:3], v[18:19]
	;;#ASMEND
	v_cvt_i32_f32_e32 v15, v2
	v_cvt_i32_f32_sdwa v18, v3 dst_sel:BYTE_1 dst_unused:UNUSED_PAD src0_sel:DWORD
	s_mul_hi_u32 s4, s10, s6
	s_mul_i32 s3, s3, s6
	v_or_b32_sdwa v0, v0, v12 dst_sel:DWORD dst_unused:UNUSED_PAD src0_sel:BYTE_0 src1_sel:DWORD
	v_or_b32_sdwa v2, v10, v11 dst_sel:WORD_1 dst_unused:UNUSED_PAD src0_sel:BYTE_0 src1_sel:DWORD
	s_and_b32 s2, s2, -4
	s_add_i32 s4, s4, s3
	s_mul_i32 s3, s10, s6
	v_or_b32_sdwa v2, v0, v2 dst_sel:DWORD dst_unused:UNUSED_PAD src0_sel:WORD_0 src1_sel:DWORD
	v_or_b32_sdwa v0, v8, v9 dst_sel:DWORD dst_unused:UNUSED_PAD src0_sel:BYTE_0 src1_sel:DWORD
	v_or_b32_sdwa v3, v13, v20 dst_sel:WORD_1 dst_unused:UNUSED_PAD src0_sel:BYTE_0 src1_sel:DWORD
	s_waitcnt lgkmcnt(0)
	s_add_u32 s0, s0, s3
	v_or_b32_sdwa v3, v0, v3 dst_sel:DWORD dst_unused:UNUSED_PAD src0_sel:WORD_0 src1_sel:DWORD
	v_or_b32_sdwa v0, v16, v17 dst_sel:DWORD dst_unused:UNUSED_PAD src0_sel:BYTE_0 src1_sel:DWORD
	v_or_b32_sdwa v4, v6, v7 dst_sel:WORD_1 dst_unused:UNUSED_PAD src0_sel:BYTE_0 src1_sel:DWORD
	s_addc_u32 s1, s1, s4
	v_or_b32_sdwa v4, v0, v4 dst_sel:DWORD dst_unused:UNUSED_PAD src0_sel:WORD_0 src1_sel:DWORD
	v_or_b32_sdwa v0, v14, v5 dst_sel:DWORD dst_unused:UNUSED_PAD src0_sel:BYTE_0 src1_sel:DWORD
	v_or_b32_sdwa v5, v15, v18 dst_sel:WORD_1 dst_unused:UNUSED_PAD src0_sel:BYTE_0 src1_sel:DWORD
	s_and_b32 s1, s1, 0xffff
	s_mov_b32 s3, 0x20000
	v_or_b32_sdwa v5, v0, v5 dst_sel:DWORD dst_unused:UNUSED_PAD src0_sel:WORD_0 src1_sel:DWORD
	buffer_store_dwordx4 v[2:5], v1, s[0:3], 0 offen
	;;#ASMSTART
	s_nop 0
	;;#ASMEND
.LBB104_49:
	s_endpgm
.LBB104_50:
                                        ; implicit-def: $vgpr18_vgpr19
	s_branch .LBB104_37
	.section	.rodata,"a",@progbits
	.p2align	6, 0x0
	.amdhsa_kernel _ZN5aiter24add_rmsnorm_quant_kernelItaLi256ELi16ELb0ELb1ELb0ELi1EEEvPT0_PT_PfS4_S4_S4_diiiiiiib
		.amdhsa_group_segment_fixed_size 32
		.amdhsa_private_segment_fixed_size 0
		.amdhsa_kernarg_size 88
		.amdhsa_user_sgpr_count 6
		.amdhsa_user_sgpr_private_segment_buffer 1
		.amdhsa_user_sgpr_dispatch_ptr 0
		.amdhsa_user_sgpr_queue_ptr 0
		.amdhsa_user_sgpr_kernarg_segment_ptr 1
		.amdhsa_user_sgpr_dispatch_id 0
		.amdhsa_user_sgpr_flat_scratch_init 0
		.amdhsa_user_sgpr_kernarg_preload_length 0
		.amdhsa_user_sgpr_kernarg_preload_offset 0
		.amdhsa_user_sgpr_private_segment_size 0
		.amdhsa_uses_dynamic_stack 0
		.amdhsa_system_sgpr_private_segment_wavefront_offset 0
		.amdhsa_system_sgpr_workgroup_id_x 1
		.amdhsa_system_sgpr_workgroup_id_y 0
		.amdhsa_system_sgpr_workgroup_id_z 0
		.amdhsa_system_sgpr_workgroup_info 0
		.amdhsa_system_vgpr_workitem_id 0
		.amdhsa_next_free_vgpr 43
		.amdhsa_next_free_sgpr 34
		.amdhsa_accum_offset 44
		.amdhsa_reserve_vcc 1
		.amdhsa_reserve_flat_scratch 0
		.amdhsa_float_round_mode_32 0
		.amdhsa_float_round_mode_16_64 0
		.amdhsa_float_denorm_mode_32 3
		.amdhsa_float_denorm_mode_16_64 3
		.amdhsa_dx10_clamp 1
		.amdhsa_ieee_mode 1
		.amdhsa_fp16_overflow 0
		.amdhsa_tg_split 0
		.amdhsa_exception_fp_ieee_invalid_op 0
		.amdhsa_exception_fp_denorm_src 0
		.amdhsa_exception_fp_ieee_div_zero 0
		.amdhsa_exception_fp_ieee_overflow 0
		.amdhsa_exception_fp_ieee_underflow 0
		.amdhsa_exception_fp_ieee_inexact 0
		.amdhsa_exception_int_div_zero 0
	.end_amdhsa_kernel
	.section	.text._ZN5aiter24add_rmsnorm_quant_kernelItaLi256ELi16ELb0ELb1ELb0ELi1EEEvPT0_PT_PfS4_S4_S4_diiiiiiib,"axG",@progbits,_ZN5aiter24add_rmsnorm_quant_kernelItaLi256ELi16ELb0ELb1ELb0ELi1EEEvPT0_PT_PfS4_S4_S4_diiiiiiib,comdat
.Lfunc_end104:
	.size	_ZN5aiter24add_rmsnorm_quant_kernelItaLi256ELi16ELb0ELb1ELb0ELi1EEEvPT0_PT_PfS4_S4_S4_diiiiiiib, .Lfunc_end104-_ZN5aiter24add_rmsnorm_quant_kernelItaLi256ELi16ELb0ELb1ELb0ELi1EEEvPT0_PT_PfS4_S4_S4_diiiiiiib
                                        ; -- End function
	.section	.AMDGPU.csdata,"",@progbits
; Kernel info:
; codeLenInByte = 3600
; NumSgprs: 38
; NumVgprs: 43
; NumAgprs: 0
; TotalNumVgprs: 43
; ScratchSize: 0
; MemoryBound: 0
; FloatMode: 240
; IeeeMode: 1
; LDSByteSize: 32 bytes/workgroup (compile time only)
; SGPRBlocks: 4
; VGPRBlocks: 5
; NumSGPRsForWavesPerEU: 38
; NumVGPRsForWavesPerEU: 43
; AccumOffset: 44
; Occupancy: 8
; WaveLimiterHint : 0
; COMPUTE_PGM_RSRC2:SCRATCH_EN: 0
; COMPUTE_PGM_RSRC2:USER_SGPR: 6
; COMPUTE_PGM_RSRC2:TRAP_HANDLER: 0
; COMPUTE_PGM_RSRC2:TGID_X_EN: 1
; COMPUTE_PGM_RSRC2:TGID_Y_EN: 0
; COMPUTE_PGM_RSRC2:TGID_Z_EN: 0
; COMPUTE_PGM_RSRC2:TIDIG_COMP_CNT: 0
; COMPUTE_PGM_RSRC3_GFX90A:ACCUM_OFFSET: 10
; COMPUTE_PGM_RSRC3_GFX90A:TG_SPLIT: 0
	.section	.text._ZN5aiter24add_rmsnorm_quant_kernelIDF16_aLi256ELi24ELb0ELb1ELb1ELi1EEEvPT0_PT_PfS4_S4_S4_diiiiiiib,"axG",@progbits,_ZN5aiter24add_rmsnorm_quant_kernelIDF16_aLi256ELi24ELb0ELb1ELb1ELi1EEEvPT0_PT_PfS4_S4_S4_diiiiiiib,comdat
	.protected	_ZN5aiter24add_rmsnorm_quant_kernelIDF16_aLi256ELi24ELb0ELb1ELb1ELi1EEEvPT0_PT_PfS4_S4_S4_diiiiiiib ; -- Begin function _ZN5aiter24add_rmsnorm_quant_kernelIDF16_aLi256ELi24ELb0ELb1ELb1ELi1EEEvPT0_PT_PfS4_S4_S4_diiiiiiib
	.globl	_ZN5aiter24add_rmsnorm_quant_kernelIDF16_aLi256ELi24ELb0ELb1ELb1ELi1EEEvPT0_PT_PfS4_S4_S4_diiiiiiib
	.p2align	8
	.type	_ZN5aiter24add_rmsnorm_quant_kernelIDF16_aLi256ELi24ELb0ELb1ELb1ELi1EEEvPT0_PT_PfS4_S4_S4_diiiiiiib,@function
_ZN5aiter24add_rmsnorm_quant_kernelIDF16_aLi256ELi24ELb0ELb1ELb1ELi1EEEvPT0_PT_PfS4_S4_S4_diiiiiiib: ; @_ZN5aiter24add_rmsnorm_quant_kernelIDF16_aLi256ELi24ELb0ELb1ELb1ELi1EEEvPT0_PT_PfS4_S4_S4_diiiiiiib
; %bb.0:
	s_load_dwordx4 s[8:11], s[4:5], 0x38
	s_mov_b32 s7, 0
	s_waitcnt lgkmcnt(0)
	s_ashr_i32 s0, s8, 31
	v_mov_b32_e32 v2, s8
	v_mov_b32_e32 v3, s0
	v_cmp_ge_i64_e32 vcc, s[6:7], v[2:3]
	s_cbranch_vccnz .LBB105_49
; %bb.1:
	s_load_dwordx4 s[12:15], s[4:5], 0x10
	s_load_dwordx4 s[0:3], s[4:5], 0x28
	s_ashr_i32 s11, s10, 31
	s_mul_hi_u32 s16, s10, s6
	s_mul_i32 s11, s11, s6
	s_add_i32 s11, s16, s11
	s_mul_i32 s10, s10, s6
	s_lshl_b64 s[10:11], s[10:11], 1
	s_waitcnt lgkmcnt(0)
	s_add_u32 s16, s14, s10
	s_addc_u32 s10, s15, s11
	s_add_i32 s11, s9, 1
	s_lshr_b32 s14, s11, 31
	v_and_b32_e32 v2, 0x3c0, v0
	s_add_i32 s11, s11, s14
	s_and_b32 s17, s10, 0xffff
	v_lshlrev_b32_e32 v1, 3, v0
	v_mul_u32_u24_e32 v2, 24, v2
	s_movk_i32 s10, 0x1f8
	s_lshl_b32 s11, s11, 1
	v_and_or_b32 v1, v1, s10, v2
	s_and_b32 s18, s11, -4
	s_mov_b32 s19, 0x20000
	v_lshlrev_b32_e32 v22, 1, v1
	buffer_load_dwordx4 v[14:17], v22, s[16:19], 0 offen glc slc
	s_movk_i32 s10, 0x400
	buffer_load_dwordx4 v[18:21], v22, s[16:19], s10 offen glc slc
	s_movk_i32 s11, 0x800
	buffer_load_dwordx4 v[38:41], v22, s[16:19], s11 offen glc slc
	s_mov_b32 s16, s0
	s_and_b32 s17, s1, 0xffff
	buffer_load_dwordx4 v[10:13], v22, s[16:19], 0 offen
	buffer_load_dwordx4 v[6:9], v22, s[16:19], s10 offen
	buffer_load_dwordx4 v[2:5], v22, s[16:19], s11 offen
	v_and_b32_e32 v58, 63, v0
	v_cmp_eq_u32_e64 s[0:1], 63, v58
	s_waitcnt vmcnt(5)
	v_cvt_f32_f16_e32 v36, v14
	v_cvt_f32_f16_sdwa v37, v14 dst_sel:DWORD dst_unused:UNUSED_PAD src0_sel:WORD_1
	v_cvt_f32_f16_e32 v34, v15
	v_cvt_f32_f16_sdwa v35, v15 dst_sel:DWORD dst_unused:UNUSED_PAD src0_sel:WORD_1
	;; [unrolled: 2-line block ×3, first 2 shown]
	s_waitcnt vmcnt(4)
	v_cvt_f32_f16_e32 v28, v18
	v_cvt_f32_f16_sdwa v29, v18 dst_sel:DWORD dst_unused:UNUSED_PAD src0_sel:WORD_1
	v_cvt_f32_f16_e32 v26, v19
	v_cvt_f32_f16_sdwa v27, v19 dst_sel:DWORD dst_unused:UNUSED_PAD src0_sel:WORD_1
	;; [unrolled: 2-line block ×4, first 2 shown]
	s_waitcnt vmcnt(3)
	v_cvt_f32_f16_e32 v20, v38
	v_cvt_f32_f16_sdwa v21, v38 dst_sel:DWORD dst_unused:UNUSED_PAD src0_sel:WORD_1
	v_cvt_f32_f16_e32 v18, v39
	v_cvt_f32_f16_sdwa v19, v39 dst_sel:DWORD dst_unused:UNUSED_PAD src0_sel:WORD_1
	v_pk_mul_f32 v[38:39], v[36:37], v[36:37]
	v_cvt_f32_f16_e32 v30, v17
	v_cvt_f32_f16_sdwa v31, v17 dst_sel:DWORD dst_unused:UNUSED_PAD src0_sel:WORD_1
	v_cvt_f32_f16_e32 v16, v40
	v_cvt_f32_f16_sdwa v17, v40 dst_sel:DWORD dst_unused:UNUSED_PAD src0_sel:WORD_1
	;; [unrolled: 2-line block ×3, first 2 shown]
	v_pk_mul_f32 v[40:41], v[34:35], v[34:35]
	v_add_f32_e32 v59, v38, v39
	v_add_f32_e32 v40, v40, v59
	v_pk_mul_f32 v[42:43], v[32:33], v[32:33]
	v_add_f32_e32 v59, v41, v40
	v_add_f32_e32 v42, v42, v59
	v_pk_mul_f32 v[44:45], v[30:31], v[30:31]
	v_add_f32_e32 v42, v43, v42
	v_add_f32_e32 v42, v44, v42
	v_pk_mul_f32 v[46:47], v[28:29], v[28:29]
	v_add_f32_e32 v42, v45, v42
	v_add_f32_e32 v42, v46, v42
	v_pk_mul_f32 v[48:49], v[26:27], v[26:27]
	v_add_f32_e32 v42, v47, v42
	v_add_f32_e32 v42, v48, v42
	v_pk_mul_f32 v[50:51], v[24:25], v[24:25]
	v_add_f32_e32 v42, v49, v42
	v_add_f32_e32 v42, v50, v42
	v_pk_mul_f32 v[52:53], v[22:23], v[22:23]
	v_add_f32_e32 v42, v51, v42
	v_add_f32_e32 v42, v52, v42
	v_pk_mul_f32 v[54:55], v[20:21], v[20:21]
	v_add_f32_e32 v42, v53, v42
	v_add_f32_e32 v42, v54, v42
	v_pk_mul_f32 v[56:57], v[18:19], v[18:19]
	v_add_f32_e32 v42, v55, v42
	v_add_f32_e32 v42, v56, v42
	v_pk_mul_f32 v[38:39], v[16:17], v[16:17]
	v_add_f32_e32 v42, v57, v42
	v_add_f32_e32 v38, v38, v42
	v_pk_mul_f32 v[40:41], v[14:15], v[14:15]
	v_add_f32_e32 v38, v39, v38
	v_add_f32_e32 v38, v40, v38
	v_add_f32_e32 v38, v41, v38
	s_nop 1
	v_mov_b32_dpp v39, v38 quad_perm:[1,0,3,2] row_mask:0xf bank_mask:0xf
	v_add_f32_e32 v38, v38, v39
	s_nop 1
	v_mov_b32_dpp v39, v38 quad_perm:[2,3,0,1] row_mask:0xf bank_mask:0xf
	v_add_f32_e32 v38, v38, v39
	s_nop 1
	v_mov_b32_dpp v39, v38 row_half_mirror row_mask:0xf bank_mask:0xf
	v_add_f32_e32 v38, v38, v39
	s_nop 1
	v_mov_b32_dpp v39, v38 row_mirror row_mask:0xf bank_mask:0xf
	v_add_f32_e32 v38, v38, v39
	s_nop 1
	v_mov_b32_dpp v39, v38 row_bcast:15 row_mask:0xf bank_mask:0xf
	v_add_f32_e32 v38, v38, v39
	s_nop 1
	v_mov_b32_dpp v39, v38 row_bcast:31 row_mask:0xf bank_mask:0xf
	s_and_saveexec_b64 s[10:11], s[0:1]
	s_cbranch_execz .LBB105_3
; %bb.2:
	v_lshrrev_b32_e32 v40, 4, v0
	v_and_b32_e32 v40, 60, v40
	v_add_f32_e32 v38, v38, v39
	ds_write_b32 v40, v38 offset:16
.LBB105_3:
	s_or_b64 exec, exec, s[10:11]
	v_and_b32_e32 v38, 3, v0
	v_lshlrev_b32_e32 v38, 2, v38
	s_waitcnt lgkmcnt(0)
	s_barrier
	ds_read_b32 v39, v38 offset:16
	v_cvt_f32_i32_e32 v40, s9
	s_waitcnt lgkmcnt(0)
	v_mov_b32_dpp v41, v39 quad_perm:[1,0,3,2] row_mask:0xf bank_mask:0xf
	v_add_f32_e32 v39, v39, v41
	s_nop 1
	v_mov_b32_dpp v41, v39 quad_perm:[2,3,0,1] row_mask:0xf bank_mask:0xf
	v_add_f32_e32 v39, v39, v41
	v_div_scale_f32 v41, s[10:11], v40, v40, v39
	v_rcp_f32_e32 v42, v41
	v_div_scale_f32 v43, vcc, v39, v40, v39
	s_load_dwordx2 s[10:11], s[4:5], 0x4c
	s_load_dword s18, s[4:5], 0x54
	v_fma_f32 v44, -v41, v42, 1.0
	v_fmac_f32_e32 v42, v44, v42
	v_mul_f32_e32 v44, v43, v42
	v_fma_f32 v45, -v41, v44, v43
	v_fmac_f32_e32 v44, v45, v42
	v_fma_f32 v41, -v41, v44, v43
	v_div_fmas_f32 v41, v41, v42, v44
	v_div_fixup_f32 v39, v41, v40, v39
	v_cvt_f64_f32_e32 v[40:41], v39
	v_add_f64 v[40:41], v[40:41], s[2:3]
	v_cvt_f32_f64_e32 v39, v[40:41]
	s_mov_b32 s2, 0x800000
	v_mul_f32_e32 v40, 0x4b800000, v39
	v_cmp_gt_f32_e32 vcc, s2, v39
	v_cndmask_b32_e32 v39, v39, v40, vcc
	v_rsq_f32_e32 v39, v39
	s_waitcnt lgkmcnt(0)
	s_cmp_lg_u32 s11, 0
	v_mul_f32_e32 v40, 0x45800000, v39
	v_cndmask_b32_e32 v40, v39, v40, vcc
	v_mov_b32_e32 v41, v40
	;;#ASMSTART
	v_pk_mul_f32 v[36:37], v[36:37], v[40:41]
	;;#ASMEND
	;;#ASMSTART
	v_pk_mul_f32 v[34:35], v[34:35], v[40:41]
	;;#ASMEND
	;; [unrolled: 3-line block ×12, first 2 shown]
	s_waitcnt vmcnt(2)
	v_cvt_f32_f16_sdwa v15, v10 dst_sel:DWORD dst_unused:UNUSED_PAD src0_sel:WORD_1
	v_cvt_f32_f16_e32 v14, v10
	v_cvt_f32_f16_sdwa v17, v11 dst_sel:DWORD dst_unused:UNUSED_PAD src0_sel:WORD_1
	v_cvt_f32_f16_e32 v16, v11
	;; [unrolled: 2-line block ×4, first 2 shown]
	;;#ASMSTART
	v_pk_mul_f32 v[24:25], v[36:37], v[14:15]
	;;#ASMEND
	;;#ASMSTART
	v_pk_mul_f32 v[22:23], v[34:35], v[16:17]
	;;#ASMEND
	;; [unrolled: 3-line block ×3, first 2 shown]
	s_waitcnt vmcnt(1)
	v_cvt_f32_f16_sdwa v11, v6 dst_sel:DWORD dst_unused:UNUSED_PAD src0_sel:WORD_1
	v_cvt_f32_f16_e32 v10, v6
	v_cvt_f32_f16_sdwa v13, v7 dst_sel:DWORD dst_unused:UNUSED_PAD src0_sel:WORD_1
	v_cvt_f32_f16_e32 v12, v7
	v_cvt_f32_f16_sdwa v7, v8 dst_sel:DWORD dst_unused:UNUSED_PAD src0_sel:WORD_1
	v_cvt_f32_f16_e32 v6, v8
	;;#ASMSTART
	v_pk_mul_f32 v[16:17], v[30:31], v[20:21]
	;;#ASMEND
	;;#ASMSTART
	v_pk_mul_f32 v[20:21], v[28:29], v[10:11]
	;;#ASMEND
	;; [unrolled: 3-line block ×4, first 2 shown]
	s_waitcnt vmcnt(0)
	v_cvt_f32_f16_sdwa v7, v2 dst_sel:DWORD dst_unused:UNUSED_PAD src0_sel:WORD_1
	v_cvt_f32_f16_e32 v6, v2
	v_cvt_f32_f16_sdwa v27, v3 dst_sel:DWORD dst_unused:UNUSED_PAD src0_sel:WORD_1
	v_cvt_f32_f16_e32 v26, v3
	;; [unrolled: 2-line block ×3, first 2 shown]
	v_cvt_f32_f16_e32 v28, v5
	v_cvt_f32_f16_sdwa v31, v9 dst_sel:DWORD dst_unused:UNUSED_PAD src0_sel:WORD_1
	v_cvt_f32_f16_e32 v30, v9
	;;#ASMSTART
	v_pk_mul_f32 v[8:9], v[44:45], v[30:31]
	;;#ASMEND
	v_cvt_f32_f16_sdwa v29, v5 dst_sel:DWORD dst_unused:UNUSED_PAD src0_sel:WORD_1
	;;#ASMSTART
	v_pk_mul_f32 v[10:11], v[46:47], v[6:7]
	;;#ASMEND
	;;#ASMSTART
	v_pk_mul_f32 v[6:7], v[48:49], v[26:27]
	;;#ASMEND
	;; [unrolled: 3-line block ×4, first 2 shown]
	v_and_b32_e32 v26, 0x7fffffff, v24
	v_mov_b32_e32 v28, 0x2edbe6ff
	v_and_b32_e32 v27, 0x7fffffff, v25
	;;#ASMSTART
	v_max3_f32 v26, v28, v26, v27

	;;#ASMEND
	v_and_b32_e32 v28, 0x7fffffff, v23
	v_and_b32_e32 v27, 0x7fffffff, v22
	;;#ASMSTART
	v_max3_f32 v26, v26, v27, v28

	;;#ASMEND
	v_and_b32_e32 v28, 0x7fffffff, v19
	;; [unrolled: 6-line block ×11, first 2 shown]
	v_and_b32_e32 v27, 0x7fffffff, v2
	;;#ASMSTART
	v_max3_f32 v28, v26, v27, v28

	;;#ASMEND
	s_cbranch_scc0 .LBB105_10
; %bb.4:
	s_mul_hi_i32 s2, s11, 0x2aaaaaab
	s_lshr_b32 s3, s2, 31
	s_ashr_i32 s14, s2, 2
	s_add_i32 s14, s14, s3
	s_cmp_lt_i32 s14, 16
	s_cbranch_scc1 .LBB105_11
; %bb.5:
	s_cmp_lt_i32 s14, 32
	s_cbranch_scc1 .LBB105_12
; %bb.6:
	s_cmp_lt_i32 s14, 64
	s_cbranch_scc1 .LBB105_13
; %bb.7:
	s_cmp_eq_u32 s14, 64
	v_mov_b32_e32 v26, v28
	s_cbranch_scc0 .LBB105_9
; %bb.8:
	s_nop 0
	v_mov_b32_dpp v26, v28 quad_perm:[1,0,3,2] row_mask:0xf bank_mask:0xf
	v_cmp_gt_f32_e32 vcc, v28, v26
	v_cndmask_b32_e32 v26, v26, v28, vcc
	v_bfrev_b32_e32 v29, 0.5
	s_nop 0
	v_mov_b32_dpp v27, v26 quad_perm:[2,3,0,1] row_mask:0xf bank_mask:0xf
	v_cmp_gt_f32_e32 vcc, v26, v27
	v_cndmask_b32_e32 v26, v27, v26, vcc
	s_nop 1
	v_mov_b32_dpp v27, v26 row_ror:4 row_mask:0xf bank_mask:0xf
	v_cmp_gt_f32_e32 vcc, v26, v27
	v_cndmask_b32_e32 v26, v27, v26, vcc
	s_nop 1
	v_mov_b32_dpp v27, v26 row_ror:8 row_mask:0xf bank_mask:0xf
	v_cmp_gt_f32_e32 vcc, v26, v27
	v_cndmask_b32_e32 v26, v27, v26, vcc
	s_nop 1
	v_mov_b32_dpp v27, v26 row_bcast:15 row_mask:0xf bank_mask:0xf
	v_cmp_gt_f32_e32 vcc, v26, v27
	v_cndmask_b32_e32 v26, v27, v26, vcc
	s_nop 1
	v_mov_b32_dpp v27, v26 row_bcast:31 row_mask:0xf bank_mask:0xf
	v_cmp_gt_f32_e32 vcc, v26, v27
	v_cndmask_b32_e32 v26, v27, v26, vcc
	v_mbcnt_lo_u32_b32 v27, -1, 0
	v_mbcnt_hi_u32_b32 v27, -1, v27
	v_lshl_or_b32 v27, v27, 2, v29
	ds_bpermute_b32 v26, v27, v26
.LBB105_9:
	s_mov_b64 s[2:3], 0
	s_branch .LBB105_14
.LBB105_10:
	s_mov_b64 s[2:3], 0
                                        ; implicit-def: $vgpr29
                                        ; implicit-def: $vgpr26_vgpr27
	s_cbranch_execnz .LBB105_43
	s_branch .LBB105_46
.LBB105_11:
                                        ; implicit-def: $vgpr26
	s_branch .LBB105_21
.LBB105_12:
                                        ; implicit-def: $vgpr26
	s_branch .LBB105_18
.LBB105_13:
	s_mov_b64 s[2:3], -1
                                        ; implicit-def: $vgpr26
.LBB105_14:
	s_andn2_b64 vcc, exec, s[2:3]
	s_cbranch_vccnz .LBB105_17
; %bb.15:
	s_cmp_eq_u32 s14, 32
	s_waitcnt lgkmcnt(0)
	v_mov_b32_e32 v26, v28
	s_cbranch_scc0 .LBB105_17
; %bb.16:
	s_nop 0
	v_mov_b32_dpp v26, v28 quad_perm:[1,0,3,2] row_mask:0xf bank_mask:0xf
	v_cmp_gt_f32_e32 vcc, v28, v26
	v_cndmask_b32_e32 v26, v26, v28, vcc
	v_mov_b32_e32 v29, 0x7c
	s_nop 0
	v_mov_b32_dpp v27, v26 quad_perm:[2,3,0,1] row_mask:0xf bank_mask:0xf
	v_cmp_gt_f32_e32 vcc, v26, v27
	v_cndmask_b32_e32 v26, v27, v26, vcc
	s_nop 1
	v_mov_b32_dpp v27, v26 row_half_mirror row_mask:0xf bank_mask:0xf
	v_cmp_gt_f32_e32 vcc, v26, v27
	v_cndmask_b32_e32 v26, v27, v26, vcc
	s_nop 1
	v_mov_b32_dpp v27, v26 row_mirror row_mask:0xf bank_mask:0xf
	v_cmp_gt_f32_e32 vcc, v26, v27
	v_cndmask_b32_e32 v26, v27, v26, vcc
	s_nop 1
	v_mov_b32_dpp v27, v26 row_bcast:15 row_mask:0xa bank_mask:0xf
	v_cmp_gt_f32_e32 vcc, v26, v27
	v_cndmask_b32_e32 v26, v27, v26, vcc
	v_mbcnt_lo_u32_b32 v27, -1, 0
	v_mbcnt_hi_u32_b32 v27, -1, v27
	v_lshl_or_b32 v27, v27, 2, v29
	ds_bpermute_b32 v26, v27, v26
.LBB105_17:
	s_cbranch_execnz .LBB105_20
.LBB105_18:
	s_cmp_eq_u32 s14, 16
	s_waitcnt lgkmcnt(0)
	v_mov_b32_e32 v26, v28
	s_cbranch_scc0 .LBB105_20
; %bb.19:
	s_nop 0
	v_mov_b32_dpp v26, v28 quad_perm:[1,0,3,2] row_mask:0xf bank_mask:0xf
	v_cmp_gt_f32_e32 vcc, v28, v26
	v_cndmask_b32_e32 v26, v26, v28, vcc
	s_nop 1
	v_mov_b32_dpp v27, v26 quad_perm:[2,3,0,1] row_mask:0xf bank_mask:0xf
	v_cmp_gt_f32_e32 vcc, v26, v27
	v_cndmask_b32_e32 v26, v27, v26, vcc
	s_nop 1
	v_mov_b32_dpp v27, v26 row_half_mirror row_mask:0xf bank_mask:0xf
	v_cmp_gt_f32_e32 vcc, v26, v27
	v_cndmask_b32_e32 v26, v27, v26, vcc
	s_nop 1
	v_mov_b32_dpp v27, v26 row_mirror row_mask:0xf bank_mask:0xf
	v_cmp_gt_f32_e32 vcc, v26, v27
	v_cndmask_b32_e32 v26, v27, v26, vcc
.LBB105_20:
	s_cbranch_execnz .LBB105_33
.LBB105_21:
	s_cmp_lt_i32 s14, 4
	s_cbranch_scc1 .LBB105_25
; %bb.22:
	s_cmp_lt_i32 s14, 8
	s_cbranch_scc1 .LBB105_26
; %bb.23:
	s_cmp_eq_u32 s14, 8
	s_waitcnt lgkmcnt(0)
	v_mov_b32_e32 v26, v28
	s_cbranch_scc0 .LBB105_27
; %bb.24:
	s_nop 0
	v_mov_b32_dpp v26, v28 quad_perm:[1,0,3,2] row_mask:0xf bank_mask:0xf
	v_cmp_gt_f32_e32 vcc, v28, v26
	v_cndmask_b32_e32 v26, v26, v28, vcc
	s_nop 1
	v_mov_b32_dpp v27, v26 quad_perm:[2,3,0,1] row_mask:0xf bank_mask:0xf
	v_cmp_gt_f32_e32 vcc, v26, v27
	v_cndmask_b32_e32 v26, v27, v26, vcc
	s_nop 1
	v_mov_b32_dpp v27, v26 row_half_mirror row_mask:0xf bank_mask:0xf
	v_cmp_gt_f32_e32 vcc, v26, v27
	v_cndmask_b32_e32 v26, v27, v26, vcc
	s_cbranch_execz .LBB105_28
	s_branch .LBB105_30
.LBB105_25:
                                        ; implicit-def: $vgpr26
	s_branch .LBB105_31
.LBB105_26:
                                        ; implicit-def: $vgpr26
	s_branch .LBB105_28
.LBB105_27:
	s_cbranch_execnz .LBB105_30
.LBB105_28:
	s_cmp_eq_u32 s14, 4
	s_waitcnt lgkmcnt(0)
	v_mov_b32_e32 v26, v28
	s_cbranch_scc0 .LBB105_30
; %bb.29:
	s_nop 0
	v_mov_b32_dpp v26, v28 quad_perm:[1,0,3,2] row_mask:0xf bank_mask:0xf
	v_cmp_gt_f32_e32 vcc, v28, v26
	v_cndmask_b32_e32 v26, v26, v28, vcc
	s_nop 1
	v_mov_b32_dpp v27, v26 quad_perm:[2,3,0,1] row_mask:0xf bank_mask:0xf
	v_cmp_gt_f32_e32 vcc, v26, v27
	v_cndmask_b32_e32 v26, v27, v26, vcc
.LBB105_30:
	s_cbranch_execnz .LBB105_33
.LBB105_31:
	s_cmp_lg_u32 s14, 2
	s_waitcnt lgkmcnt(0)
	v_mov_b32_e32 v26, v28
	s_cbranch_scc1 .LBB105_33
; %bb.32:
	s_nop 0
	v_mov_b32_dpp v26, v28 quad_perm:[1,0,3,2] row_mask:0xf bank_mask:0xf
	v_cmp_gt_f32_e32 vcc, v28, v26
	v_cndmask_b32_e32 v26, v26, v28, vcc
.LBB105_33:
	v_cvt_f32_u32_e32 v27, s14
	s_waitcnt lgkmcnt(0)
	v_mul_f32_e32 v29, 0x3c010204, v26
	s_sub_i32 s2, 0, s14
	v_rcp_iflag_f32_e32 v27, v27
	v_mul_f32_e32 v26, 0x4f7ffffe, v27
	v_cvt_u32_f32_e32 v26, v26
	v_mul_u32_u24_e32 v27, 24, v0
	v_cmp_gt_u32_e32 vcc, s9, v27
	v_mul_lo_u32 v27, s2, v26
	v_mul_hi_u32 v27, v26, v27
	v_add_u32_e32 v26, v26, v27
	v_mul_hi_u32 v26, v0, v26
	v_mul_lo_u32 v27, v26, s14
	v_sub_u32_e32 v27, v0, v27
	v_add_u32_e32 v30, 1, v26
	v_cmp_le_u32_e64 s[2:3], s14, v27
	v_cndmask_b32_e64 v26, v26, v30, s[2:3]
	v_subrev_u32_e32 v30, s14, v27
	v_cndmask_b32_e64 v27, v27, v30, s[2:3]
	v_add_u32_e32 v30, 1, v26
	v_cmp_le_u32_e64 s[2:3], s14, v27
	v_cndmask_b32_e64 v30, v26, v30, s[2:3]
	v_mul_lo_u32 v26, v30, s14
	v_sub_u32_e32 v26, v0, v26
	v_cmp_eq_u32_e64 s[2:3], 0, v26
	s_and_b64 s[16:17], s[2:3], vcc
	s_mov_b64 s[14:15], 0
	s_mov_b64 s[2:3], 0
                                        ; implicit-def: $vgpr26_vgpr27
	s_and_saveexec_b64 s[20:21], s[16:17]
	s_xor_b64 s[16:17], exec, s[20:21]
	s_cbranch_execz .LBB105_42
; %bb.34:
	s_bitcmp0_b32 s18, 0
	s_cbranch_scc0 .LBB105_39
; %bb.35:
	s_ashr_i32 s2, s9, 31
	s_mul_hi_u32 s3, s9, s6
	s_mul_i32 s2, s2, s6
	s_add_i32 s21, s3, s2
	s_mul_i32 s20, s9, s6
	s_ashr_i32 s19, s11, 31
	s_mov_b32 s18, s11
	s_or_b64 s[2:3], s[20:21], s[18:19]
	s_mov_b32 s2, 0
	s_cmp_lg_u64 s[2:3], 0
	s_cbranch_scc0 .LBB105_50
; %bb.36:
	s_add_u32 s2, s18, s19
	s_mov_b32 s24, s19
	s_mov_b32 s25, s19
	s_addc_u32 s3, s19, s19
	s_xor_b64 s[26:27], s[2:3], s[24:25]
	v_cvt_f32_u32_e32 v26, s26
	v_cvt_f32_u32_e32 v27, s27
	s_sub_u32 s2, 0, s26
	s_subb_u32 s3, 0, s27
	v_madmk_f32 v26, v27, 0x4f800000, v26
	v_rcp_f32_e32 v26, v26
	v_mul_f32_e32 v26, 0x5f7ffffc, v26
	v_mul_f32_e32 v27, 0x2f800000, v26
	v_trunc_f32_e32 v27, v27
	v_madmk_f32 v26, v27, 0xcf800000, v26
	v_cvt_u32_f32_e32 v27, v27
	v_cvt_u32_f32_e32 v26, v26
	v_readfirstlane_b32 s11, v27
	v_readfirstlane_b32 s19, v26
	s_mul_i32 s28, s2, s11
	s_mul_hi_u32 s30, s2, s19
	s_mul_i32 s29, s3, s19
	s_add_i32 s28, s30, s28
	s_add_i32 s28, s28, s29
	s_mul_i32 s31, s2, s19
	s_mul_hi_u32 s29, s19, s28
	s_mul_i32 s30, s19, s28
	s_mul_hi_u32 s19, s19, s31
	s_add_u32 s19, s19, s30
	s_addc_u32 s29, 0, s29
	s_mul_hi_u32 s33, s11, s31
	s_mul_i32 s31, s11, s31
	s_add_u32 s19, s19, s31
	s_mul_hi_u32 s30, s11, s28
	s_addc_u32 s19, s29, s33
	s_addc_u32 s29, s30, 0
	s_mul_i32 s28, s11, s28
	s_add_u32 s19, s19, s28
	s_addc_u32 s28, 0, s29
	v_add_co_u32_e32 v26, vcc, s19, v26
	s_cmp_lg_u64 vcc, 0
	s_addc_u32 s11, s11, s28
	v_readfirstlane_b32 s28, v26
	s_mul_i32 s19, s2, s11
	s_mul_hi_u32 s29, s2, s28
	s_add_i32 s19, s29, s19
	s_mul_i32 s3, s3, s28
	s_add_i32 s19, s19, s3
	s_mul_i32 s2, s2, s28
	s_mul_hi_u32 s29, s11, s2
	s_mul_i32 s30, s11, s2
	s_mul_i32 s33, s28, s19
	s_mul_hi_u32 s2, s28, s2
	s_mul_hi_u32 s31, s28, s19
	s_add_u32 s2, s2, s33
	s_addc_u32 s28, 0, s31
	s_add_u32 s2, s2, s30
	s_mul_hi_u32 s3, s11, s19
	s_addc_u32 s2, s28, s29
	s_addc_u32 s3, s3, 0
	s_mul_i32 s19, s11, s19
	s_add_u32 s2, s2, s19
	s_addc_u32 s3, 0, s3
	v_add_co_u32_e32 v26, vcc, s2, v26
	s_cmp_lg_u64 vcc, 0
	s_addc_u32 s11, s11, s3
	s_ashr_i32 s28, s21, 31
	s_add_u32 s2, s20, s28
	s_mov_b32 s29, s28
	s_addc_u32 s3, s21, s28
	s_xor_b64 s[30:31], s[2:3], s[28:29]
	v_readfirstlane_b32 s19, v26
	s_mul_i32 s3, s30, s11
	s_mul_hi_u32 s21, s30, s19
	s_mul_hi_u32 s2, s30, s11
	s_add_u32 s3, s21, s3
	s_addc_u32 s2, 0, s2
	s_mul_hi_u32 s33, s31, s19
	s_mul_i32 s19, s31, s19
	s_add_u32 s3, s3, s19
	s_mul_hi_u32 s21, s31, s11
	s_addc_u32 s2, s2, s33
	s_addc_u32 s3, s21, 0
	s_mul_i32 s11, s31, s11
	s_add_u32 s11, s2, s11
	s_addc_u32 s19, 0, s3
	s_mul_i32 s2, s26, s19
	s_mul_hi_u32 s3, s26, s11
	s_add_i32 s2, s3, s2
	s_mul_i32 s3, s27, s11
	s_add_i32 s21, s2, s3
	s_mul_i32 s3, s26, s11
	v_mov_b32_e32 v26, s3
	s_sub_i32 s2, s31, s21
	v_sub_co_u32_e32 v26, vcc, s30, v26
	s_cmp_lg_u64 vcc, 0
	s_subb_u32 s30, s2, s27
	v_subrev_co_u32_e64 v27, s[2:3], s26, v26
	s_cmp_lg_u64 s[2:3], 0
	s_subb_u32 s30, s30, 0
	s_cmp_ge_u32 s30, s27
	s_cselect_b32 s33, -1, 0
	v_cmp_le_u32_e64 s[2:3], s26, v27
	s_cmp_eq_u32 s30, s27
	v_cndmask_b32_e64 v27, 0, -1, s[2:3]
	v_mov_b32_e32 v31, s33
	s_cselect_b64 s[2:3], -1, 0
	v_cndmask_b32_e64 v27, v31, v27, s[2:3]
	s_add_u32 s2, s11, 1
	s_addc_u32 s30, s19, 0
	s_add_u32 s3, s11, 2
	s_addc_u32 s33, s19, 0
	v_mov_b32_e32 v31, s2
	v_mov_b32_e32 v32, s3
	v_cmp_ne_u32_e64 s[2:3], 0, v27
	v_cndmask_b32_e64 v27, v31, v32, s[2:3]
	v_mov_b32_e32 v31, s30
	v_mov_b32_e32 v32, s33
	s_cmp_lg_u64 vcc, 0
	v_cndmask_b32_e64 v31, v31, v32, s[2:3]
	s_subb_u32 s2, s31, s21
	s_cmp_ge_u32 s2, s27
	s_cselect_b32 s3, -1, 0
	v_cmp_le_u32_e32 vcc, s26, v26
	s_cmp_eq_u32 s2, s27
	v_cndmask_b32_e64 v26, 0, -1, vcc
	v_mov_b32_e32 v32, s3
	s_cselect_b64 vcc, -1, 0
	v_cndmask_b32_e32 v26, v32, v26, vcc
	v_mov_b32_e32 v32, s19
	v_cmp_ne_u32_e32 vcc, 0, v26
	v_cndmask_b32_e32 v26, v32, v31, vcc
	v_mov_b32_e32 v31, s11
	v_cndmask_b32_e32 v27, v31, v27, vcc
	s_xor_b64 s[2:3], s[28:29], s[24:25]
	v_xor_b32_e32 v27, s2, v27
	v_xor_b32_e32 v31, s3, v26
	v_mov_b32_e32 v32, s3
	v_subrev_co_u32_e32 v26, vcc, s2, v27
	v_subb_co_u32_e32 v27, vcc, v31, v32, vcc
	s_cbranch_execnz .LBB105_38
.LBB105_37:
	v_cvt_f32_u32_e32 v26, s18
	s_sub_i32 s2, 0, s18
	s_mov_b32 s3, 0
	v_rcp_iflag_f32_e32 v26, v26
	v_mul_f32_e32 v26, 0x4f7ffffe, v26
	v_cvt_u32_f32_e32 v26, v26
	v_readfirstlane_b32 s11, v26
	s_mul_i32 s2, s2, s11
	s_mul_hi_u32 s2, s11, s2
	s_add_i32 s11, s11, s2
	s_mul_hi_u32 s2, s20, s11
	s_mul_i32 s19, s2, s18
	s_sub_i32 s19, s20, s19
	s_add_i32 s11, s2, 1
	s_sub_i32 s20, s19, s18
	s_cmp_ge_u32 s19, s18
	s_cselect_b32 s2, s11, s2
	s_cselect_b32 s19, s20, s19
	s_add_i32 s11, s2, 1
	s_cmp_ge_u32 s19, s18
	s_cselect_b32 s2, s11, s2
	v_pk_mov_b32 v[26:27], s[2:3], s[2:3] op_sel:[0,1]
.LBB105_38:
	v_add_co_u32_e32 v26, vcc, v26, v30
	v_addc_co_u32_e32 v27, vcc, 0, v27, vcc
	s_branch .LBB105_41
.LBB105_39:
                                        ; implicit-def: $vgpr26_vgpr27
	s_cbranch_execz .LBB105_41
; %bb.40:
	v_mul_lo_u32 v26, v30, s8
	v_ashrrev_i32_e32 v27, 31, v26
	v_mov_b32_e32 v30, s7
	v_add_co_u32_e32 v26, vcc, s6, v26
	v_addc_co_u32_e32 v27, vcc, v27, v30, vcc
.LBB105_41:
	s_mov_b64 s[2:3], exec
.LBB105_42:
	s_or_b64 exec, exec, s[16:17]
	s_and_b64 vcc, exec, s[14:15]
	s_cbranch_vccz .LBB105_46
.LBB105_43:
	v_mov_b32_dpp v26, v28 quad_perm:[1,0,3,2] row_mask:0xf bank_mask:0xf
	v_cmp_gt_f32_e32 vcc, v28, v26
	v_cndmask_b32_e32 v26, v26, v28, vcc
	s_nop 1
	v_mov_b32_dpp v27, v26 quad_perm:[2,3,0,1] row_mask:0xf bank_mask:0xf
	v_cmp_gt_f32_e32 vcc, v26, v27
	v_cndmask_b32_e32 v26, v27, v26, vcc
	s_nop 1
	v_mov_b32_dpp v27, v26 row_half_mirror row_mask:0xf bank_mask:0xf
	v_cmp_gt_f32_e32 vcc, v26, v27
	v_cndmask_b32_e32 v26, v27, v26, vcc
	s_nop 1
	v_mov_b32_dpp v27, v26 row_mirror row_mask:0xf bank_mask:0xf
	v_cmp_gt_f32_e32 vcc, v26, v27
	v_cndmask_b32_e32 v26, v27, v26, vcc
	s_nop 1
	v_mov_b32_dpp v27, v26 row_bcast:15 row_mask:0xf bank_mask:0xf
	v_cmp_gt_f32_e32 vcc, v26, v27
	v_cndmask_b32_e32 v26, v27, v26, vcc
	s_nop 1
	v_mov_b32_dpp v27, v26 row_bcast:31 row_mask:0xf bank_mask:0xf
	s_and_saveexec_b64 s[2:3], s[0:1]
	s_cbranch_execz .LBB105_45
; %bb.44:
	v_lshrrev_b32_e32 v28, 4, v0
	v_cmp_gt_f32_e32 vcc, v26, v27
	v_and_b32_e32 v28, 60, v28
	v_cndmask_b32_e32 v26, v27, v26, vcc
	ds_write_b32 v28, v26
.LBB105_45:
	s_or_b64 exec, exec, s[2:3]
	s_waitcnt lgkmcnt(0)
	s_barrier
	ds_read_b32 v26, v38
	v_cmp_eq_u32_e64 s[2:3], 0, v0
	s_waitcnt lgkmcnt(0)
	v_mov_b32_dpp v27, v26 quad_perm:[1,0,3,2] row_mask:0xf bank_mask:0xf
	v_cmp_gt_f32_e32 vcc, v26, v27
	v_cndmask_b32_e32 v26, v27, v26, vcc
	s_nop 1
	v_mov_b32_dpp v27, v26 quad_perm:[2,3,0,1] row_mask:0xf bank_mask:0xf
	v_cmp_gt_f32_e32 vcc, v26, v27
	v_cndmask_b32_e32 v26, v27, v26, vcc
	v_mul_f32_e32 v29, 0x3c010204, v26
	v_pk_mov_b32 v[26:27], s[6:7], s[6:7] op_sel:[0,1]
.LBB105_46:
	s_and_saveexec_b64 s[0:1], s[2:3]
	s_cbranch_execz .LBB105_48
; %bb.47:
	v_lshlrev_b64 v[26:27], 2, v[26:27]
	v_mov_b32_e32 v0, s13
	v_add_co_u32_e32 v26, vcc, s12, v26
	v_addc_co_u32_e32 v27, vcc, v0, v27, vcc
	global_store_dword v[26:27], v29, off
.LBB105_48:
	s_or_b64 exec, exec, s[0:1]
	s_add_i32 s2, s9, 3
	s_load_dwordx2 s[0:1], s[4:5], 0x0
	s_ashr_i32 s3, s2, 31
	;;#ASMSTART
	v_rcp_f32 v26, v29
	;;#ASMEND
	v_mov_b32_e32 v27, v26
	;;#ASMSTART
	v_pk_mul_f32 v[24:25], v[24:25], v[26:27]
	;;#ASMEND
	;;#ASMSTART
	v_pk_mul_f32 v[22:23], v[22:23], v[26:27]
	;;#ASMEND
	s_lshr_b32 s3, s3, 30
	v_cvt_i32_f32_e32 v0, v24
	v_cvt_i32_f32_sdwa v24, v25 dst_sel:BYTE_1 dst_unused:UNUSED_PAD src0_sel:DWORD
	v_cvt_i32_f32_e32 v22, v22
	v_cvt_i32_f32_sdwa v23, v23 dst_sel:BYTE_1 dst_unused:UNUSED_PAD src0_sel:DWORD
	;;#ASMSTART
	v_pk_mul_f32 v[18:19], v[18:19], v[26:27]
	;;#ASMEND
	;;#ASMSTART
	v_pk_mul_f32 v[16:17], v[16:17], v[26:27]
	;;#ASMEND
	s_add_i32 s2, s2, s3
	s_ashr_i32 s3, s10, 31
	v_cvt_i32_f32_e32 v18, v18
	v_cvt_i32_f32_sdwa v19, v19 dst_sel:BYTE_1 dst_unused:UNUSED_PAD src0_sel:DWORD
	v_cvt_i32_f32_e32 v25, v16
	v_cvt_i32_f32_sdwa v17, v17 dst_sel:BYTE_1 dst_unused:UNUSED_PAD src0_sel:DWORD
	s_mul_hi_u32 s4, s10, s6
	s_mul_i32 s3, s3, s6
	s_and_b32 s2, s2, -4
	s_add_i32 s4, s4, s3
	s_mul_i32 s3, s10, s6
	s_waitcnt lgkmcnt(0)
	s_add_u32 s0, s0, s3
	v_or_b32_sdwa v0, v0, v24 dst_sel:DWORD dst_unused:UNUSED_PAD src0_sel:BYTE_0 src1_sel:DWORD
	v_or_b32_sdwa v16, v22, v23 dst_sel:WORD_1 dst_unused:UNUSED_PAD src0_sel:BYTE_0 src1_sel:DWORD
	s_addc_u32 s1, s1, s4
	v_or_b32_sdwa v16, v0, v16 dst_sel:DWORD dst_unused:UNUSED_PAD src0_sel:WORD_0 src1_sel:DWORD
	v_or_b32_sdwa v0, v18, v19 dst_sel:DWORD dst_unused:UNUSED_PAD src0_sel:BYTE_0 src1_sel:DWORD
	v_or_b32_sdwa v17, v25, v17 dst_sel:WORD_1 dst_unused:UNUSED_PAD src0_sel:BYTE_0 src1_sel:DWORD
	s_and_b32 s1, s1, 0xffff
	s_mov_b32 s3, 0x20000
	v_or_b32_sdwa v17, v0, v17 dst_sel:DWORD dst_unused:UNUSED_PAD src0_sel:WORD_0 src1_sel:DWORD
	buffer_store_dwordx2 v[16:17], v1, s[0:3], 0 offen
	;;#ASMSTART
	s_nop 0
	;;#ASMEND
	;;#ASMSTART
	v_pk_mul_f32 v[16:17], v[20:21], v[26:27]
	;;#ASMEND
	;;#ASMSTART
	v_pk_mul_f32 v[14:15], v[14:15], v[26:27]
	;;#ASMEND
	v_cvt_i32_f32_e32 v0, v16
	v_cvt_i32_f32_sdwa v16, v17 dst_sel:BYTE_1 dst_unused:UNUSED_PAD src0_sel:DWORD
	v_cvt_i32_f32_e32 v14, v14
	v_cvt_i32_f32_sdwa v15, v15 dst_sel:BYTE_1 dst_unused:UNUSED_PAD src0_sel:DWORD
	;;#ASMSTART
	v_pk_mul_f32 v[12:13], v[12:13], v[26:27]
	;;#ASMEND
	;;#ASMSTART
	v_pk_mul_f32 v[8:9], v[8:9], v[26:27]
	;;#ASMEND
	v_cvt_i32_f32_e32 v12, v12
	v_cvt_i32_f32_sdwa v13, v13 dst_sel:BYTE_1 dst_unused:UNUSED_PAD src0_sel:DWORD
	v_cvt_i32_f32_e32 v17, v8
	v_cvt_i32_f32_sdwa v9, v9 dst_sel:BYTE_1 dst_unused:UNUSED_PAD src0_sel:DWORD
	v_or_b32_sdwa v0, v0, v16 dst_sel:DWORD dst_unused:UNUSED_PAD src0_sel:BYTE_0 src1_sel:DWORD
	v_or_b32_sdwa v8, v14, v15 dst_sel:WORD_1 dst_unused:UNUSED_PAD src0_sel:BYTE_0 src1_sel:DWORD
	v_or_b32_sdwa v8, v0, v8 dst_sel:DWORD dst_unused:UNUSED_PAD src0_sel:WORD_0 src1_sel:DWORD
	v_or_b32_sdwa v0, v12, v13 dst_sel:DWORD dst_unused:UNUSED_PAD src0_sel:BYTE_0 src1_sel:DWORD
	v_or_b32_sdwa v9, v17, v9 dst_sel:WORD_1 dst_unused:UNUSED_PAD src0_sel:BYTE_0 src1_sel:DWORD
	v_or_b32_sdwa v9, v0, v9 dst_sel:DWORD dst_unused:UNUSED_PAD src0_sel:WORD_0 src1_sel:DWORD
	s_movk_i32 s4, 0x200
	buffer_store_dwordx2 v[8:9], v1, s[0:3], s4 offen
	;;#ASMSTART
	s_nop 0
	;;#ASMEND
	;;#ASMSTART
	v_pk_mul_f32 v[8:9], v[10:11], v[26:27]
	;;#ASMEND
	;;#ASMSTART
	v_pk_mul_f32 v[6:7], v[6:7], v[26:27]
	;;#ASMEND
	v_cvt_i32_f32_e32 v0, v8
	v_cvt_i32_f32_sdwa v8, v9 dst_sel:BYTE_1 dst_unused:UNUSED_PAD src0_sel:DWORD
	v_cvt_i32_f32_e32 v6, v6
	v_cvt_i32_f32_sdwa v7, v7 dst_sel:BYTE_1 dst_unused:UNUSED_PAD src0_sel:DWORD
	;;#ASMSTART
	v_pk_mul_f32 v[4:5], v[4:5], v[26:27]
	;;#ASMEND
	;;#ASMSTART
	v_pk_mul_f32 v[2:3], v[2:3], v[26:27]
	;;#ASMEND
	v_cvt_i32_f32_e32 v4, v4
	v_cvt_i32_f32_sdwa v5, v5 dst_sel:BYTE_1 dst_unused:UNUSED_PAD src0_sel:DWORD
	v_cvt_i32_f32_e32 v9, v2
	v_cvt_i32_f32_sdwa v3, v3 dst_sel:BYTE_1 dst_unused:UNUSED_PAD src0_sel:DWORD
	v_or_b32_sdwa v0, v0, v8 dst_sel:DWORD dst_unused:UNUSED_PAD src0_sel:BYTE_0 src1_sel:DWORD
	v_or_b32_sdwa v2, v6, v7 dst_sel:WORD_1 dst_unused:UNUSED_PAD src0_sel:BYTE_0 src1_sel:DWORD
	v_or_b32_sdwa v2, v0, v2 dst_sel:DWORD dst_unused:UNUSED_PAD src0_sel:WORD_0 src1_sel:DWORD
	v_or_b32_sdwa v0, v4, v5 dst_sel:DWORD dst_unused:UNUSED_PAD src0_sel:BYTE_0 src1_sel:DWORD
	v_or_b32_sdwa v3, v9, v3 dst_sel:WORD_1 dst_unused:UNUSED_PAD src0_sel:BYTE_0 src1_sel:DWORD
	v_or_b32_sdwa v3, v0, v3 dst_sel:DWORD dst_unused:UNUSED_PAD src0_sel:WORD_0 src1_sel:DWORD
	s_movk_i32 s4, 0x400
	buffer_store_dwordx2 v[2:3], v1, s[0:3], s4 offen
	;;#ASMSTART
	s_nop 0
	;;#ASMEND
.LBB105_49:
	s_endpgm
.LBB105_50:
                                        ; implicit-def: $vgpr26_vgpr27
	s_branch .LBB105_37
	.section	.rodata,"a",@progbits
	.p2align	6, 0x0
	.amdhsa_kernel _ZN5aiter24add_rmsnorm_quant_kernelIDF16_aLi256ELi24ELb0ELb1ELb1ELi1EEEvPT0_PT_PfS4_S4_S4_diiiiiiib
		.amdhsa_group_segment_fixed_size 32
		.amdhsa_private_segment_fixed_size 0
		.amdhsa_kernarg_size 88
		.amdhsa_user_sgpr_count 6
		.amdhsa_user_sgpr_private_segment_buffer 1
		.amdhsa_user_sgpr_dispatch_ptr 0
		.amdhsa_user_sgpr_queue_ptr 0
		.amdhsa_user_sgpr_kernarg_segment_ptr 1
		.amdhsa_user_sgpr_dispatch_id 0
		.amdhsa_user_sgpr_flat_scratch_init 0
		.amdhsa_user_sgpr_kernarg_preload_length 0
		.amdhsa_user_sgpr_kernarg_preload_offset 0
		.amdhsa_user_sgpr_private_segment_size 0
		.amdhsa_uses_dynamic_stack 0
		.amdhsa_system_sgpr_private_segment_wavefront_offset 0
		.amdhsa_system_sgpr_workgroup_id_x 1
		.amdhsa_system_sgpr_workgroup_id_y 0
		.amdhsa_system_sgpr_workgroup_id_z 0
		.amdhsa_system_sgpr_workgroup_info 0
		.amdhsa_system_vgpr_workitem_id 0
		.amdhsa_next_free_vgpr 60
		.amdhsa_next_free_sgpr 34
		.amdhsa_accum_offset 60
		.amdhsa_reserve_vcc 1
		.amdhsa_reserve_flat_scratch 0
		.amdhsa_float_round_mode_32 0
		.amdhsa_float_round_mode_16_64 0
		.amdhsa_float_denorm_mode_32 3
		.amdhsa_float_denorm_mode_16_64 3
		.amdhsa_dx10_clamp 1
		.amdhsa_ieee_mode 1
		.amdhsa_fp16_overflow 0
		.amdhsa_tg_split 0
		.amdhsa_exception_fp_ieee_invalid_op 0
		.amdhsa_exception_fp_denorm_src 0
		.amdhsa_exception_fp_ieee_div_zero 0
		.amdhsa_exception_fp_ieee_overflow 0
		.amdhsa_exception_fp_ieee_underflow 0
		.amdhsa_exception_fp_ieee_inexact 0
		.amdhsa_exception_int_div_zero 0
	.end_amdhsa_kernel
	.section	.text._ZN5aiter24add_rmsnorm_quant_kernelIDF16_aLi256ELi24ELb0ELb1ELb1ELi1EEEvPT0_PT_PfS4_S4_S4_diiiiiiib,"axG",@progbits,_ZN5aiter24add_rmsnorm_quant_kernelIDF16_aLi256ELi24ELb0ELb1ELb1ELi1EEEvPT0_PT_PfS4_S4_S4_diiiiiiib,comdat
.Lfunc_end105:
	.size	_ZN5aiter24add_rmsnorm_quant_kernelIDF16_aLi256ELi24ELb0ELb1ELb1ELi1EEEvPT0_PT_PfS4_S4_S4_diiiiiiib, .Lfunc_end105-_ZN5aiter24add_rmsnorm_quant_kernelIDF16_aLi256ELi24ELb0ELb1ELb1ELi1EEEvPT0_PT_PfS4_S4_S4_diiiiiiib
                                        ; -- End function
	.section	.AMDGPU.csdata,"",@progbits
; Kernel info:
; codeLenInByte = 4092
; NumSgprs: 38
; NumVgprs: 60
; NumAgprs: 0
; TotalNumVgprs: 60
; ScratchSize: 0
; MemoryBound: 0
; FloatMode: 240
; IeeeMode: 1
; LDSByteSize: 32 bytes/workgroup (compile time only)
; SGPRBlocks: 4
; VGPRBlocks: 7
; NumSGPRsForWavesPerEU: 38
; NumVGPRsForWavesPerEU: 60
; AccumOffset: 60
; Occupancy: 8
; WaveLimiterHint : 0
; COMPUTE_PGM_RSRC2:SCRATCH_EN: 0
; COMPUTE_PGM_RSRC2:USER_SGPR: 6
; COMPUTE_PGM_RSRC2:TRAP_HANDLER: 0
; COMPUTE_PGM_RSRC2:TGID_X_EN: 1
; COMPUTE_PGM_RSRC2:TGID_Y_EN: 0
; COMPUTE_PGM_RSRC2:TGID_Z_EN: 0
; COMPUTE_PGM_RSRC2:TIDIG_COMP_CNT: 0
; COMPUTE_PGM_RSRC3_GFX90A:ACCUM_OFFSET: 14
; COMPUTE_PGM_RSRC3_GFX90A:TG_SPLIT: 0
	.section	.text._ZN5aiter24add_rmsnorm_quant_kernelItaLi256ELi24ELb0ELb1ELb1ELi1EEEvPT0_PT_PfS4_S4_S4_diiiiiiib,"axG",@progbits,_ZN5aiter24add_rmsnorm_quant_kernelItaLi256ELi24ELb0ELb1ELb1ELi1EEEvPT0_PT_PfS4_S4_S4_diiiiiiib,comdat
	.protected	_ZN5aiter24add_rmsnorm_quant_kernelItaLi256ELi24ELb0ELb1ELb1ELi1EEEvPT0_PT_PfS4_S4_S4_diiiiiiib ; -- Begin function _ZN5aiter24add_rmsnorm_quant_kernelItaLi256ELi24ELb0ELb1ELb1ELi1EEEvPT0_PT_PfS4_S4_S4_diiiiiiib
	.globl	_ZN5aiter24add_rmsnorm_quant_kernelItaLi256ELi24ELb0ELb1ELb1ELi1EEEvPT0_PT_PfS4_S4_S4_diiiiiiib
	.p2align	8
	.type	_ZN5aiter24add_rmsnorm_quant_kernelItaLi256ELi24ELb0ELb1ELb1ELi1EEEvPT0_PT_PfS4_S4_S4_diiiiiiib,@function
_ZN5aiter24add_rmsnorm_quant_kernelItaLi256ELi24ELb0ELb1ELb1ELi1EEEvPT0_PT_PfS4_S4_S4_diiiiiiib: ; @_ZN5aiter24add_rmsnorm_quant_kernelItaLi256ELi24ELb0ELb1ELb1ELi1EEEvPT0_PT_PfS4_S4_S4_diiiiiiib
; %bb.0:
	s_load_dwordx4 s[8:11], s[4:5], 0x38
	s_mov_b32 s7, 0
	s_waitcnt lgkmcnt(0)
	s_ashr_i32 s0, s8, 31
	v_mov_b32_e32 v2, s8
	v_mov_b32_e32 v3, s0
	v_cmp_ge_i64_e32 vcc, s[6:7], v[2:3]
	s_cbranch_vccnz .LBB106_49
; %bb.1:
	s_load_dwordx4 s[12:15], s[4:5], 0x10
	s_load_dwordx4 s[0:3], s[4:5], 0x28
	s_ashr_i32 s11, s10, 31
	s_mul_hi_u32 s16, s10, s6
	s_mul_i32 s11, s11, s6
	s_add_i32 s11, s16, s11
	s_mul_i32 s10, s10, s6
	s_lshl_b64 s[10:11], s[10:11], 1
	s_waitcnt lgkmcnt(0)
	s_add_u32 s16, s14, s10
	s_addc_u32 s10, s15, s11
	s_add_i32 s11, s9, 1
	s_lshr_b32 s14, s11, 31
	v_and_b32_e32 v2, 0x3c0, v0
	s_add_i32 s11, s11, s14
	s_and_b32 s17, s10, 0xffff
	v_lshlrev_b32_e32 v1, 3, v0
	v_mul_u32_u24_e32 v2, 24, v2
	s_movk_i32 s10, 0x1f8
	s_lshl_b32 s11, s11, 1
	v_and_or_b32 v1, v1, s10, v2
	s_and_b32 s18, s11, -4
	s_mov_b32 s19, 0x20000
	v_lshlrev_b32_e32 v22, 1, v1
	buffer_load_dwordx4 v[14:17], v22, s[16:19], 0 offen glc slc
	s_movk_i32 s10, 0x400
	buffer_load_dwordx4 v[18:21], v22, s[16:19], s10 offen glc slc
	s_movk_i32 s11, 0x800
	buffer_load_dwordx4 v[38:41], v22, s[16:19], s11 offen glc slc
	s_mov_b32 s16, s0
	s_and_b32 s17, s1, 0xffff
	buffer_load_dwordx4 v[10:13], v22, s[16:19], 0 offen
	buffer_load_dwordx4 v[6:9], v22, s[16:19], s10 offen
	;; [unrolled: 1-line block ×3, first 2 shown]
	v_and_b32_e32 v58, 63, v0
	v_cmp_eq_u32_e64 s[0:1], 63, v58
	s_waitcnt vmcnt(5)
	v_cvt_f32_u32_sdwa v37, v14 dst_sel:DWORD dst_unused:UNUSED_PAD src0_sel:WORD_1
	v_cvt_f32_u32_sdwa v36, v14 dst_sel:DWORD dst_unused:UNUSED_PAD src0_sel:WORD_0
	v_cvt_f32_u32_sdwa v35, v15 dst_sel:DWORD dst_unused:UNUSED_PAD src0_sel:WORD_1
	v_cvt_f32_u32_sdwa v34, v15 dst_sel:DWORD dst_unused:UNUSED_PAD src0_sel:WORD_0
	;; [unrolled: 2-line block ×3, first 2 shown]
	s_waitcnt vmcnt(4)
	v_cvt_f32_u32_sdwa v29, v18 dst_sel:DWORD dst_unused:UNUSED_PAD src0_sel:WORD_1
	v_cvt_f32_u32_sdwa v28, v18 dst_sel:DWORD dst_unused:UNUSED_PAD src0_sel:WORD_0
	v_cvt_f32_u32_sdwa v27, v19 dst_sel:DWORD dst_unused:UNUSED_PAD src0_sel:WORD_1
	v_cvt_f32_u32_sdwa v26, v19 dst_sel:DWORD dst_unused:UNUSED_PAD src0_sel:WORD_0
	v_cvt_f32_u32_sdwa v25, v20 dst_sel:DWORD dst_unused:UNUSED_PAD src0_sel:WORD_1
	v_cvt_f32_u32_sdwa v24, v20 dst_sel:DWORD dst_unused:UNUSED_PAD src0_sel:WORD_0
	v_cvt_f32_u32_sdwa v23, v21 dst_sel:DWORD dst_unused:UNUSED_PAD src0_sel:WORD_1
	v_cvt_f32_u32_sdwa v22, v21 dst_sel:DWORD dst_unused:UNUSED_PAD src0_sel:WORD_0
	s_waitcnt vmcnt(3)
	v_cvt_f32_u32_sdwa v21, v38 dst_sel:DWORD dst_unused:UNUSED_PAD src0_sel:WORD_1
	v_cvt_f32_u32_sdwa v20, v38 dst_sel:DWORD dst_unused:UNUSED_PAD src0_sel:WORD_0
	v_cvt_f32_u32_sdwa v19, v39 dst_sel:DWORD dst_unused:UNUSED_PAD src0_sel:WORD_1
	v_cvt_f32_u32_sdwa v18, v39 dst_sel:DWORD dst_unused:UNUSED_PAD src0_sel:WORD_0
	v_pk_mul_f32 v[38:39], v[36:37], v[36:37]
	v_cvt_f32_u32_sdwa v31, v17 dst_sel:DWORD dst_unused:UNUSED_PAD src0_sel:WORD_1
	v_cvt_f32_u32_sdwa v30, v17 dst_sel:DWORD dst_unused:UNUSED_PAD src0_sel:WORD_0
	v_cvt_f32_u32_sdwa v17, v40 dst_sel:DWORD dst_unused:UNUSED_PAD src0_sel:WORD_1
	v_cvt_f32_u32_sdwa v16, v40 dst_sel:DWORD dst_unused:UNUSED_PAD src0_sel:WORD_0
	;; [unrolled: 2-line block ×3, first 2 shown]
	v_pk_mul_f32 v[40:41], v[34:35], v[34:35]
	v_add_f32_e32 v59, v38, v39
	v_add_f32_e32 v40, v40, v59
	v_pk_mul_f32 v[42:43], v[32:33], v[32:33]
	v_add_f32_e32 v59, v41, v40
	v_add_f32_e32 v42, v42, v59
	;; [unrolled: 3-line block ×11, first 2 shown]
	v_add_f32_e32 v38, v41, v38
	s_nop 1
	v_mov_b32_dpp v39, v38 quad_perm:[1,0,3,2] row_mask:0xf bank_mask:0xf
	v_add_f32_e32 v38, v38, v39
	s_nop 1
	v_mov_b32_dpp v39, v38 quad_perm:[2,3,0,1] row_mask:0xf bank_mask:0xf
	v_add_f32_e32 v38, v38, v39
	s_nop 1
	v_mov_b32_dpp v39, v38 row_half_mirror row_mask:0xf bank_mask:0xf
	v_add_f32_e32 v38, v38, v39
	s_nop 1
	v_mov_b32_dpp v39, v38 row_mirror row_mask:0xf bank_mask:0xf
	v_add_f32_e32 v38, v38, v39
	s_nop 1
	v_mov_b32_dpp v39, v38 row_bcast:15 row_mask:0xf bank_mask:0xf
	v_add_f32_e32 v38, v38, v39
	s_nop 1
	v_mov_b32_dpp v39, v38 row_bcast:31 row_mask:0xf bank_mask:0xf
	s_and_saveexec_b64 s[10:11], s[0:1]
	s_cbranch_execz .LBB106_3
; %bb.2:
	v_lshrrev_b32_e32 v40, 4, v0
	v_and_b32_e32 v40, 60, v40
	v_add_f32_e32 v38, v38, v39
	ds_write_b32 v40, v38 offset:16
.LBB106_3:
	s_or_b64 exec, exec, s[10:11]
	v_and_b32_e32 v38, 3, v0
	v_lshlrev_b32_e32 v38, 2, v38
	s_waitcnt lgkmcnt(0)
	s_barrier
	ds_read_b32 v39, v38 offset:16
	v_cvt_f32_i32_e32 v40, s9
	s_waitcnt lgkmcnt(0)
	v_mov_b32_dpp v41, v39 quad_perm:[1,0,3,2] row_mask:0xf bank_mask:0xf
	v_add_f32_e32 v39, v39, v41
	s_nop 1
	v_mov_b32_dpp v41, v39 quad_perm:[2,3,0,1] row_mask:0xf bank_mask:0xf
	v_add_f32_e32 v39, v39, v41
	v_div_scale_f32 v41, s[10:11], v40, v40, v39
	v_rcp_f32_e32 v42, v41
	v_div_scale_f32 v43, vcc, v39, v40, v39
	s_load_dwordx2 s[10:11], s[4:5], 0x4c
	s_load_dword s18, s[4:5], 0x54
	v_fma_f32 v44, -v41, v42, 1.0
	v_fmac_f32_e32 v42, v44, v42
	v_mul_f32_e32 v44, v43, v42
	v_fma_f32 v45, -v41, v44, v43
	v_fmac_f32_e32 v44, v45, v42
	v_fma_f32 v41, -v41, v44, v43
	v_div_fmas_f32 v41, v41, v42, v44
	v_div_fixup_f32 v39, v41, v40, v39
	v_cvt_f64_f32_e32 v[40:41], v39
	v_add_f64 v[40:41], v[40:41], s[2:3]
	v_cvt_f32_f64_e32 v39, v[40:41]
	s_mov_b32 s2, 0x800000
	v_mul_f32_e32 v40, 0x4b800000, v39
	v_cmp_gt_f32_e32 vcc, s2, v39
	v_cndmask_b32_e32 v39, v39, v40, vcc
	v_rsq_f32_e32 v39, v39
	s_waitcnt lgkmcnt(0)
	s_cmp_lg_u32 s11, 0
	v_mul_f32_e32 v40, 0x45800000, v39
	v_cndmask_b32_e32 v40, v39, v40, vcc
	v_mov_b32_e32 v41, v40
	;;#ASMSTART
	v_pk_mul_f32 v[36:37], v[36:37], v[40:41]
	;;#ASMEND
	;;#ASMSTART
	v_pk_mul_f32 v[34:35], v[34:35], v[40:41]
	;;#ASMEND
	;; [unrolled: 3-line block ×12, first 2 shown]
	s_waitcnt vmcnt(2)
	v_cvt_f32_u32_sdwa v15, v10 dst_sel:DWORD dst_unused:UNUSED_PAD src0_sel:WORD_1
	v_cvt_f32_u32_sdwa v14, v10 dst_sel:DWORD dst_unused:UNUSED_PAD src0_sel:WORD_0
	v_cvt_f32_u32_sdwa v17, v11 dst_sel:DWORD dst_unused:UNUSED_PAD src0_sel:WORD_1
	v_cvt_f32_u32_sdwa v16, v11 dst_sel:DWORD dst_unused:UNUSED_PAD src0_sel:WORD_0
	;; [unrolled: 2-line block ×4, first 2 shown]
	;;#ASMSTART
	v_pk_mul_f32 v[24:25], v[36:37], v[14:15]
	;;#ASMEND
	;;#ASMSTART
	v_pk_mul_f32 v[22:23], v[34:35], v[16:17]
	;;#ASMEND
	;; [unrolled: 3-line block ×3, first 2 shown]
	s_waitcnt vmcnt(1)
	v_cvt_f32_u32_sdwa v11, v6 dst_sel:DWORD dst_unused:UNUSED_PAD src0_sel:WORD_1
	v_cvt_f32_u32_sdwa v10, v6 dst_sel:DWORD dst_unused:UNUSED_PAD src0_sel:WORD_0
	v_cvt_f32_u32_sdwa v13, v7 dst_sel:DWORD dst_unused:UNUSED_PAD src0_sel:WORD_1
	v_cvt_f32_u32_sdwa v12, v7 dst_sel:DWORD dst_unused:UNUSED_PAD src0_sel:WORD_0
	;; [unrolled: 2-line block ×3, first 2 shown]
	;;#ASMSTART
	v_pk_mul_f32 v[16:17], v[30:31], v[20:21]
	;;#ASMEND
	;;#ASMSTART
	v_pk_mul_f32 v[20:21], v[28:29], v[10:11]
	;;#ASMEND
	;; [unrolled: 3-line block ×4, first 2 shown]
	s_waitcnt vmcnt(0)
	v_cvt_f32_u32_sdwa v7, v2 dst_sel:DWORD dst_unused:UNUSED_PAD src0_sel:WORD_1
	v_cvt_f32_u32_sdwa v6, v2 dst_sel:DWORD dst_unused:UNUSED_PAD src0_sel:WORD_0
	v_cvt_f32_u32_sdwa v27, v3 dst_sel:DWORD dst_unused:UNUSED_PAD src0_sel:WORD_1
	v_cvt_f32_u32_sdwa v26, v3 dst_sel:DWORD dst_unused:UNUSED_PAD src0_sel:WORD_0
	;; [unrolled: 2-line block ×3, first 2 shown]
	v_cvt_f32_u32_sdwa v28, v5 dst_sel:DWORD dst_unused:UNUSED_PAD src0_sel:WORD_0
	v_cvt_f32_u32_sdwa v31, v9 dst_sel:DWORD dst_unused:UNUSED_PAD src0_sel:WORD_1
	v_cvt_f32_u32_sdwa v30, v9 dst_sel:DWORD dst_unused:UNUSED_PAD src0_sel:WORD_0
	;;#ASMSTART
	v_pk_mul_f32 v[8:9], v[44:45], v[30:31]
	;;#ASMEND
	v_cvt_f32_u32_sdwa v29, v5 dst_sel:DWORD dst_unused:UNUSED_PAD src0_sel:WORD_1
	;;#ASMSTART
	v_pk_mul_f32 v[10:11], v[46:47], v[6:7]
	;;#ASMEND
	;;#ASMSTART
	v_pk_mul_f32 v[6:7], v[48:49], v[26:27]
	;;#ASMEND
	;; [unrolled: 3-line block ×4, first 2 shown]
	v_and_b32_e32 v26, 0x7fffffff, v24
	v_mov_b32_e32 v28, 0x2edbe6ff
	v_and_b32_e32 v27, 0x7fffffff, v25
	;;#ASMSTART
	v_max3_f32 v26, v28, v26, v27

	;;#ASMEND
	v_and_b32_e32 v28, 0x7fffffff, v23
	v_and_b32_e32 v27, 0x7fffffff, v22
	;;#ASMSTART
	v_max3_f32 v26, v26, v27, v28

	;;#ASMEND
	v_and_b32_e32 v28, 0x7fffffff, v19
	;; [unrolled: 6-line block ×11, first 2 shown]
	v_and_b32_e32 v27, 0x7fffffff, v2
	;;#ASMSTART
	v_max3_f32 v28, v26, v27, v28

	;;#ASMEND
	s_cbranch_scc0 .LBB106_10
; %bb.4:
	s_mul_hi_i32 s2, s11, 0x2aaaaaab
	s_lshr_b32 s3, s2, 31
	s_ashr_i32 s14, s2, 2
	s_add_i32 s14, s14, s3
	s_cmp_lt_i32 s14, 16
	s_cbranch_scc1 .LBB106_11
; %bb.5:
	s_cmp_lt_i32 s14, 32
	s_cbranch_scc1 .LBB106_12
; %bb.6:
	;; [unrolled: 3-line block ×3, first 2 shown]
	s_cmp_eq_u32 s14, 64
	v_mov_b32_e32 v26, v28
	s_cbranch_scc0 .LBB106_9
; %bb.8:
	s_nop 0
	v_mov_b32_dpp v26, v28 quad_perm:[1,0,3,2] row_mask:0xf bank_mask:0xf
	v_cmp_gt_f32_e32 vcc, v28, v26
	v_cndmask_b32_e32 v26, v26, v28, vcc
	v_bfrev_b32_e32 v29, 0.5
	s_nop 0
	v_mov_b32_dpp v27, v26 quad_perm:[2,3,0,1] row_mask:0xf bank_mask:0xf
	v_cmp_gt_f32_e32 vcc, v26, v27
	v_cndmask_b32_e32 v26, v27, v26, vcc
	s_nop 1
	v_mov_b32_dpp v27, v26 row_ror:4 row_mask:0xf bank_mask:0xf
	v_cmp_gt_f32_e32 vcc, v26, v27
	v_cndmask_b32_e32 v26, v27, v26, vcc
	s_nop 1
	v_mov_b32_dpp v27, v26 row_ror:8 row_mask:0xf bank_mask:0xf
	v_cmp_gt_f32_e32 vcc, v26, v27
	v_cndmask_b32_e32 v26, v27, v26, vcc
	s_nop 1
	v_mov_b32_dpp v27, v26 row_bcast:15 row_mask:0xf bank_mask:0xf
	v_cmp_gt_f32_e32 vcc, v26, v27
	v_cndmask_b32_e32 v26, v27, v26, vcc
	s_nop 1
	v_mov_b32_dpp v27, v26 row_bcast:31 row_mask:0xf bank_mask:0xf
	v_cmp_gt_f32_e32 vcc, v26, v27
	v_cndmask_b32_e32 v26, v27, v26, vcc
	v_mbcnt_lo_u32_b32 v27, -1, 0
	v_mbcnt_hi_u32_b32 v27, -1, v27
	v_lshl_or_b32 v27, v27, 2, v29
	ds_bpermute_b32 v26, v27, v26
.LBB106_9:
	s_mov_b64 s[2:3], 0
	s_branch .LBB106_14
.LBB106_10:
	s_mov_b64 s[2:3], 0
                                        ; implicit-def: $vgpr29
                                        ; implicit-def: $vgpr26_vgpr27
	s_cbranch_execnz .LBB106_43
	s_branch .LBB106_46
.LBB106_11:
                                        ; implicit-def: $vgpr26
	s_branch .LBB106_21
.LBB106_12:
                                        ; implicit-def: $vgpr26
	s_branch .LBB106_18
.LBB106_13:
	s_mov_b64 s[2:3], -1
                                        ; implicit-def: $vgpr26
.LBB106_14:
	s_andn2_b64 vcc, exec, s[2:3]
	s_cbranch_vccnz .LBB106_17
; %bb.15:
	s_cmp_eq_u32 s14, 32
	s_waitcnt lgkmcnt(0)
	v_mov_b32_e32 v26, v28
	s_cbranch_scc0 .LBB106_17
; %bb.16:
	s_nop 0
	v_mov_b32_dpp v26, v28 quad_perm:[1,0,3,2] row_mask:0xf bank_mask:0xf
	v_cmp_gt_f32_e32 vcc, v28, v26
	v_cndmask_b32_e32 v26, v26, v28, vcc
	v_mov_b32_e32 v29, 0x7c
	s_nop 0
	v_mov_b32_dpp v27, v26 quad_perm:[2,3,0,1] row_mask:0xf bank_mask:0xf
	v_cmp_gt_f32_e32 vcc, v26, v27
	v_cndmask_b32_e32 v26, v27, v26, vcc
	s_nop 1
	v_mov_b32_dpp v27, v26 row_half_mirror row_mask:0xf bank_mask:0xf
	v_cmp_gt_f32_e32 vcc, v26, v27
	v_cndmask_b32_e32 v26, v27, v26, vcc
	s_nop 1
	v_mov_b32_dpp v27, v26 row_mirror row_mask:0xf bank_mask:0xf
	v_cmp_gt_f32_e32 vcc, v26, v27
	v_cndmask_b32_e32 v26, v27, v26, vcc
	s_nop 1
	v_mov_b32_dpp v27, v26 row_bcast:15 row_mask:0xa bank_mask:0xf
	v_cmp_gt_f32_e32 vcc, v26, v27
	v_cndmask_b32_e32 v26, v27, v26, vcc
	v_mbcnt_lo_u32_b32 v27, -1, 0
	v_mbcnt_hi_u32_b32 v27, -1, v27
	v_lshl_or_b32 v27, v27, 2, v29
	ds_bpermute_b32 v26, v27, v26
.LBB106_17:
	s_cbranch_execnz .LBB106_20
.LBB106_18:
	s_cmp_eq_u32 s14, 16
	s_waitcnt lgkmcnt(0)
	v_mov_b32_e32 v26, v28
	s_cbranch_scc0 .LBB106_20
; %bb.19:
	s_nop 0
	v_mov_b32_dpp v26, v28 quad_perm:[1,0,3,2] row_mask:0xf bank_mask:0xf
	v_cmp_gt_f32_e32 vcc, v28, v26
	v_cndmask_b32_e32 v26, v26, v28, vcc
	s_nop 1
	v_mov_b32_dpp v27, v26 quad_perm:[2,3,0,1] row_mask:0xf bank_mask:0xf
	v_cmp_gt_f32_e32 vcc, v26, v27
	v_cndmask_b32_e32 v26, v27, v26, vcc
	s_nop 1
	v_mov_b32_dpp v27, v26 row_half_mirror row_mask:0xf bank_mask:0xf
	v_cmp_gt_f32_e32 vcc, v26, v27
	v_cndmask_b32_e32 v26, v27, v26, vcc
	s_nop 1
	v_mov_b32_dpp v27, v26 row_mirror row_mask:0xf bank_mask:0xf
	v_cmp_gt_f32_e32 vcc, v26, v27
	v_cndmask_b32_e32 v26, v27, v26, vcc
.LBB106_20:
	s_cbranch_execnz .LBB106_33
.LBB106_21:
	s_cmp_lt_i32 s14, 4
	s_cbranch_scc1 .LBB106_25
; %bb.22:
	s_cmp_lt_i32 s14, 8
	s_cbranch_scc1 .LBB106_26
; %bb.23:
	s_cmp_eq_u32 s14, 8
	s_waitcnt lgkmcnt(0)
	v_mov_b32_e32 v26, v28
	s_cbranch_scc0 .LBB106_27
; %bb.24:
	s_nop 0
	v_mov_b32_dpp v26, v28 quad_perm:[1,0,3,2] row_mask:0xf bank_mask:0xf
	v_cmp_gt_f32_e32 vcc, v28, v26
	v_cndmask_b32_e32 v26, v26, v28, vcc
	s_nop 1
	v_mov_b32_dpp v27, v26 quad_perm:[2,3,0,1] row_mask:0xf bank_mask:0xf
	v_cmp_gt_f32_e32 vcc, v26, v27
	v_cndmask_b32_e32 v26, v27, v26, vcc
	s_nop 1
	v_mov_b32_dpp v27, v26 row_half_mirror row_mask:0xf bank_mask:0xf
	v_cmp_gt_f32_e32 vcc, v26, v27
	v_cndmask_b32_e32 v26, v27, v26, vcc
	s_cbranch_execz .LBB106_28
	s_branch .LBB106_30
.LBB106_25:
                                        ; implicit-def: $vgpr26
	s_branch .LBB106_31
.LBB106_26:
                                        ; implicit-def: $vgpr26
	s_branch .LBB106_28
.LBB106_27:
	s_cbranch_execnz .LBB106_30
.LBB106_28:
	s_cmp_eq_u32 s14, 4
	s_waitcnt lgkmcnt(0)
	v_mov_b32_e32 v26, v28
	s_cbranch_scc0 .LBB106_30
; %bb.29:
	s_nop 0
	v_mov_b32_dpp v26, v28 quad_perm:[1,0,3,2] row_mask:0xf bank_mask:0xf
	v_cmp_gt_f32_e32 vcc, v28, v26
	v_cndmask_b32_e32 v26, v26, v28, vcc
	s_nop 1
	v_mov_b32_dpp v27, v26 quad_perm:[2,3,0,1] row_mask:0xf bank_mask:0xf
	v_cmp_gt_f32_e32 vcc, v26, v27
	v_cndmask_b32_e32 v26, v27, v26, vcc
.LBB106_30:
	s_cbranch_execnz .LBB106_33
.LBB106_31:
	s_cmp_lg_u32 s14, 2
	s_waitcnt lgkmcnt(0)
	v_mov_b32_e32 v26, v28
	s_cbranch_scc1 .LBB106_33
; %bb.32:
	s_nop 0
	v_mov_b32_dpp v26, v28 quad_perm:[1,0,3,2] row_mask:0xf bank_mask:0xf
	v_cmp_gt_f32_e32 vcc, v28, v26
	v_cndmask_b32_e32 v26, v26, v28, vcc
.LBB106_33:
	v_cvt_f32_u32_e32 v27, s14
	s_waitcnt lgkmcnt(0)
	v_mul_f32_e32 v29, 0x3c010204, v26
	s_sub_i32 s2, 0, s14
	v_rcp_iflag_f32_e32 v27, v27
	v_mul_f32_e32 v26, 0x4f7ffffe, v27
	v_cvt_u32_f32_e32 v26, v26
	v_mul_u32_u24_e32 v27, 24, v0
	v_cmp_gt_u32_e32 vcc, s9, v27
	v_mul_lo_u32 v27, s2, v26
	v_mul_hi_u32 v27, v26, v27
	v_add_u32_e32 v26, v26, v27
	v_mul_hi_u32 v26, v0, v26
	v_mul_lo_u32 v27, v26, s14
	v_sub_u32_e32 v27, v0, v27
	v_add_u32_e32 v30, 1, v26
	v_cmp_le_u32_e64 s[2:3], s14, v27
	v_cndmask_b32_e64 v26, v26, v30, s[2:3]
	v_subrev_u32_e32 v30, s14, v27
	v_cndmask_b32_e64 v27, v27, v30, s[2:3]
	v_add_u32_e32 v30, 1, v26
	v_cmp_le_u32_e64 s[2:3], s14, v27
	v_cndmask_b32_e64 v30, v26, v30, s[2:3]
	v_mul_lo_u32 v26, v30, s14
	v_sub_u32_e32 v26, v0, v26
	v_cmp_eq_u32_e64 s[2:3], 0, v26
	s_and_b64 s[16:17], s[2:3], vcc
	s_mov_b64 s[14:15], 0
	s_mov_b64 s[2:3], 0
                                        ; implicit-def: $vgpr26_vgpr27
	s_and_saveexec_b64 s[20:21], s[16:17]
	s_xor_b64 s[16:17], exec, s[20:21]
	s_cbranch_execz .LBB106_42
; %bb.34:
	s_bitcmp0_b32 s18, 0
	s_cbranch_scc0 .LBB106_39
; %bb.35:
	s_ashr_i32 s2, s9, 31
	s_mul_hi_u32 s3, s9, s6
	s_mul_i32 s2, s2, s6
	s_add_i32 s21, s3, s2
	s_mul_i32 s20, s9, s6
	s_ashr_i32 s19, s11, 31
	s_mov_b32 s18, s11
	s_or_b64 s[2:3], s[20:21], s[18:19]
	s_mov_b32 s2, 0
	s_cmp_lg_u64 s[2:3], 0
	s_cbranch_scc0 .LBB106_50
; %bb.36:
	s_add_u32 s2, s18, s19
	s_mov_b32 s24, s19
	s_mov_b32 s25, s19
	s_addc_u32 s3, s19, s19
	s_xor_b64 s[26:27], s[2:3], s[24:25]
	v_cvt_f32_u32_e32 v26, s26
	v_cvt_f32_u32_e32 v27, s27
	s_sub_u32 s2, 0, s26
	s_subb_u32 s3, 0, s27
	v_madmk_f32 v26, v27, 0x4f800000, v26
	v_rcp_f32_e32 v26, v26
	v_mul_f32_e32 v26, 0x5f7ffffc, v26
	v_mul_f32_e32 v27, 0x2f800000, v26
	v_trunc_f32_e32 v27, v27
	v_madmk_f32 v26, v27, 0xcf800000, v26
	v_cvt_u32_f32_e32 v27, v27
	v_cvt_u32_f32_e32 v26, v26
	v_readfirstlane_b32 s11, v27
	v_readfirstlane_b32 s19, v26
	s_mul_i32 s28, s2, s11
	s_mul_hi_u32 s30, s2, s19
	s_mul_i32 s29, s3, s19
	s_add_i32 s28, s30, s28
	s_add_i32 s28, s28, s29
	s_mul_i32 s31, s2, s19
	s_mul_hi_u32 s29, s19, s28
	s_mul_i32 s30, s19, s28
	s_mul_hi_u32 s19, s19, s31
	s_add_u32 s19, s19, s30
	s_addc_u32 s29, 0, s29
	s_mul_hi_u32 s33, s11, s31
	s_mul_i32 s31, s11, s31
	s_add_u32 s19, s19, s31
	s_mul_hi_u32 s30, s11, s28
	s_addc_u32 s19, s29, s33
	s_addc_u32 s29, s30, 0
	s_mul_i32 s28, s11, s28
	s_add_u32 s19, s19, s28
	s_addc_u32 s28, 0, s29
	v_add_co_u32_e32 v26, vcc, s19, v26
	s_cmp_lg_u64 vcc, 0
	s_addc_u32 s11, s11, s28
	v_readfirstlane_b32 s28, v26
	s_mul_i32 s19, s2, s11
	s_mul_hi_u32 s29, s2, s28
	s_add_i32 s19, s29, s19
	s_mul_i32 s3, s3, s28
	s_add_i32 s19, s19, s3
	s_mul_i32 s2, s2, s28
	s_mul_hi_u32 s29, s11, s2
	s_mul_i32 s30, s11, s2
	s_mul_i32 s33, s28, s19
	s_mul_hi_u32 s2, s28, s2
	s_mul_hi_u32 s31, s28, s19
	s_add_u32 s2, s2, s33
	s_addc_u32 s28, 0, s31
	s_add_u32 s2, s2, s30
	s_mul_hi_u32 s3, s11, s19
	s_addc_u32 s2, s28, s29
	s_addc_u32 s3, s3, 0
	s_mul_i32 s19, s11, s19
	s_add_u32 s2, s2, s19
	s_addc_u32 s3, 0, s3
	v_add_co_u32_e32 v26, vcc, s2, v26
	s_cmp_lg_u64 vcc, 0
	s_addc_u32 s11, s11, s3
	s_ashr_i32 s28, s21, 31
	s_add_u32 s2, s20, s28
	s_mov_b32 s29, s28
	s_addc_u32 s3, s21, s28
	s_xor_b64 s[30:31], s[2:3], s[28:29]
	v_readfirstlane_b32 s19, v26
	s_mul_i32 s3, s30, s11
	s_mul_hi_u32 s21, s30, s19
	s_mul_hi_u32 s2, s30, s11
	s_add_u32 s3, s21, s3
	s_addc_u32 s2, 0, s2
	s_mul_hi_u32 s33, s31, s19
	s_mul_i32 s19, s31, s19
	s_add_u32 s3, s3, s19
	s_mul_hi_u32 s21, s31, s11
	s_addc_u32 s2, s2, s33
	s_addc_u32 s3, s21, 0
	s_mul_i32 s11, s31, s11
	s_add_u32 s11, s2, s11
	s_addc_u32 s19, 0, s3
	s_mul_i32 s2, s26, s19
	s_mul_hi_u32 s3, s26, s11
	s_add_i32 s2, s3, s2
	s_mul_i32 s3, s27, s11
	s_add_i32 s21, s2, s3
	s_mul_i32 s3, s26, s11
	v_mov_b32_e32 v26, s3
	s_sub_i32 s2, s31, s21
	v_sub_co_u32_e32 v26, vcc, s30, v26
	s_cmp_lg_u64 vcc, 0
	s_subb_u32 s30, s2, s27
	v_subrev_co_u32_e64 v27, s[2:3], s26, v26
	s_cmp_lg_u64 s[2:3], 0
	s_subb_u32 s30, s30, 0
	s_cmp_ge_u32 s30, s27
	s_cselect_b32 s33, -1, 0
	v_cmp_le_u32_e64 s[2:3], s26, v27
	s_cmp_eq_u32 s30, s27
	v_cndmask_b32_e64 v27, 0, -1, s[2:3]
	v_mov_b32_e32 v31, s33
	s_cselect_b64 s[2:3], -1, 0
	v_cndmask_b32_e64 v27, v31, v27, s[2:3]
	s_add_u32 s2, s11, 1
	s_addc_u32 s30, s19, 0
	s_add_u32 s3, s11, 2
	s_addc_u32 s33, s19, 0
	v_mov_b32_e32 v31, s2
	v_mov_b32_e32 v32, s3
	v_cmp_ne_u32_e64 s[2:3], 0, v27
	v_cndmask_b32_e64 v27, v31, v32, s[2:3]
	v_mov_b32_e32 v31, s30
	v_mov_b32_e32 v32, s33
	s_cmp_lg_u64 vcc, 0
	v_cndmask_b32_e64 v31, v31, v32, s[2:3]
	s_subb_u32 s2, s31, s21
	s_cmp_ge_u32 s2, s27
	s_cselect_b32 s3, -1, 0
	v_cmp_le_u32_e32 vcc, s26, v26
	s_cmp_eq_u32 s2, s27
	v_cndmask_b32_e64 v26, 0, -1, vcc
	v_mov_b32_e32 v32, s3
	s_cselect_b64 vcc, -1, 0
	v_cndmask_b32_e32 v26, v32, v26, vcc
	v_mov_b32_e32 v32, s19
	v_cmp_ne_u32_e32 vcc, 0, v26
	v_cndmask_b32_e32 v26, v32, v31, vcc
	v_mov_b32_e32 v31, s11
	v_cndmask_b32_e32 v27, v31, v27, vcc
	s_xor_b64 s[2:3], s[28:29], s[24:25]
	v_xor_b32_e32 v27, s2, v27
	v_xor_b32_e32 v31, s3, v26
	v_mov_b32_e32 v32, s3
	v_subrev_co_u32_e32 v26, vcc, s2, v27
	v_subb_co_u32_e32 v27, vcc, v31, v32, vcc
	s_cbranch_execnz .LBB106_38
.LBB106_37:
	v_cvt_f32_u32_e32 v26, s18
	s_sub_i32 s2, 0, s18
	s_mov_b32 s3, 0
	v_rcp_iflag_f32_e32 v26, v26
	v_mul_f32_e32 v26, 0x4f7ffffe, v26
	v_cvt_u32_f32_e32 v26, v26
	v_readfirstlane_b32 s11, v26
	s_mul_i32 s2, s2, s11
	s_mul_hi_u32 s2, s11, s2
	s_add_i32 s11, s11, s2
	s_mul_hi_u32 s2, s20, s11
	s_mul_i32 s19, s2, s18
	s_sub_i32 s19, s20, s19
	s_add_i32 s11, s2, 1
	s_sub_i32 s20, s19, s18
	s_cmp_ge_u32 s19, s18
	s_cselect_b32 s2, s11, s2
	s_cselect_b32 s19, s20, s19
	s_add_i32 s11, s2, 1
	s_cmp_ge_u32 s19, s18
	s_cselect_b32 s2, s11, s2
	v_pk_mov_b32 v[26:27], s[2:3], s[2:3] op_sel:[0,1]
.LBB106_38:
	v_add_co_u32_e32 v26, vcc, v26, v30
	v_addc_co_u32_e32 v27, vcc, 0, v27, vcc
	s_branch .LBB106_41
.LBB106_39:
                                        ; implicit-def: $vgpr26_vgpr27
	s_cbranch_execz .LBB106_41
; %bb.40:
	v_mul_lo_u32 v26, v30, s8
	v_ashrrev_i32_e32 v27, 31, v26
	v_mov_b32_e32 v30, s7
	v_add_co_u32_e32 v26, vcc, s6, v26
	v_addc_co_u32_e32 v27, vcc, v27, v30, vcc
.LBB106_41:
	s_mov_b64 s[2:3], exec
.LBB106_42:
	s_or_b64 exec, exec, s[16:17]
	s_and_b64 vcc, exec, s[14:15]
	s_cbranch_vccz .LBB106_46
.LBB106_43:
	v_mov_b32_dpp v26, v28 quad_perm:[1,0,3,2] row_mask:0xf bank_mask:0xf
	v_cmp_gt_f32_e32 vcc, v28, v26
	v_cndmask_b32_e32 v26, v26, v28, vcc
	s_nop 1
	v_mov_b32_dpp v27, v26 quad_perm:[2,3,0,1] row_mask:0xf bank_mask:0xf
	v_cmp_gt_f32_e32 vcc, v26, v27
	v_cndmask_b32_e32 v26, v27, v26, vcc
	s_nop 1
	v_mov_b32_dpp v27, v26 row_half_mirror row_mask:0xf bank_mask:0xf
	v_cmp_gt_f32_e32 vcc, v26, v27
	v_cndmask_b32_e32 v26, v27, v26, vcc
	s_nop 1
	v_mov_b32_dpp v27, v26 row_mirror row_mask:0xf bank_mask:0xf
	v_cmp_gt_f32_e32 vcc, v26, v27
	v_cndmask_b32_e32 v26, v27, v26, vcc
	s_nop 1
	v_mov_b32_dpp v27, v26 row_bcast:15 row_mask:0xf bank_mask:0xf
	v_cmp_gt_f32_e32 vcc, v26, v27
	v_cndmask_b32_e32 v26, v27, v26, vcc
	s_nop 1
	v_mov_b32_dpp v27, v26 row_bcast:31 row_mask:0xf bank_mask:0xf
	s_and_saveexec_b64 s[2:3], s[0:1]
	s_cbranch_execz .LBB106_45
; %bb.44:
	v_lshrrev_b32_e32 v28, 4, v0
	v_cmp_gt_f32_e32 vcc, v26, v27
	v_and_b32_e32 v28, 60, v28
	v_cndmask_b32_e32 v26, v27, v26, vcc
	ds_write_b32 v28, v26
.LBB106_45:
	s_or_b64 exec, exec, s[2:3]
	s_waitcnt lgkmcnt(0)
	s_barrier
	ds_read_b32 v26, v38
	v_cmp_eq_u32_e64 s[2:3], 0, v0
	s_waitcnt lgkmcnt(0)
	v_mov_b32_dpp v27, v26 quad_perm:[1,0,3,2] row_mask:0xf bank_mask:0xf
	v_cmp_gt_f32_e32 vcc, v26, v27
	v_cndmask_b32_e32 v26, v27, v26, vcc
	s_nop 1
	v_mov_b32_dpp v27, v26 quad_perm:[2,3,0,1] row_mask:0xf bank_mask:0xf
	v_cmp_gt_f32_e32 vcc, v26, v27
	v_cndmask_b32_e32 v26, v27, v26, vcc
	v_mul_f32_e32 v29, 0x3c010204, v26
	v_pk_mov_b32 v[26:27], s[6:7], s[6:7] op_sel:[0,1]
.LBB106_46:
	s_and_saveexec_b64 s[0:1], s[2:3]
	s_cbranch_execz .LBB106_48
; %bb.47:
	v_lshlrev_b64 v[26:27], 2, v[26:27]
	v_mov_b32_e32 v0, s13
	v_add_co_u32_e32 v26, vcc, s12, v26
	v_addc_co_u32_e32 v27, vcc, v0, v27, vcc
	global_store_dword v[26:27], v29, off
.LBB106_48:
	s_or_b64 exec, exec, s[0:1]
	s_add_i32 s2, s9, 3
	s_load_dwordx2 s[0:1], s[4:5], 0x0
	s_ashr_i32 s3, s2, 31
	;;#ASMSTART
	v_rcp_f32 v26, v29
	;;#ASMEND
	v_mov_b32_e32 v27, v26
	;;#ASMSTART
	v_pk_mul_f32 v[24:25], v[24:25], v[26:27]
	;;#ASMEND
	;;#ASMSTART
	v_pk_mul_f32 v[22:23], v[22:23], v[26:27]
	;;#ASMEND
	s_lshr_b32 s3, s3, 30
	v_cvt_i32_f32_e32 v0, v24
	v_cvt_i32_f32_sdwa v24, v25 dst_sel:BYTE_1 dst_unused:UNUSED_PAD src0_sel:DWORD
	v_cvt_i32_f32_e32 v22, v22
	v_cvt_i32_f32_sdwa v23, v23 dst_sel:BYTE_1 dst_unused:UNUSED_PAD src0_sel:DWORD
	;;#ASMSTART
	v_pk_mul_f32 v[18:19], v[18:19], v[26:27]
	;;#ASMEND
	;;#ASMSTART
	v_pk_mul_f32 v[16:17], v[16:17], v[26:27]
	;;#ASMEND
	s_add_i32 s2, s2, s3
	s_ashr_i32 s3, s10, 31
	v_cvt_i32_f32_e32 v18, v18
	v_cvt_i32_f32_sdwa v19, v19 dst_sel:BYTE_1 dst_unused:UNUSED_PAD src0_sel:DWORD
	v_cvt_i32_f32_e32 v25, v16
	v_cvt_i32_f32_sdwa v17, v17 dst_sel:BYTE_1 dst_unused:UNUSED_PAD src0_sel:DWORD
	s_mul_hi_u32 s4, s10, s6
	s_mul_i32 s3, s3, s6
	s_and_b32 s2, s2, -4
	s_add_i32 s4, s4, s3
	s_mul_i32 s3, s10, s6
	s_waitcnt lgkmcnt(0)
	s_add_u32 s0, s0, s3
	v_or_b32_sdwa v0, v0, v24 dst_sel:DWORD dst_unused:UNUSED_PAD src0_sel:BYTE_0 src1_sel:DWORD
	v_or_b32_sdwa v16, v22, v23 dst_sel:WORD_1 dst_unused:UNUSED_PAD src0_sel:BYTE_0 src1_sel:DWORD
	s_addc_u32 s1, s1, s4
	v_or_b32_sdwa v16, v0, v16 dst_sel:DWORD dst_unused:UNUSED_PAD src0_sel:WORD_0 src1_sel:DWORD
	v_or_b32_sdwa v0, v18, v19 dst_sel:DWORD dst_unused:UNUSED_PAD src0_sel:BYTE_0 src1_sel:DWORD
	v_or_b32_sdwa v17, v25, v17 dst_sel:WORD_1 dst_unused:UNUSED_PAD src0_sel:BYTE_0 src1_sel:DWORD
	s_and_b32 s1, s1, 0xffff
	s_mov_b32 s3, 0x20000
	v_or_b32_sdwa v17, v0, v17 dst_sel:DWORD dst_unused:UNUSED_PAD src0_sel:WORD_0 src1_sel:DWORD
	buffer_store_dwordx2 v[16:17], v1, s[0:3], 0 offen
	;;#ASMSTART
	s_nop 0
	;;#ASMEND
	;;#ASMSTART
	v_pk_mul_f32 v[16:17], v[20:21], v[26:27]
	;;#ASMEND
	;;#ASMSTART
	v_pk_mul_f32 v[14:15], v[14:15], v[26:27]
	;;#ASMEND
	v_cvt_i32_f32_e32 v0, v16
	v_cvt_i32_f32_sdwa v16, v17 dst_sel:BYTE_1 dst_unused:UNUSED_PAD src0_sel:DWORD
	v_cvt_i32_f32_e32 v14, v14
	v_cvt_i32_f32_sdwa v15, v15 dst_sel:BYTE_1 dst_unused:UNUSED_PAD src0_sel:DWORD
	;;#ASMSTART
	v_pk_mul_f32 v[12:13], v[12:13], v[26:27]
	;;#ASMEND
	;;#ASMSTART
	v_pk_mul_f32 v[8:9], v[8:9], v[26:27]
	;;#ASMEND
	v_cvt_i32_f32_e32 v12, v12
	v_cvt_i32_f32_sdwa v13, v13 dst_sel:BYTE_1 dst_unused:UNUSED_PAD src0_sel:DWORD
	v_cvt_i32_f32_e32 v17, v8
	v_cvt_i32_f32_sdwa v9, v9 dst_sel:BYTE_1 dst_unused:UNUSED_PAD src0_sel:DWORD
	v_or_b32_sdwa v0, v0, v16 dst_sel:DWORD dst_unused:UNUSED_PAD src0_sel:BYTE_0 src1_sel:DWORD
	v_or_b32_sdwa v8, v14, v15 dst_sel:WORD_1 dst_unused:UNUSED_PAD src0_sel:BYTE_0 src1_sel:DWORD
	v_or_b32_sdwa v8, v0, v8 dst_sel:DWORD dst_unused:UNUSED_PAD src0_sel:WORD_0 src1_sel:DWORD
	v_or_b32_sdwa v0, v12, v13 dst_sel:DWORD dst_unused:UNUSED_PAD src0_sel:BYTE_0 src1_sel:DWORD
	v_or_b32_sdwa v9, v17, v9 dst_sel:WORD_1 dst_unused:UNUSED_PAD src0_sel:BYTE_0 src1_sel:DWORD
	v_or_b32_sdwa v9, v0, v9 dst_sel:DWORD dst_unused:UNUSED_PAD src0_sel:WORD_0 src1_sel:DWORD
	s_movk_i32 s4, 0x200
	buffer_store_dwordx2 v[8:9], v1, s[0:3], s4 offen
	;;#ASMSTART
	s_nop 0
	;;#ASMEND
	;;#ASMSTART
	v_pk_mul_f32 v[8:9], v[10:11], v[26:27]
	;;#ASMEND
	;;#ASMSTART
	v_pk_mul_f32 v[6:7], v[6:7], v[26:27]
	;;#ASMEND
	v_cvt_i32_f32_e32 v0, v8
	v_cvt_i32_f32_sdwa v8, v9 dst_sel:BYTE_1 dst_unused:UNUSED_PAD src0_sel:DWORD
	v_cvt_i32_f32_e32 v6, v6
	v_cvt_i32_f32_sdwa v7, v7 dst_sel:BYTE_1 dst_unused:UNUSED_PAD src0_sel:DWORD
	;;#ASMSTART
	v_pk_mul_f32 v[4:5], v[4:5], v[26:27]
	;;#ASMEND
	;;#ASMSTART
	v_pk_mul_f32 v[2:3], v[2:3], v[26:27]
	;;#ASMEND
	v_cvt_i32_f32_e32 v4, v4
	v_cvt_i32_f32_sdwa v5, v5 dst_sel:BYTE_1 dst_unused:UNUSED_PAD src0_sel:DWORD
	v_cvt_i32_f32_e32 v9, v2
	v_cvt_i32_f32_sdwa v3, v3 dst_sel:BYTE_1 dst_unused:UNUSED_PAD src0_sel:DWORD
	v_or_b32_sdwa v0, v0, v8 dst_sel:DWORD dst_unused:UNUSED_PAD src0_sel:BYTE_0 src1_sel:DWORD
	v_or_b32_sdwa v2, v6, v7 dst_sel:WORD_1 dst_unused:UNUSED_PAD src0_sel:BYTE_0 src1_sel:DWORD
	v_or_b32_sdwa v2, v0, v2 dst_sel:DWORD dst_unused:UNUSED_PAD src0_sel:WORD_0 src1_sel:DWORD
	v_or_b32_sdwa v0, v4, v5 dst_sel:DWORD dst_unused:UNUSED_PAD src0_sel:BYTE_0 src1_sel:DWORD
	v_or_b32_sdwa v3, v9, v3 dst_sel:WORD_1 dst_unused:UNUSED_PAD src0_sel:BYTE_0 src1_sel:DWORD
	v_or_b32_sdwa v3, v0, v3 dst_sel:DWORD dst_unused:UNUSED_PAD src0_sel:WORD_0 src1_sel:DWORD
	s_movk_i32 s4, 0x400
	buffer_store_dwordx2 v[2:3], v1, s[0:3], s4 offen
	;;#ASMSTART
	s_nop 0
	;;#ASMEND
.LBB106_49:
	s_endpgm
.LBB106_50:
                                        ; implicit-def: $vgpr26_vgpr27
	s_branch .LBB106_37
	.section	.rodata,"a",@progbits
	.p2align	6, 0x0
	.amdhsa_kernel _ZN5aiter24add_rmsnorm_quant_kernelItaLi256ELi24ELb0ELb1ELb1ELi1EEEvPT0_PT_PfS4_S4_S4_diiiiiiib
		.amdhsa_group_segment_fixed_size 32
		.amdhsa_private_segment_fixed_size 0
		.amdhsa_kernarg_size 88
		.amdhsa_user_sgpr_count 6
		.amdhsa_user_sgpr_private_segment_buffer 1
		.amdhsa_user_sgpr_dispatch_ptr 0
		.amdhsa_user_sgpr_queue_ptr 0
		.amdhsa_user_sgpr_kernarg_segment_ptr 1
		.amdhsa_user_sgpr_dispatch_id 0
		.amdhsa_user_sgpr_flat_scratch_init 0
		.amdhsa_user_sgpr_kernarg_preload_length 0
		.amdhsa_user_sgpr_kernarg_preload_offset 0
		.amdhsa_user_sgpr_private_segment_size 0
		.amdhsa_uses_dynamic_stack 0
		.amdhsa_system_sgpr_private_segment_wavefront_offset 0
		.amdhsa_system_sgpr_workgroup_id_x 1
		.amdhsa_system_sgpr_workgroup_id_y 0
		.amdhsa_system_sgpr_workgroup_id_z 0
		.amdhsa_system_sgpr_workgroup_info 0
		.amdhsa_system_vgpr_workitem_id 0
		.amdhsa_next_free_vgpr 60
		.amdhsa_next_free_sgpr 34
		.amdhsa_accum_offset 60
		.amdhsa_reserve_vcc 1
		.amdhsa_reserve_flat_scratch 0
		.amdhsa_float_round_mode_32 0
		.amdhsa_float_round_mode_16_64 0
		.amdhsa_float_denorm_mode_32 3
		.amdhsa_float_denorm_mode_16_64 3
		.amdhsa_dx10_clamp 1
		.amdhsa_ieee_mode 1
		.amdhsa_fp16_overflow 0
		.amdhsa_tg_split 0
		.amdhsa_exception_fp_ieee_invalid_op 0
		.amdhsa_exception_fp_denorm_src 0
		.amdhsa_exception_fp_ieee_div_zero 0
		.amdhsa_exception_fp_ieee_overflow 0
		.amdhsa_exception_fp_ieee_underflow 0
		.amdhsa_exception_fp_ieee_inexact 0
		.amdhsa_exception_int_div_zero 0
	.end_amdhsa_kernel
	.section	.text._ZN5aiter24add_rmsnorm_quant_kernelItaLi256ELi24ELb0ELb1ELb1ELi1EEEvPT0_PT_PfS4_S4_S4_diiiiiiib,"axG",@progbits,_ZN5aiter24add_rmsnorm_quant_kernelItaLi256ELi24ELb0ELb1ELb1ELi1EEEvPT0_PT_PfS4_S4_S4_diiiiiiib,comdat
.Lfunc_end106:
	.size	_ZN5aiter24add_rmsnorm_quant_kernelItaLi256ELi24ELb0ELb1ELb1ELi1EEEvPT0_PT_PfS4_S4_S4_diiiiiiib, .Lfunc_end106-_ZN5aiter24add_rmsnorm_quant_kernelItaLi256ELi24ELb0ELb1ELb1ELi1EEEvPT0_PT_PfS4_S4_S4_diiiiiiib
                                        ; -- End function
	.section	.AMDGPU.csdata,"",@progbits
; Kernel info:
; codeLenInByte = 4188
; NumSgprs: 38
; NumVgprs: 60
; NumAgprs: 0
; TotalNumVgprs: 60
; ScratchSize: 0
; MemoryBound: 0
; FloatMode: 240
; IeeeMode: 1
; LDSByteSize: 32 bytes/workgroup (compile time only)
; SGPRBlocks: 4
; VGPRBlocks: 7
; NumSGPRsForWavesPerEU: 38
; NumVGPRsForWavesPerEU: 60
; AccumOffset: 60
; Occupancy: 8
; WaveLimiterHint : 0
; COMPUTE_PGM_RSRC2:SCRATCH_EN: 0
; COMPUTE_PGM_RSRC2:USER_SGPR: 6
; COMPUTE_PGM_RSRC2:TRAP_HANDLER: 0
; COMPUTE_PGM_RSRC2:TGID_X_EN: 1
; COMPUTE_PGM_RSRC2:TGID_Y_EN: 0
; COMPUTE_PGM_RSRC2:TGID_Z_EN: 0
; COMPUTE_PGM_RSRC2:TIDIG_COMP_CNT: 0
; COMPUTE_PGM_RSRC3_GFX90A:ACCUM_OFFSET: 14
; COMPUTE_PGM_RSRC3_GFX90A:TG_SPLIT: 0
	.section	.text._ZN5aiter24add_rmsnorm_quant_kernelIDF16_aLi256ELi24ELb0ELb1ELb0ELi1EEEvPT0_PT_PfS4_S4_S4_diiiiiiib,"axG",@progbits,_ZN5aiter24add_rmsnorm_quant_kernelIDF16_aLi256ELi24ELb0ELb1ELb0ELi1EEEvPT0_PT_PfS4_S4_S4_diiiiiiib,comdat
	.protected	_ZN5aiter24add_rmsnorm_quant_kernelIDF16_aLi256ELi24ELb0ELb1ELb0ELi1EEEvPT0_PT_PfS4_S4_S4_diiiiiiib ; -- Begin function _ZN5aiter24add_rmsnorm_quant_kernelIDF16_aLi256ELi24ELb0ELb1ELb0ELi1EEEvPT0_PT_PfS4_S4_S4_diiiiiiib
	.globl	_ZN5aiter24add_rmsnorm_quant_kernelIDF16_aLi256ELi24ELb0ELb1ELb0ELi1EEEvPT0_PT_PfS4_S4_S4_diiiiiiib
	.p2align	8
	.type	_ZN5aiter24add_rmsnorm_quant_kernelIDF16_aLi256ELi24ELb0ELb1ELb0ELi1EEEvPT0_PT_PfS4_S4_S4_diiiiiiib,@function
_ZN5aiter24add_rmsnorm_quant_kernelIDF16_aLi256ELi24ELb0ELb1ELb0ELi1EEEvPT0_PT_PfS4_S4_S4_diiiiiiib: ; @_ZN5aiter24add_rmsnorm_quant_kernelIDF16_aLi256ELi24ELb0ELb1ELb0ELi1EEEvPT0_PT_PfS4_S4_S4_diiiiiiib
; %bb.0:
	s_load_dwordx4 s[8:11], s[4:5], 0x38
	s_mov_b32 s7, 0
	s_waitcnt lgkmcnt(0)
	s_ashr_i32 s0, s8, 31
	v_mov_b32_e32 v2, s8
	v_mov_b32_e32 v3, s0
	v_cmp_ge_i64_e32 vcc, s[6:7], v[2:3]
	s_cbranch_vccnz .LBB107_49
; %bb.1:
	s_load_dwordx4 s[12:15], s[4:5], 0x10
	s_load_dwordx4 s[0:3], s[4:5], 0x28
	s_ashr_i32 s11, s10, 31
	s_mul_hi_u32 s16, s10, s6
	s_mul_i32 s11, s11, s6
	s_add_i32 s11, s16, s11
	s_mul_i32 s10, s10, s6
	s_lshl_b64 s[10:11], s[10:11], 1
	s_waitcnt lgkmcnt(0)
	s_add_u32 s16, s14, s10
	s_addc_u32 s10, s15, s11
	s_add_i32 s11, s9, 1
	s_lshr_b32 s14, s11, 31
	s_add_i32 s11, s11, s14
	s_lshl_b32 s11, s11, 1
	s_and_b32 s18, s11, -4
	s_and_b32 s17, s10, 0xffff
	s_mov_b32 s19, 0x20000
	v_mul_u32_u24_e32 v1, 48, v0
	buffer_load_dwordx4 v[14:17], v1, s[16:19], 0 offen
	buffer_load_dwordx4 v[18:21], v1, s[16:19], 16 offen
	;; [unrolled: 1-line block ×3, first 2 shown]
	s_mov_b32 s16, s0
	s_and_b32 s17, s1, 0xffff
	buffer_load_dwordx4 v[10:13], v1, s[16:19], 0 offen
	buffer_load_dwordx4 v[6:9], v1, s[16:19], 16 offen
	;; [unrolled: 1-line block ×3, first 2 shown]
	v_and_b32_e32 v60, 63, v0
	v_cmp_eq_u32_e64 s[0:1], 63, v60
	s_waitcnt vmcnt(5)
	v_cvt_f32_f16_e32 v36, v14
	v_cvt_f32_f16_sdwa v37, v14 dst_sel:DWORD dst_unused:UNUSED_PAD src0_sel:WORD_1
	v_cvt_f32_f16_e32 v34, v15
	v_cvt_f32_f16_sdwa v35, v15 dst_sel:DWORD dst_unused:UNUSED_PAD src0_sel:WORD_1
	;; [unrolled: 2-line block ×3, first 2 shown]
	s_waitcnt vmcnt(4)
	v_cvt_f32_f16_e32 v28, v18
	v_cvt_f32_f16_sdwa v29, v18 dst_sel:DWORD dst_unused:UNUSED_PAD src0_sel:WORD_1
	v_cvt_f32_f16_e32 v26, v19
	v_cvt_f32_f16_sdwa v27, v19 dst_sel:DWORD dst_unused:UNUSED_PAD src0_sel:WORD_1
	;; [unrolled: 2-line block ×4, first 2 shown]
	s_waitcnt vmcnt(3)
	v_cvt_f32_f16_e32 v20, v38
	v_cvt_f32_f16_sdwa v21, v38 dst_sel:DWORD dst_unused:UNUSED_PAD src0_sel:WORD_1
	v_cvt_f32_f16_e32 v18, v39
	v_cvt_f32_f16_sdwa v19, v39 dst_sel:DWORD dst_unused:UNUSED_PAD src0_sel:WORD_1
	v_pk_mul_f32 v[38:39], v[36:37], v[36:37]
	v_cvt_f32_f16_e32 v30, v17
	v_cvt_f32_f16_sdwa v31, v17 dst_sel:DWORD dst_unused:UNUSED_PAD src0_sel:WORD_1
	v_cvt_f32_f16_e32 v16, v40
	v_cvt_f32_f16_sdwa v17, v40 dst_sel:DWORD dst_unused:UNUSED_PAD src0_sel:WORD_1
	;; [unrolled: 2-line block ×3, first 2 shown]
	v_pk_mul_f32 v[40:41], v[34:35], v[34:35]
	v_add_f32_e32 v1, v38, v39
	v_add_f32_e32 v1, v40, v1
	v_pk_mul_f32 v[42:43], v[32:33], v[32:33]
	v_add_f32_e32 v1, v41, v1
	v_add_f32_e32 v1, v42, v1
	;; [unrolled: 3-line block ×11, first 2 shown]
	v_add_f32_e32 v1, v39, v1
	s_nop 1
	v_mov_b32_dpp v38, v1 quad_perm:[1,0,3,2] row_mask:0xf bank_mask:0xf
	v_add_f32_e32 v1, v1, v38
	s_nop 1
	v_mov_b32_dpp v38, v1 quad_perm:[2,3,0,1] row_mask:0xf bank_mask:0xf
	v_add_f32_e32 v1, v1, v38
	s_nop 1
	v_mov_b32_dpp v38, v1 row_half_mirror row_mask:0xf bank_mask:0xf
	v_add_f32_e32 v1, v1, v38
	s_nop 1
	v_mov_b32_dpp v38, v1 row_mirror row_mask:0xf bank_mask:0xf
	v_add_f32_e32 v1, v1, v38
	s_nop 1
	v_mov_b32_dpp v38, v1 row_bcast:15 row_mask:0xf bank_mask:0xf
	v_add_f32_e32 v1, v1, v38
	s_nop 1
	v_mov_b32_dpp v38, v1 row_bcast:31 row_mask:0xf bank_mask:0xf
	s_and_saveexec_b64 s[10:11], s[0:1]
	s_cbranch_execz .LBB107_3
; %bb.2:
	v_lshrrev_b32_e32 v39, 4, v0
	v_and_b32_e32 v39, 60, v39
	v_add_f32_e32 v1, v1, v38
	ds_write_b32 v39, v1 offset:16
.LBB107_3:
	s_or_b64 exec, exec, s[10:11]
	v_and_b32_e32 v1, 3, v0
	v_lshlrev_b32_e32 v38, 2, v1
	s_waitcnt lgkmcnt(0)
	s_barrier
	ds_read_b32 v1, v38 offset:16
	v_cvt_f32_i32_e32 v39, s9
	s_waitcnt lgkmcnt(0)
	v_mov_b32_dpp v40, v1 quad_perm:[1,0,3,2] row_mask:0xf bank_mask:0xf
	v_add_f32_e32 v1, v1, v40
	s_nop 1
	v_mov_b32_dpp v40, v1 quad_perm:[2,3,0,1] row_mask:0xf bank_mask:0xf
	v_add_f32_e32 v1, v1, v40
	v_div_scale_f32 v40, s[10:11], v39, v39, v1
	v_rcp_f32_e32 v41, v40
	v_div_scale_f32 v42, vcc, v1, v39, v1
	s_load_dwordx2 s[10:11], s[4:5], 0x4c
	s_load_dword s18, s[4:5], 0x54
	v_fma_f32 v43, -v40, v41, 1.0
	v_fmac_f32_e32 v41, v43, v41
	v_mul_f32_e32 v43, v42, v41
	v_fma_f32 v44, -v40, v43, v42
	v_fmac_f32_e32 v43, v44, v41
	v_fma_f32 v40, -v40, v43, v42
	v_div_fmas_f32 v40, v40, v41, v43
	v_div_fixup_f32 v1, v40, v39, v1
	v_cvt_f64_f32_e32 v[40:41], v1
	v_add_f64 v[40:41], v[40:41], s[2:3]
	v_cvt_f32_f64_e32 v1, v[40:41]
	s_mov_b32 s2, 0x800000
	v_mul_f32_e32 v39, 0x4b800000, v1
	v_cmp_gt_f32_e32 vcc, s2, v1
	v_cndmask_b32_e32 v1, v1, v39, vcc
	v_rsq_f32_e32 v39, v1
	v_mul_u32_u24_e32 v1, 24, v0
	s_waitcnt lgkmcnt(0)
	s_cmp_lg_u32 s11, 0
	v_mul_f32_e32 v40, 0x45800000, v39
	v_cndmask_b32_e32 v40, v39, v40, vcc
	v_mov_b32_e32 v41, v40
	;;#ASMSTART
	v_pk_mul_f32 v[36:37], v[36:37], v[40:41]
	;;#ASMEND
	;;#ASMSTART
	v_pk_mul_f32 v[34:35], v[34:35], v[40:41]
	;;#ASMEND
	;; [unrolled: 3-line block ×12, first 2 shown]
	s_waitcnt vmcnt(2)
	v_cvt_f32_f16_sdwa v15, v10 dst_sel:DWORD dst_unused:UNUSED_PAD src0_sel:WORD_1
	v_cvt_f32_f16_e32 v14, v10
	v_cvt_f32_f16_sdwa v17, v11 dst_sel:DWORD dst_unused:UNUSED_PAD src0_sel:WORD_1
	v_cvt_f32_f16_e32 v16, v11
	;; [unrolled: 2-line block ×4, first 2 shown]
	;;#ASMSTART
	v_pk_mul_f32 v[24:25], v[36:37], v[14:15]
	;;#ASMEND
	;;#ASMSTART
	v_pk_mul_f32 v[22:23], v[34:35], v[16:17]
	;;#ASMEND
	;; [unrolled: 3-line block ×3, first 2 shown]
	s_waitcnt vmcnt(1)
	v_cvt_f32_f16_sdwa v11, v6 dst_sel:DWORD dst_unused:UNUSED_PAD src0_sel:WORD_1
	v_cvt_f32_f16_e32 v10, v6
	v_cvt_f32_f16_sdwa v13, v7 dst_sel:DWORD dst_unused:UNUSED_PAD src0_sel:WORD_1
	v_cvt_f32_f16_e32 v12, v7
	;; [unrolled: 2-line block ×3, first 2 shown]
	;;#ASMSTART
	v_pk_mul_f32 v[16:17], v[30:31], v[20:21]
	;;#ASMEND
	;;#ASMSTART
	v_pk_mul_f32 v[20:21], v[28:29], v[10:11]
	;;#ASMEND
	;; [unrolled: 3-line block ×4, first 2 shown]
	s_waitcnt vmcnt(0)
	v_cvt_f32_f16_sdwa v7, v2 dst_sel:DWORD dst_unused:UNUSED_PAD src0_sel:WORD_1
	v_cvt_f32_f16_e32 v6, v2
	v_cvt_f32_f16_sdwa v27, v3 dst_sel:DWORD dst_unused:UNUSED_PAD src0_sel:WORD_1
	v_cvt_f32_f16_e32 v26, v3
	;; [unrolled: 2-line block ×3, first 2 shown]
	v_cvt_f32_f16_e32 v28, v5
	v_cvt_f32_f16_sdwa v31, v9 dst_sel:DWORD dst_unused:UNUSED_PAD src0_sel:WORD_1
	v_cvt_f32_f16_e32 v30, v9
	;;#ASMSTART
	v_pk_mul_f32 v[8:9], v[44:45], v[30:31]
	;;#ASMEND
	v_cvt_f32_f16_sdwa v29, v5 dst_sel:DWORD dst_unused:UNUSED_PAD src0_sel:WORD_1
	;;#ASMSTART
	v_pk_mul_f32 v[10:11], v[46:47], v[6:7]
	;;#ASMEND
	;;#ASMSTART
	v_pk_mul_f32 v[6:7], v[48:49], v[26:27]
	;;#ASMEND
	;; [unrolled: 3-line block ×4, first 2 shown]
	v_and_b32_e32 v26, 0x7fffffff, v24
	v_mov_b32_e32 v28, 0x2edbe6ff
	v_and_b32_e32 v27, 0x7fffffff, v25
	;;#ASMSTART
	v_max3_f32 v26, v28, v26, v27

	;;#ASMEND
	v_and_b32_e32 v28, 0x7fffffff, v23
	v_and_b32_e32 v27, 0x7fffffff, v22
	;;#ASMSTART
	v_max3_f32 v26, v26, v27, v28

	;;#ASMEND
	v_and_b32_e32 v28, 0x7fffffff, v19
	;; [unrolled: 6-line block ×11, first 2 shown]
	v_and_b32_e32 v27, 0x7fffffff, v2
	;;#ASMSTART
	v_max3_f32 v28, v26, v27, v28

	;;#ASMEND
	s_cbranch_scc0 .LBB107_10
; %bb.4:
	s_mul_hi_i32 s2, s11, 0x2aaaaaab
	s_lshr_b32 s3, s2, 31
	s_ashr_i32 s16, s2, 2
	s_add_i32 s16, s16, s3
	s_cmp_lt_i32 s16, 16
	s_cbranch_scc1 .LBB107_11
; %bb.5:
	s_cmp_lt_i32 s16, 32
	s_cbranch_scc1 .LBB107_12
; %bb.6:
	s_cmp_lt_i32 s16, 64
	s_cbranch_scc1 .LBB107_13
; %bb.7:
	s_cmp_eq_u32 s16, 64
	v_mov_b32_e32 v26, v28
	s_cbranch_scc0 .LBB107_9
; %bb.8:
	s_nop 0
	v_mov_b32_dpp v26, v28 quad_perm:[1,0,3,2] row_mask:0xf bank_mask:0xf
	v_cmp_gt_f32_e32 vcc, v28, v26
	v_cndmask_b32_e32 v26, v26, v28, vcc
	v_bfrev_b32_e32 v29, 0.5
	s_nop 0
	v_mov_b32_dpp v27, v26 quad_perm:[2,3,0,1] row_mask:0xf bank_mask:0xf
	v_cmp_gt_f32_e32 vcc, v26, v27
	v_cndmask_b32_e32 v26, v27, v26, vcc
	s_nop 1
	v_mov_b32_dpp v27, v26 row_ror:4 row_mask:0xf bank_mask:0xf
	v_cmp_gt_f32_e32 vcc, v26, v27
	v_cndmask_b32_e32 v26, v27, v26, vcc
	s_nop 1
	v_mov_b32_dpp v27, v26 row_ror:8 row_mask:0xf bank_mask:0xf
	v_cmp_gt_f32_e32 vcc, v26, v27
	v_cndmask_b32_e32 v26, v27, v26, vcc
	s_nop 1
	v_mov_b32_dpp v27, v26 row_bcast:15 row_mask:0xf bank_mask:0xf
	v_cmp_gt_f32_e32 vcc, v26, v27
	v_cndmask_b32_e32 v26, v27, v26, vcc
	s_nop 1
	v_mov_b32_dpp v27, v26 row_bcast:31 row_mask:0xf bank_mask:0xf
	v_cmp_gt_f32_e32 vcc, v26, v27
	v_cndmask_b32_e32 v26, v27, v26, vcc
	v_mbcnt_lo_u32_b32 v27, -1, 0
	v_mbcnt_hi_u32_b32 v27, -1, v27
	v_lshl_or_b32 v27, v27, 2, v29
	ds_bpermute_b32 v26, v27, v26
.LBB107_9:
	s_mov_b64 s[2:3], 0
	s_branch .LBB107_14
.LBB107_10:
	s_mov_b64 s[2:3], 0
                                        ; implicit-def: $vgpr29
                                        ; implicit-def: $vgpr26_vgpr27
	s_cbranch_execnz .LBB107_43
	s_branch .LBB107_46
.LBB107_11:
                                        ; implicit-def: $vgpr26
	s_branch .LBB107_21
.LBB107_12:
                                        ; implicit-def: $vgpr26
	s_branch .LBB107_18
.LBB107_13:
	s_mov_b64 s[2:3], -1
                                        ; implicit-def: $vgpr26
.LBB107_14:
	s_andn2_b64 vcc, exec, s[2:3]
	s_cbranch_vccnz .LBB107_17
; %bb.15:
	s_cmp_eq_u32 s16, 32
	s_waitcnt lgkmcnt(0)
	v_mov_b32_e32 v26, v28
	s_cbranch_scc0 .LBB107_17
; %bb.16:
	s_nop 0
	v_mov_b32_dpp v26, v28 quad_perm:[1,0,3,2] row_mask:0xf bank_mask:0xf
	v_cmp_gt_f32_e32 vcc, v28, v26
	v_cndmask_b32_e32 v26, v26, v28, vcc
	v_mov_b32_e32 v29, 0x7c
	s_nop 0
	v_mov_b32_dpp v27, v26 quad_perm:[2,3,0,1] row_mask:0xf bank_mask:0xf
	v_cmp_gt_f32_e32 vcc, v26, v27
	v_cndmask_b32_e32 v26, v27, v26, vcc
	s_nop 1
	v_mov_b32_dpp v27, v26 row_half_mirror row_mask:0xf bank_mask:0xf
	v_cmp_gt_f32_e32 vcc, v26, v27
	v_cndmask_b32_e32 v26, v27, v26, vcc
	s_nop 1
	v_mov_b32_dpp v27, v26 row_mirror row_mask:0xf bank_mask:0xf
	v_cmp_gt_f32_e32 vcc, v26, v27
	v_cndmask_b32_e32 v26, v27, v26, vcc
	s_nop 1
	v_mov_b32_dpp v27, v26 row_bcast:15 row_mask:0xa bank_mask:0xf
	v_cmp_gt_f32_e32 vcc, v26, v27
	v_cndmask_b32_e32 v26, v27, v26, vcc
	v_mbcnt_lo_u32_b32 v27, -1, 0
	v_mbcnt_hi_u32_b32 v27, -1, v27
	v_lshl_or_b32 v27, v27, 2, v29
	ds_bpermute_b32 v26, v27, v26
.LBB107_17:
	s_cbranch_execnz .LBB107_20
.LBB107_18:
	s_cmp_eq_u32 s16, 16
	s_waitcnt lgkmcnt(0)
	v_mov_b32_e32 v26, v28
	s_cbranch_scc0 .LBB107_20
; %bb.19:
	s_nop 0
	v_mov_b32_dpp v26, v28 quad_perm:[1,0,3,2] row_mask:0xf bank_mask:0xf
	v_cmp_gt_f32_e32 vcc, v28, v26
	v_cndmask_b32_e32 v26, v26, v28, vcc
	s_nop 1
	v_mov_b32_dpp v27, v26 quad_perm:[2,3,0,1] row_mask:0xf bank_mask:0xf
	v_cmp_gt_f32_e32 vcc, v26, v27
	v_cndmask_b32_e32 v26, v27, v26, vcc
	s_nop 1
	v_mov_b32_dpp v27, v26 row_half_mirror row_mask:0xf bank_mask:0xf
	v_cmp_gt_f32_e32 vcc, v26, v27
	v_cndmask_b32_e32 v26, v27, v26, vcc
	s_nop 1
	v_mov_b32_dpp v27, v26 row_mirror row_mask:0xf bank_mask:0xf
	v_cmp_gt_f32_e32 vcc, v26, v27
	v_cndmask_b32_e32 v26, v27, v26, vcc
.LBB107_20:
	s_cbranch_execnz .LBB107_33
.LBB107_21:
	s_cmp_lt_i32 s16, 4
	s_cbranch_scc1 .LBB107_25
; %bb.22:
	s_cmp_lt_i32 s16, 8
	s_cbranch_scc1 .LBB107_26
; %bb.23:
	s_cmp_eq_u32 s16, 8
	s_waitcnt lgkmcnt(0)
	v_mov_b32_e32 v26, v28
	s_cbranch_scc0 .LBB107_27
; %bb.24:
	s_nop 0
	v_mov_b32_dpp v26, v28 quad_perm:[1,0,3,2] row_mask:0xf bank_mask:0xf
	v_cmp_gt_f32_e32 vcc, v28, v26
	v_cndmask_b32_e32 v26, v26, v28, vcc
	s_nop 1
	v_mov_b32_dpp v27, v26 quad_perm:[2,3,0,1] row_mask:0xf bank_mask:0xf
	v_cmp_gt_f32_e32 vcc, v26, v27
	v_cndmask_b32_e32 v26, v27, v26, vcc
	s_nop 1
	v_mov_b32_dpp v27, v26 row_half_mirror row_mask:0xf bank_mask:0xf
	v_cmp_gt_f32_e32 vcc, v26, v27
	v_cndmask_b32_e32 v26, v27, v26, vcc
	s_cbranch_execz .LBB107_28
	s_branch .LBB107_30
.LBB107_25:
                                        ; implicit-def: $vgpr26
	s_branch .LBB107_31
.LBB107_26:
                                        ; implicit-def: $vgpr26
	s_branch .LBB107_28
.LBB107_27:
	s_cbranch_execnz .LBB107_30
.LBB107_28:
	s_cmp_eq_u32 s16, 4
	s_waitcnt lgkmcnt(0)
	v_mov_b32_e32 v26, v28
	s_cbranch_scc0 .LBB107_30
; %bb.29:
	s_nop 0
	v_mov_b32_dpp v26, v28 quad_perm:[1,0,3,2] row_mask:0xf bank_mask:0xf
	v_cmp_gt_f32_e32 vcc, v28, v26
	v_cndmask_b32_e32 v26, v26, v28, vcc
	s_nop 1
	v_mov_b32_dpp v27, v26 quad_perm:[2,3,0,1] row_mask:0xf bank_mask:0xf
	v_cmp_gt_f32_e32 vcc, v26, v27
	v_cndmask_b32_e32 v26, v27, v26, vcc
.LBB107_30:
	s_cbranch_execnz .LBB107_33
.LBB107_31:
	s_cmp_lg_u32 s16, 2
	s_waitcnt lgkmcnt(0)
	v_mov_b32_e32 v26, v28
	s_cbranch_scc1 .LBB107_33
; %bb.32:
	s_nop 0
	v_mov_b32_dpp v26, v28 quad_perm:[1,0,3,2] row_mask:0xf bank_mask:0xf
	v_cmp_gt_f32_e32 vcc, v28, v26
	v_cndmask_b32_e32 v26, v26, v28, vcc
.LBB107_33:
	v_cvt_f32_u32_e32 v27, s16
	s_waitcnt lgkmcnt(0)
	v_mul_f32_e32 v29, 0x3c010204, v26
	s_sub_i32 s2, 0, s16
	v_cmp_gt_u32_e32 vcc, s9, v1
	v_rcp_iflag_f32_e32 v27, v27
	s_mov_b64 s[14:15], 0
	v_mul_f32_e32 v26, 0x4f7ffffe, v27
	v_cvt_u32_f32_e32 v26, v26
	v_mul_lo_u32 v27, s2, v26
	v_mul_hi_u32 v27, v26, v27
	v_add_u32_e32 v26, v26, v27
	v_mul_hi_u32 v26, v0, v26
	v_mul_lo_u32 v27, v26, s16
	v_sub_u32_e32 v27, v0, v27
	v_add_u32_e32 v30, 1, v26
	v_cmp_le_u32_e64 s[2:3], s16, v27
	v_cndmask_b32_e64 v26, v26, v30, s[2:3]
	v_subrev_u32_e32 v30, s16, v27
	v_cndmask_b32_e64 v27, v27, v30, s[2:3]
	v_add_u32_e32 v30, 1, v26
	v_cmp_le_u32_e64 s[2:3], s16, v27
	v_cndmask_b32_e64 v30, v26, v30, s[2:3]
	v_mul_lo_u32 v26, v30, s16
	v_sub_u32_e32 v26, v0, v26
	v_cmp_eq_u32_e64 s[2:3], 0, v26
	s_and_b64 s[16:17], s[2:3], vcc
	s_mov_b64 s[2:3], 0
                                        ; implicit-def: $vgpr26_vgpr27
	s_and_saveexec_b64 s[20:21], s[16:17]
	s_xor_b64 s[16:17], exec, s[20:21]
	s_cbranch_execz .LBB107_42
; %bb.34:
	s_bitcmp0_b32 s18, 0
	s_cbranch_scc0 .LBB107_39
; %bb.35:
	s_ashr_i32 s2, s9, 31
	s_mul_hi_u32 s3, s9, s6
	s_mul_i32 s2, s2, s6
	s_add_i32 s21, s3, s2
	s_mul_i32 s20, s9, s6
	s_ashr_i32 s19, s11, 31
	s_mov_b32 s18, s11
	s_or_b64 s[2:3], s[20:21], s[18:19]
	s_mov_b32 s2, 0
	s_cmp_lg_u64 s[2:3], 0
	s_cbranch_scc0 .LBB107_50
; %bb.36:
	s_add_u32 s2, s18, s19
	s_mov_b32 s24, s19
	s_mov_b32 s25, s19
	s_addc_u32 s3, s19, s19
	s_xor_b64 s[26:27], s[2:3], s[24:25]
	v_cvt_f32_u32_e32 v26, s26
	v_cvt_f32_u32_e32 v27, s27
	s_sub_u32 s2, 0, s26
	s_subb_u32 s3, 0, s27
	v_madmk_f32 v26, v27, 0x4f800000, v26
	v_rcp_f32_e32 v26, v26
	v_mul_f32_e32 v26, 0x5f7ffffc, v26
	v_mul_f32_e32 v27, 0x2f800000, v26
	v_trunc_f32_e32 v27, v27
	v_madmk_f32 v26, v27, 0xcf800000, v26
	v_cvt_u32_f32_e32 v27, v27
	v_cvt_u32_f32_e32 v26, v26
	v_readfirstlane_b32 s11, v27
	v_readfirstlane_b32 s19, v26
	s_mul_i32 s28, s2, s11
	s_mul_hi_u32 s30, s2, s19
	s_mul_i32 s29, s3, s19
	s_add_i32 s28, s30, s28
	s_add_i32 s28, s28, s29
	s_mul_i32 s31, s2, s19
	s_mul_hi_u32 s29, s19, s28
	s_mul_i32 s30, s19, s28
	s_mul_hi_u32 s19, s19, s31
	s_add_u32 s19, s19, s30
	s_addc_u32 s29, 0, s29
	s_mul_hi_u32 s33, s11, s31
	s_mul_i32 s31, s11, s31
	s_add_u32 s19, s19, s31
	s_mul_hi_u32 s30, s11, s28
	s_addc_u32 s19, s29, s33
	s_addc_u32 s29, s30, 0
	s_mul_i32 s28, s11, s28
	s_add_u32 s19, s19, s28
	s_addc_u32 s28, 0, s29
	v_add_co_u32_e32 v26, vcc, s19, v26
	s_cmp_lg_u64 vcc, 0
	s_addc_u32 s11, s11, s28
	v_readfirstlane_b32 s28, v26
	s_mul_i32 s19, s2, s11
	s_mul_hi_u32 s29, s2, s28
	s_add_i32 s19, s29, s19
	s_mul_i32 s3, s3, s28
	s_add_i32 s19, s19, s3
	s_mul_i32 s2, s2, s28
	s_mul_hi_u32 s29, s11, s2
	s_mul_i32 s30, s11, s2
	s_mul_i32 s33, s28, s19
	s_mul_hi_u32 s2, s28, s2
	s_mul_hi_u32 s31, s28, s19
	s_add_u32 s2, s2, s33
	s_addc_u32 s28, 0, s31
	s_add_u32 s2, s2, s30
	s_mul_hi_u32 s3, s11, s19
	s_addc_u32 s2, s28, s29
	s_addc_u32 s3, s3, 0
	s_mul_i32 s19, s11, s19
	s_add_u32 s2, s2, s19
	s_addc_u32 s3, 0, s3
	v_add_co_u32_e32 v26, vcc, s2, v26
	s_cmp_lg_u64 vcc, 0
	s_addc_u32 s11, s11, s3
	s_ashr_i32 s28, s21, 31
	s_add_u32 s2, s20, s28
	s_mov_b32 s29, s28
	s_addc_u32 s3, s21, s28
	s_xor_b64 s[30:31], s[2:3], s[28:29]
	v_readfirstlane_b32 s19, v26
	s_mul_i32 s3, s30, s11
	s_mul_hi_u32 s21, s30, s19
	s_mul_hi_u32 s2, s30, s11
	s_add_u32 s3, s21, s3
	s_addc_u32 s2, 0, s2
	s_mul_hi_u32 s33, s31, s19
	s_mul_i32 s19, s31, s19
	s_add_u32 s3, s3, s19
	s_mul_hi_u32 s21, s31, s11
	s_addc_u32 s2, s2, s33
	s_addc_u32 s3, s21, 0
	s_mul_i32 s11, s31, s11
	s_add_u32 s11, s2, s11
	s_addc_u32 s19, 0, s3
	s_mul_i32 s2, s26, s19
	s_mul_hi_u32 s3, s26, s11
	s_add_i32 s2, s3, s2
	s_mul_i32 s3, s27, s11
	s_add_i32 s21, s2, s3
	s_mul_i32 s3, s26, s11
	v_mov_b32_e32 v26, s3
	s_sub_i32 s2, s31, s21
	v_sub_co_u32_e32 v26, vcc, s30, v26
	s_cmp_lg_u64 vcc, 0
	s_subb_u32 s30, s2, s27
	v_subrev_co_u32_e64 v27, s[2:3], s26, v26
	s_cmp_lg_u64 s[2:3], 0
	s_subb_u32 s30, s30, 0
	s_cmp_ge_u32 s30, s27
	s_cselect_b32 s33, -1, 0
	v_cmp_le_u32_e64 s[2:3], s26, v27
	s_cmp_eq_u32 s30, s27
	v_cndmask_b32_e64 v27, 0, -1, s[2:3]
	v_mov_b32_e32 v31, s33
	s_cselect_b64 s[2:3], -1, 0
	v_cndmask_b32_e64 v27, v31, v27, s[2:3]
	s_add_u32 s2, s11, 1
	s_addc_u32 s30, s19, 0
	s_add_u32 s3, s11, 2
	s_addc_u32 s33, s19, 0
	v_mov_b32_e32 v31, s2
	v_mov_b32_e32 v32, s3
	v_cmp_ne_u32_e64 s[2:3], 0, v27
	v_cndmask_b32_e64 v27, v31, v32, s[2:3]
	v_mov_b32_e32 v31, s30
	v_mov_b32_e32 v32, s33
	s_cmp_lg_u64 vcc, 0
	v_cndmask_b32_e64 v31, v31, v32, s[2:3]
	s_subb_u32 s2, s31, s21
	s_cmp_ge_u32 s2, s27
	s_cselect_b32 s3, -1, 0
	v_cmp_le_u32_e32 vcc, s26, v26
	s_cmp_eq_u32 s2, s27
	v_cndmask_b32_e64 v26, 0, -1, vcc
	v_mov_b32_e32 v32, s3
	s_cselect_b64 vcc, -1, 0
	v_cndmask_b32_e32 v26, v32, v26, vcc
	v_mov_b32_e32 v32, s19
	v_cmp_ne_u32_e32 vcc, 0, v26
	v_cndmask_b32_e32 v26, v32, v31, vcc
	v_mov_b32_e32 v31, s11
	v_cndmask_b32_e32 v27, v31, v27, vcc
	s_xor_b64 s[2:3], s[28:29], s[24:25]
	v_xor_b32_e32 v27, s2, v27
	v_xor_b32_e32 v31, s3, v26
	v_mov_b32_e32 v32, s3
	v_subrev_co_u32_e32 v26, vcc, s2, v27
	v_subb_co_u32_e32 v27, vcc, v31, v32, vcc
	s_cbranch_execnz .LBB107_38
.LBB107_37:
	v_cvt_f32_u32_e32 v26, s18
	s_sub_i32 s2, 0, s18
	s_mov_b32 s3, 0
	v_rcp_iflag_f32_e32 v26, v26
	v_mul_f32_e32 v26, 0x4f7ffffe, v26
	v_cvt_u32_f32_e32 v26, v26
	v_readfirstlane_b32 s11, v26
	s_mul_i32 s2, s2, s11
	s_mul_hi_u32 s2, s11, s2
	s_add_i32 s11, s11, s2
	s_mul_hi_u32 s2, s20, s11
	s_mul_i32 s19, s2, s18
	s_sub_i32 s19, s20, s19
	s_add_i32 s11, s2, 1
	s_sub_i32 s20, s19, s18
	s_cmp_ge_u32 s19, s18
	s_cselect_b32 s2, s11, s2
	s_cselect_b32 s19, s20, s19
	s_add_i32 s11, s2, 1
	s_cmp_ge_u32 s19, s18
	s_cselect_b32 s2, s11, s2
	v_pk_mov_b32 v[26:27], s[2:3], s[2:3] op_sel:[0,1]
.LBB107_38:
	v_add_co_u32_e32 v26, vcc, v26, v30
	v_addc_co_u32_e32 v27, vcc, 0, v27, vcc
	s_branch .LBB107_41
.LBB107_39:
                                        ; implicit-def: $vgpr26_vgpr27
	s_cbranch_execz .LBB107_41
; %bb.40:
	v_mul_lo_u32 v26, v30, s8
	v_ashrrev_i32_e32 v27, 31, v26
	v_mov_b32_e32 v30, s7
	v_add_co_u32_e32 v26, vcc, s6, v26
	v_addc_co_u32_e32 v27, vcc, v27, v30, vcc
.LBB107_41:
	s_mov_b64 s[2:3], exec
.LBB107_42:
	s_or_b64 exec, exec, s[16:17]
	s_and_b64 vcc, exec, s[14:15]
	s_cbranch_vccz .LBB107_46
.LBB107_43:
	v_mov_b32_dpp v26, v28 quad_perm:[1,0,3,2] row_mask:0xf bank_mask:0xf
	v_cmp_gt_f32_e32 vcc, v28, v26
	v_cndmask_b32_e32 v26, v26, v28, vcc
	s_nop 1
	v_mov_b32_dpp v27, v26 quad_perm:[2,3,0,1] row_mask:0xf bank_mask:0xf
	v_cmp_gt_f32_e32 vcc, v26, v27
	v_cndmask_b32_e32 v26, v27, v26, vcc
	s_nop 1
	v_mov_b32_dpp v27, v26 row_half_mirror row_mask:0xf bank_mask:0xf
	v_cmp_gt_f32_e32 vcc, v26, v27
	v_cndmask_b32_e32 v26, v27, v26, vcc
	s_nop 1
	v_mov_b32_dpp v27, v26 row_mirror row_mask:0xf bank_mask:0xf
	v_cmp_gt_f32_e32 vcc, v26, v27
	v_cndmask_b32_e32 v26, v27, v26, vcc
	s_nop 1
	v_mov_b32_dpp v27, v26 row_bcast:15 row_mask:0xf bank_mask:0xf
	v_cmp_gt_f32_e32 vcc, v26, v27
	v_cndmask_b32_e32 v26, v27, v26, vcc
	s_nop 1
	v_mov_b32_dpp v27, v26 row_bcast:31 row_mask:0xf bank_mask:0xf
	s_and_saveexec_b64 s[2:3], s[0:1]
	s_cbranch_execz .LBB107_45
; %bb.44:
	v_lshrrev_b32_e32 v28, 4, v0
	v_cmp_gt_f32_e32 vcc, v26, v27
	v_and_b32_e32 v28, 60, v28
	v_cndmask_b32_e32 v26, v27, v26, vcc
	ds_write_b32 v28, v26
.LBB107_45:
	s_or_b64 exec, exec, s[2:3]
	s_waitcnt lgkmcnt(0)
	s_barrier
	ds_read_b32 v26, v38
	v_cmp_eq_u32_e64 s[2:3], 0, v0
	s_waitcnt lgkmcnt(0)
	v_mov_b32_dpp v27, v26 quad_perm:[1,0,3,2] row_mask:0xf bank_mask:0xf
	v_cmp_gt_f32_e32 vcc, v26, v27
	v_cndmask_b32_e32 v26, v27, v26, vcc
	s_nop 1
	v_mov_b32_dpp v27, v26 quad_perm:[2,3,0,1] row_mask:0xf bank_mask:0xf
	v_cmp_gt_f32_e32 vcc, v26, v27
	v_cndmask_b32_e32 v26, v27, v26, vcc
	v_mul_f32_e32 v29, 0x3c010204, v26
	v_pk_mov_b32 v[26:27], s[6:7], s[6:7] op_sel:[0,1]
.LBB107_46:
	s_and_saveexec_b64 s[0:1], s[2:3]
	s_cbranch_execz .LBB107_48
; %bb.47:
	v_lshlrev_b64 v[26:27], 2, v[26:27]
	v_mov_b32_e32 v0, s13
	v_add_co_u32_e32 v26, vcc, s12, v26
	v_addc_co_u32_e32 v27, vcc, v0, v27, vcc
	global_store_dword v[26:27], v29, off
.LBB107_48:
	s_or_b64 exec, exec, s[0:1]
	s_add_i32 s2, s9, 3
	s_load_dwordx2 s[0:1], s[4:5], 0x0
	s_ashr_i32 s3, s2, 31
	;;#ASMSTART
	v_rcp_f32 v26, v29
	;;#ASMEND
	v_mov_b32_e32 v27, v26
	;;#ASMSTART
	v_pk_mul_f32 v[24:25], v[24:25], v[26:27]
	;;#ASMEND
	;;#ASMSTART
	v_pk_mul_f32 v[22:23], v[22:23], v[26:27]
	;;#ASMEND
	s_lshr_b32 s3, s3, 30
	v_cvt_i32_f32_e32 v0, v24
	v_cvt_i32_f32_sdwa v24, v25 dst_sel:BYTE_1 dst_unused:UNUSED_PAD src0_sel:DWORD
	v_cvt_i32_f32_e32 v22, v22
	v_cvt_i32_f32_sdwa v23, v23 dst_sel:BYTE_1 dst_unused:UNUSED_PAD src0_sel:DWORD
	;;#ASMSTART
	v_pk_mul_f32 v[18:19], v[18:19], v[26:27]
	;;#ASMEND
	;;#ASMSTART
	v_pk_mul_f32 v[16:17], v[16:17], v[26:27]
	;;#ASMEND
	s_add_i32 s2, s2, s3
	s_ashr_i32 s3, s10, 31
	v_cvt_i32_f32_e32 v18, v18
	v_cvt_i32_f32_sdwa v19, v19 dst_sel:BYTE_1 dst_unused:UNUSED_PAD src0_sel:DWORD
	v_cvt_i32_f32_e32 v25, v16
	v_cvt_i32_f32_sdwa v17, v17 dst_sel:BYTE_1 dst_unused:UNUSED_PAD src0_sel:DWORD
	s_mul_hi_u32 s4, s10, s6
	s_mul_i32 s3, s3, s6
	s_and_b32 s2, s2, -4
	s_add_i32 s4, s4, s3
	s_mul_i32 s3, s10, s6
	s_waitcnt lgkmcnt(0)
	s_add_u32 s0, s0, s3
	v_or_b32_sdwa v0, v0, v24 dst_sel:DWORD dst_unused:UNUSED_PAD src0_sel:BYTE_0 src1_sel:DWORD
	v_or_b32_sdwa v16, v22, v23 dst_sel:WORD_1 dst_unused:UNUSED_PAD src0_sel:BYTE_0 src1_sel:DWORD
	s_addc_u32 s1, s1, s4
	v_or_b32_sdwa v16, v0, v16 dst_sel:DWORD dst_unused:UNUSED_PAD src0_sel:WORD_0 src1_sel:DWORD
	v_or_b32_sdwa v0, v18, v19 dst_sel:DWORD dst_unused:UNUSED_PAD src0_sel:BYTE_0 src1_sel:DWORD
	v_or_b32_sdwa v17, v25, v17 dst_sel:WORD_1 dst_unused:UNUSED_PAD src0_sel:BYTE_0 src1_sel:DWORD
	s_and_b32 s1, s1, 0xffff
	s_mov_b32 s3, 0x20000
	v_or_b32_sdwa v17, v0, v17 dst_sel:DWORD dst_unused:UNUSED_PAD src0_sel:WORD_0 src1_sel:DWORD
	buffer_store_dwordx2 v[16:17], v1, s[0:3], 0 offen
	;;#ASMSTART
	s_nop 0
	;;#ASMEND
	;;#ASMSTART
	v_pk_mul_f32 v[16:17], v[20:21], v[26:27]
	;;#ASMEND
	;;#ASMSTART
	v_pk_mul_f32 v[14:15], v[14:15], v[26:27]
	;;#ASMEND
	v_cvt_i32_f32_e32 v0, v16
	v_cvt_i32_f32_sdwa v16, v17 dst_sel:BYTE_1 dst_unused:UNUSED_PAD src0_sel:DWORD
	v_cvt_i32_f32_e32 v14, v14
	v_cvt_i32_f32_sdwa v15, v15 dst_sel:BYTE_1 dst_unused:UNUSED_PAD src0_sel:DWORD
	;;#ASMSTART
	v_pk_mul_f32 v[12:13], v[12:13], v[26:27]
	;;#ASMEND
	;;#ASMSTART
	v_pk_mul_f32 v[8:9], v[8:9], v[26:27]
	;;#ASMEND
	v_cvt_i32_f32_e32 v12, v12
	v_cvt_i32_f32_sdwa v13, v13 dst_sel:BYTE_1 dst_unused:UNUSED_PAD src0_sel:DWORD
	v_cvt_i32_f32_e32 v17, v8
	v_cvt_i32_f32_sdwa v9, v9 dst_sel:BYTE_1 dst_unused:UNUSED_PAD src0_sel:DWORD
	v_or_b32_sdwa v0, v0, v16 dst_sel:DWORD dst_unused:UNUSED_PAD src0_sel:BYTE_0 src1_sel:DWORD
	v_or_b32_sdwa v8, v14, v15 dst_sel:WORD_1 dst_unused:UNUSED_PAD src0_sel:BYTE_0 src1_sel:DWORD
	v_or_b32_sdwa v8, v0, v8 dst_sel:DWORD dst_unused:UNUSED_PAD src0_sel:WORD_0 src1_sel:DWORD
	v_or_b32_sdwa v0, v12, v13 dst_sel:DWORD dst_unused:UNUSED_PAD src0_sel:BYTE_0 src1_sel:DWORD
	v_or_b32_sdwa v9, v17, v9 dst_sel:WORD_1 dst_unused:UNUSED_PAD src0_sel:BYTE_0 src1_sel:DWORD
	v_or_b32_sdwa v9, v0, v9 dst_sel:DWORD dst_unused:UNUSED_PAD src0_sel:WORD_0 src1_sel:DWORD
	buffer_store_dwordx2 v[8:9], v1, s[0:3], 8 offen
	;;#ASMSTART
	s_nop 0
	;;#ASMEND
	;;#ASMSTART
	v_pk_mul_f32 v[8:9], v[10:11], v[26:27]
	;;#ASMEND
	;;#ASMSTART
	v_pk_mul_f32 v[6:7], v[6:7], v[26:27]
	;;#ASMEND
	v_cvt_i32_f32_e32 v0, v8
	v_cvt_i32_f32_sdwa v8, v9 dst_sel:BYTE_1 dst_unused:UNUSED_PAD src0_sel:DWORD
	v_cvt_i32_f32_e32 v6, v6
	v_cvt_i32_f32_sdwa v7, v7 dst_sel:BYTE_1 dst_unused:UNUSED_PAD src0_sel:DWORD
	;;#ASMSTART
	v_pk_mul_f32 v[4:5], v[4:5], v[26:27]
	;;#ASMEND
	;;#ASMSTART
	v_pk_mul_f32 v[2:3], v[2:3], v[26:27]
	;;#ASMEND
	v_cvt_i32_f32_e32 v4, v4
	v_cvt_i32_f32_sdwa v5, v5 dst_sel:BYTE_1 dst_unused:UNUSED_PAD src0_sel:DWORD
	v_cvt_i32_f32_e32 v9, v2
	v_cvt_i32_f32_sdwa v3, v3 dst_sel:BYTE_1 dst_unused:UNUSED_PAD src0_sel:DWORD
	v_or_b32_sdwa v0, v0, v8 dst_sel:DWORD dst_unused:UNUSED_PAD src0_sel:BYTE_0 src1_sel:DWORD
	v_or_b32_sdwa v2, v6, v7 dst_sel:WORD_1 dst_unused:UNUSED_PAD src0_sel:BYTE_0 src1_sel:DWORD
	v_or_b32_sdwa v2, v0, v2 dst_sel:DWORD dst_unused:UNUSED_PAD src0_sel:WORD_0 src1_sel:DWORD
	v_or_b32_sdwa v0, v4, v5 dst_sel:DWORD dst_unused:UNUSED_PAD src0_sel:BYTE_0 src1_sel:DWORD
	v_or_b32_sdwa v3, v9, v3 dst_sel:WORD_1 dst_unused:UNUSED_PAD src0_sel:BYTE_0 src1_sel:DWORD
	v_or_b32_sdwa v3, v0, v3 dst_sel:DWORD dst_unused:UNUSED_PAD src0_sel:WORD_0 src1_sel:DWORD
	buffer_store_dwordx2 v[2:3], v1, s[0:3], 16 offen
	;;#ASMSTART
	s_nop 0
	;;#ASMEND
.LBB107_49:
	s_endpgm
.LBB107_50:
                                        ; implicit-def: $vgpr26_vgpr27
	s_branch .LBB107_37
	.section	.rodata,"a",@progbits
	.p2align	6, 0x0
	.amdhsa_kernel _ZN5aiter24add_rmsnorm_quant_kernelIDF16_aLi256ELi24ELb0ELb1ELb0ELi1EEEvPT0_PT_PfS4_S4_S4_diiiiiiib
		.amdhsa_group_segment_fixed_size 32
		.amdhsa_private_segment_fixed_size 0
		.amdhsa_kernarg_size 88
		.amdhsa_user_sgpr_count 6
		.amdhsa_user_sgpr_private_segment_buffer 1
		.amdhsa_user_sgpr_dispatch_ptr 0
		.amdhsa_user_sgpr_queue_ptr 0
		.amdhsa_user_sgpr_kernarg_segment_ptr 1
		.amdhsa_user_sgpr_dispatch_id 0
		.amdhsa_user_sgpr_flat_scratch_init 0
		.amdhsa_user_sgpr_kernarg_preload_length 0
		.amdhsa_user_sgpr_kernarg_preload_offset 0
		.amdhsa_user_sgpr_private_segment_size 0
		.amdhsa_uses_dynamic_stack 0
		.amdhsa_system_sgpr_private_segment_wavefront_offset 0
		.amdhsa_system_sgpr_workgroup_id_x 1
		.amdhsa_system_sgpr_workgroup_id_y 0
		.amdhsa_system_sgpr_workgroup_id_z 0
		.amdhsa_system_sgpr_workgroup_info 0
		.amdhsa_system_vgpr_workitem_id 0
		.amdhsa_next_free_vgpr 61
		.amdhsa_next_free_sgpr 34
		.amdhsa_accum_offset 64
		.amdhsa_reserve_vcc 1
		.amdhsa_reserve_flat_scratch 0
		.amdhsa_float_round_mode_32 0
		.amdhsa_float_round_mode_16_64 0
		.amdhsa_float_denorm_mode_32 3
		.amdhsa_float_denorm_mode_16_64 3
		.amdhsa_dx10_clamp 1
		.amdhsa_ieee_mode 1
		.amdhsa_fp16_overflow 0
		.amdhsa_tg_split 0
		.amdhsa_exception_fp_ieee_invalid_op 0
		.amdhsa_exception_fp_denorm_src 0
		.amdhsa_exception_fp_ieee_div_zero 0
		.amdhsa_exception_fp_ieee_overflow 0
		.amdhsa_exception_fp_ieee_underflow 0
		.amdhsa_exception_fp_ieee_inexact 0
		.amdhsa_exception_int_div_zero 0
	.end_amdhsa_kernel
	.section	.text._ZN5aiter24add_rmsnorm_quant_kernelIDF16_aLi256ELi24ELb0ELb1ELb0ELi1EEEvPT0_PT_PfS4_S4_S4_diiiiiiib,"axG",@progbits,_ZN5aiter24add_rmsnorm_quant_kernelIDF16_aLi256ELi24ELb0ELb1ELb0ELi1EEEvPT0_PT_PfS4_S4_S4_diiiiiiib,comdat
.Lfunc_end107:
	.size	_ZN5aiter24add_rmsnorm_quant_kernelIDF16_aLi256ELi24ELb0ELb1ELb0ELi1EEEvPT0_PT_PfS4_S4_S4_diiiiiiib, .Lfunc_end107-_ZN5aiter24add_rmsnorm_quant_kernelIDF16_aLi256ELi24ELb0ELb1ELb0ELi1EEEvPT0_PT_PfS4_S4_S4_diiiiiiib
                                        ; -- End function
	.section	.AMDGPU.csdata,"",@progbits
; Kernel info:
; codeLenInByte = 4048
; NumSgprs: 38
; NumVgprs: 61
; NumAgprs: 0
; TotalNumVgprs: 61
; ScratchSize: 0
; MemoryBound: 0
; FloatMode: 240
; IeeeMode: 1
; LDSByteSize: 32 bytes/workgroup (compile time only)
; SGPRBlocks: 4
; VGPRBlocks: 7
; NumSGPRsForWavesPerEU: 38
; NumVGPRsForWavesPerEU: 61
; AccumOffset: 64
; Occupancy: 8
; WaveLimiterHint : 0
; COMPUTE_PGM_RSRC2:SCRATCH_EN: 0
; COMPUTE_PGM_RSRC2:USER_SGPR: 6
; COMPUTE_PGM_RSRC2:TRAP_HANDLER: 0
; COMPUTE_PGM_RSRC2:TGID_X_EN: 1
; COMPUTE_PGM_RSRC2:TGID_Y_EN: 0
; COMPUTE_PGM_RSRC2:TGID_Z_EN: 0
; COMPUTE_PGM_RSRC2:TIDIG_COMP_CNT: 0
; COMPUTE_PGM_RSRC3_GFX90A:ACCUM_OFFSET: 15
; COMPUTE_PGM_RSRC3_GFX90A:TG_SPLIT: 0
	.section	.text._ZN5aiter24add_rmsnorm_quant_kernelItaLi256ELi24ELb0ELb1ELb0ELi1EEEvPT0_PT_PfS4_S4_S4_diiiiiiib,"axG",@progbits,_ZN5aiter24add_rmsnorm_quant_kernelItaLi256ELi24ELb0ELb1ELb0ELi1EEEvPT0_PT_PfS4_S4_S4_diiiiiiib,comdat
	.protected	_ZN5aiter24add_rmsnorm_quant_kernelItaLi256ELi24ELb0ELb1ELb0ELi1EEEvPT0_PT_PfS4_S4_S4_diiiiiiib ; -- Begin function _ZN5aiter24add_rmsnorm_quant_kernelItaLi256ELi24ELb0ELb1ELb0ELi1EEEvPT0_PT_PfS4_S4_S4_diiiiiiib
	.globl	_ZN5aiter24add_rmsnorm_quant_kernelItaLi256ELi24ELb0ELb1ELb0ELi1EEEvPT0_PT_PfS4_S4_S4_diiiiiiib
	.p2align	8
	.type	_ZN5aiter24add_rmsnorm_quant_kernelItaLi256ELi24ELb0ELb1ELb0ELi1EEEvPT0_PT_PfS4_S4_S4_diiiiiiib,@function
_ZN5aiter24add_rmsnorm_quant_kernelItaLi256ELi24ELb0ELb1ELb0ELi1EEEvPT0_PT_PfS4_S4_S4_diiiiiiib: ; @_ZN5aiter24add_rmsnorm_quant_kernelItaLi256ELi24ELb0ELb1ELb0ELi1EEEvPT0_PT_PfS4_S4_S4_diiiiiiib
; %bb.0:
	s_load_dwordx4 s[8:11], s[4:5], 0x38
	s_mov_b32 s7, 0
	s_waitcnt lgkmcnt(0)
	s_ashr_i32 s0, s8, 31
	v_mov_b32_e32 v2, s8
	v_mov_b32_e32 v3, s0
	v_cmp_ge_i64_e32 vcc, s[6:7], v[2:3]
	s_cbranch_vccnz .LBB108_49
; %bb.1:
	s_load_dwordx4 s[12:15], s[4:5], 0x10
	s_load_dwordx4 s[0:3], s[4:5], 0x28
	s_ashr_i32 s11, s10, 31
	s_mul_hi_u32 s16, s10, s6
	s_mul_i32 s11, s11, s6
	s_add_i32 s11, s16, s11
	s_mul_i32 s10, s10, s6
	s_lshl_b64 s[10:11], s[10:11], 1
	s_waitcnt lgkmcnt(0)
	s_add_u32 s16, s14, s10
	s_addc_u32 s10, s15, s11
	s_add_i32 s11, s9, 1
	s_lshr_b32 s14, s11, 31
	s_add_i32 s11, s11, s14
	s_lshl_b32 s11, s11, 1
	s_and_b32 s18, s11, -4
	s_and_b32 s17, s10, 0xffff
	s_mov_b32 s19, 0x20000
	v_mul_u32_u24_e32 v1, 48, v0
	buffer_load_dwordx4 v[14:17], v1, s[16:19], 0 offen
	buffer_load_dwordx4 v[18:21], v1, s[16:19], 16 offen
	;; [unrolled: 1-line block ×3, first 2 shown]
	s_mov_b32 s16, s0
	s_and_b32 s17, s1, 0xffff
	buffer_load_dwordx4 v[10:13], v1, s[16:19], 0 offen
	buffer_load_dwordx4 v[6:9], v1, s[16:19], 16 offen
	;; [unrolled: 1-line block ×3, first 2 shown]
	v_and_b32_e32 v60, 63, v0
	v_cmp_eq_u32_e64 s[0:1], 63, v60
	s_waitcnt vmcnt(5)
	v_cvt_f32_u32_sdwa v37, v14 dst_sel:DWORD dst_unused:UNUSED_PAD src0_sel:WORD_1
	v_cvt_f32_u32_sdwa v36, v14 dst_sel:DWORD dst_unused:UNUSED_PAD src0_sel:WORD_0
	v_cvt_f32_u32_sdwa v35, v15 dst_sel:DWORD dst_unused:UNUSED_PAD src0_sel:WORD_1
	v_cvt_f32_u32_sdwa v34, v15 dst_sel:DWORD dst_unused:UNUSED_PAD src0_sel:WORD_0
	;; [unrolled: 2-line block ×3, first 2 shown]
	s_waitcnt vmcnt(4)
	v_cvt_f32_u32_sdwa v29, v18 dst_sel:DWORD dst_unused:UNUSED_PAD src0_sel:WORD_1
	v_cvt_f32_u32_sdwa v28, v18 dst_sel:DWORD dst_unused:UNUSED_PAD src0_sel:WORD_0
	v_cvt_f32_u32_sdwa v27, v19 dst_sel:DWORD dst_unused:UNUSED_PAD src0_sel:WORD_1
	v_cvt_f32_u32_sdwa v26, v19 dst_sel:DWORD dst_unused:UNUSED_PAD src0_sel:WORD_0
	;; [unrolled: 2-line block ×4, first 2 shown]
	s_waitcnt vmcnt(3)
	v_cvt_f32_u32_sdwa v21, v38 dst_sel:DWORD dst_unused:UNUSED_PAD src0_sel:WORD_1
	v_cvt_f32_u32_sdwa v20, v38 dst_sel:DWORD dst_unused:UNUSED_PAD src0_sel:WORD_0
	v_cvt_f32_u32_sdwa v19, v39 dst_sel:DWORD dst_unused:UNUSED_PAD src0_sel:WORD_1
	v_cvt_f32_u32_sdwa v18, v39 dst_sel:DWORD dst_unused:UNUSED_PAD src0_sel:WORD_0
	v_pk_mul_f32 v[38:39], v[36:37], v[36:37]
	v_cvt_f32_u32_sdwa v31, v17 dst_sel:DWORD dst_unused:UNUSED_PAD src0_sel:WORD_1
	v_cvt_f32_u32_sdwa v30, v17 dst_sel:DWORD dst_unused:UNUSED_PAD src0_sel:WORD_0
	v_cvt_f32_u32_sdwa v17, v40 dst_sel:DWORD dst_unused:UNUSED_PAD src0_sel:WORD_1
	v_cvt_f32_u32_sdwa v16, v40 dst_sel:DWORD dst_unused:UNUSED_PAD src0_sel:WORD_0
	;; [unrolled: 2-line block ×3, first 2 shown]
	v_pk_mul_f32 v[40:41], v[34:35], v[34:35]
	v_add_f32_e32 v1, v38, v39
	v_add_f32_e32 v1, v40, v1
	v_pk_mul_f32 v[42:43], v[32:33], v[32:33]
	v_add_f32_e32 v1, v41, v1
	v_add_f32_e32 v1, v42, v1
	;; [unrolled: 3-line block ×11, first 2 shown]
	v_add_f32_e32 v1, v39, v1
	s_nop 1
	v_mov_b32_dpp v38, v1 quad_perm:[1,0,3,2] row_mask:0xf bank_mask:0xf
	v_add_f32_e32 v1, v1, v38
	s_nop 1
	v_mov_b32_dpp v38, v1 quad_perm:[2,3,0,1] row_mask:0xf bank_mask:0xf
	v_add_f32_e32 v1, v1, v38
	s_nop 1
	v_mov_b32_dpp v38, v1 row_half_mirror row_mask:0xf bank_mask:0xf
	v_add_f32_e32 v1, v1, v38
	s_nop 1
	v_mov_b32_dpp v38, v1 row_mirror row_mask:0xf bank_mask:0xf
	v_add_f32_e32 v1, v1, v38
	s_nop 1
	v_mov_b32_dpp v38, v1 row_bcast:15 row_mask:0xf bank_mask:0xf
	v_add_f32_e32 v1, v1, v38
	s_nop 1
	v_mov_b32_dpp v38, v1 row_bcast:31 row_mask:0xf bank_mask:0xf
	s_and_saveexec_b64 s[10:11], s[0:1]
	s_cbranch_execz .LBB108_3
; %bb.2:
	v_lshrrev_b32_e32 v39, 4, v0
	v_and_b32_e32 v39, 60, v39
	v_add_f32_e32 v1, v1, v38
	ds_write_b32 v39, v1 offset:16
.LBB108_3:
	s_or_b64 exec, exec, s[10:11]
	v_and_b32_e32 v1, 3, v0
	v_lshlrev_b32_e32 v38, 2, v1
	s_waitcnt lgkmcnt(0)
	s_barrier
	ds_read_b32 v1, v38 offset:16
	v_cvt_f32_i32_e32 v39, s9
	s_waitcnt lgkmcnt(0)
	v_mov_b32_dpp v40, v1 quad_perm:[1,0,3,2] row_mask:0xf bank_mask:0xf
	v_add_f32_e32 v1, v1, v40
	s_nop 1
	v_mov_b32_dpp v40, v1 quad_perm:[2,3,0,1] row_mask:0xf bank_mask:0xf
	v_add_f32_e32 v1, v1, v40
	v_div_scale_f32 v40, s[10:11], v39, v39, v1
	v_rcp_f32_e32 v41, v40
	v_div_scale_f32 v42, vcc, v1, v39, v1
	s_load_dwordx2 s[10:11], s[4:5], 0x4c
	s_load_dword s18, s[4:5], 0x54
	v_fma_f32 v43, -v40, v41, 1.0
	v_fmac_f32_e32 v41, v43, v41
	v_mul_f32_e32 v43, v42, v41
	v_fma_f32 v44, -v40, v43, v42
	v_fmac_f32_e32 v43, v44, v41
	v_fma_f32 v40, -v40, v43, v42
	v_div_fmas_f32 v40, v40, v41, v43
	v_div_fixup_f32 v1, v40, v39, v1
	v_cvt_f64_f32_e32 v[40:41], v1
	v_add_f64 v[40:41], v[40:41], s[2:3]
	v_cvt_f32_f64_e32 v1, v[40:41]
	s_mov_b32 s2, 0x800000
	v_mul_f32_e32 v39, 0x4b800000, v1
	v_cmp_gt_f32_e32 vcc, s2, v1
	v_cndmask_b32_e32 v1, v1, v39, vcc
	v_rsq_f32_e32 v39, v1
	v_mul_u32_u24_e32 v1, 24, v0
	s_waitcnt lgkmcnt(0)
	s_cmp_lg_u32 s11, 0
	v_mul_f32_e32 v40, 0x45800000, v39
	v_cndmask_b32_e32 v40, v39, v40, vcc
	v_mov_b32_e32 v41, v40
	;;#ASMSTART
	v_pk_mul_f32 v[36:37], v[36:37], v[40:41]
	;;#ASMEND
	;;#ASMSTART
	v_pk_mul_f32 v[34:35], v[34:35], v[40:41]
	;;#ASMEND
	;; [unrolled: 3-line block ×12, first 2 shown]
	s_waitcnt vmcnt(2)
	v_cvt_f32_u32_sdwa v15, v10 dst_sel:DWORD dst_unused:UNUSED_PAD src0_sel:WORD_1
	v_cvt_f32_u32_sdwa v14, v10 dst_sel:DWORD dst_unused:UNUSED_PAD src0_sel:WORD_0
	v_cvt_f32_u32_sdwa v17, v11 dst_sel:DWORD dst_unused:UNUSED_PAD src0_sel:WORD_1
	v_cvt_f32_u32_sdwa v16, v11 dst_sel:DWORD dst_unused:UNUSED_PAD src0_sel:WORD_0
	;; [unrolled: 2-line block ×4, first 2 shown]
	;;#ASMSTART
	v_pk_mul_f32 v[24:25], v[36:37], v[14:15]
	;;#ASMEND
	;;#ASMSTART
	v_pk_mul_f32 v[22:23], v[34:35], v[16:17]
	;;#ASMEND
	;; [unrolled: 3-line block ×3, first 2 shown]
	s_waitcnt vmcnt(1)
	v_cvt_f32_u32_sdwa v11, v6 dst_sel:DWORD dst_unused:UNUSED_PAD src0_sel:WORD_1
	v_cvt_f32_u32_sdwa v10, v6 dst_sel:DWORD dst_unused:UNUSED_PAD src0_sel:WORD_0
	v_cvt_f32_u32_sdwa v13, v7 dst_sel:DWORD dst_unused:UNUSED_PAD src0_sel:WORD_1
	v_cvt_f32_u32_sdwa v12, v7 dst_sel:DWORD dst_unused:UNUSED_PAD src0_sel:WORD_0
	v_cvt_f32_u32_sdwa v7, v8 dst_sel:DWORD dst_unused:UNUSED_PAD src0_sel:WORD_1
	v_cvt_f32_u32_sdwa v6, v8 dst_sel:DWORD dst_unused:UNUSED_PAD src0_sel:WORD_0
	;;#ASMSTART
	v_pk_mul_f32 v[16:17], v[30:31], v[20:21]
	;;#ASMEND
	;;#ASMSTART
	v_pk_mul_f32 v[20:21], v[28:29], v[10:11]
	;;#ASMEND
	;; [unrolled: 3-line block ×4, first 2 shown]
	s_waitcnt vmcnt(0)
	v_cvt_f32_u32_sdwa v7, v2 dst_sel:DWORD dst_unused:UNUSED_PAD src0_sel:WORD_1
	v_cvt_f32_u32_sdwa v6, v2 dst_sel:DWORD dst_unused:UNUSED_PAD src0_sel:WORD_0
	v_cvt_f32_u32_sdwa v27, v3 dst_sel:DWORD dst_unused:UNUSED_PAD src0_sel:WORD_1
	v_cvt_f32_u32_sdwa v26, v3 dst_sel:DWORD dst_unused:UNUSED_PAD src0_sel:WORD_0
	;; [unrolled: 2-line block ×3, first 2 shown]
	v_cvt_f32_u32_sdwa v28, v5 dst_sel:DWORD dst_unused:UNUSED_PAD src0_sel:WORD_0
	v_cvt_f32_u32_sdwa v31, v9 dst_sel:DWORD dst_unused:UNUSED_PAD src0_sel:WORD_1
	v_cvt_f32_u32_sdwa v30, v9 dst_sel:DWORD dst_unused:UNUSED_PAD src0_sel:WORD_0
	;;#ASMSTART
	v_pk_mul_f32 v[8:9], v[44:45], v[30:31]
	;;#ASMEND
	v_cvt_f32_u32_sdwa v29, v5 dst_sel:DWORD dst_unused:UNUSED_PAD src0_sel:WORD_1
	;;#ASMSTART
	v_pk_mul_f32 v[10:11], v[46:47], v[6:7]
	;;#ASMEND
	;;#ASMSTART
	v_pk_mul_f32 v[6:7], v[48:49], v[26:27]
	;;#ASMEND
	;; [unrolled: 3-line block ×4, first 2 shown]
	v_and_b32_e32 v26, 0x7fffffff, v24
	v_mov_b32_e32 v28, 0x2edbe6ff
	v_and_b32_e32 v27, 0x7fffffff, v25
	;;#ASMSTART
	v_max3_f32 v26, v28, v26, v27

	;;#ASMEND
	v_and_b32_e32 v28, 0x7fffffff, v23
	v_and_b32_e32 v27, 0x7fffffff, v22
	;;#ASMSTART
	v_max3_f32 v26, v26, v27, v28

	;;#ASMEND
	v_and_b32_e32 v28, 0x7fffffff, v19
	;; [unrolled: 6-line block ×11, first 2 shown]
	v_and_b32_e32 v27, 0x7fffffff, v2
	;;#ASMSTART
	v_max3_f32 v28, v26, v27, v28

	;;#ASMEND
	s_cbranch_scc0 .LBB108_10
; %bb.4:
	s_mul_hi_i32 s2, s11, 0x2aaaaaab
	s_lshr_b32 s3, s2, 31
	s_ashr_i32 s16, s2, 2
	s_add_i32 s16, s16, s3
	s_cmp_lt_i32 s16, 16
	s_cbranch_scc1 .LBB108_11
; %bb.5:
	s_cmp_lt_i32 s16, 32
	s_cbranch_scc1 .LBB108_12
; %bb.6:
	;; [unrolled: 3-line block ×3, first 2 shown]
	s_cmp_eq_u32 s16, 64
	v_mov_b32_e32 v26, v28
	s_cbranch_scc0 .LBB108_9
; %bb.8:
	s_nop 0
	v_mov_b32_dpp v26, v28 quad_perm:[1,0,3,2] row_mask:0xf bank_mask:0xf
	v_cmp_gt_f32_e32 vcc, v28, v26
	v_cndmask_b32_e32 v26, v26, v28, vcc
	v_bfrev_b32_e32 v29, 0.5
	s_nop 0
	v_mov_b32_dpp v27, v26 quad_perm:[2,3,0,1] row_mask:0xf bank_mask:0xf
	v_cmp_gt_f32_e32 vcc, v26, v27
	v_cndmask_b32_e32 v26, v27, v26, vcc
	s_nop 1
	v_mov_b32_dpp v27, v26 row_ror:4 row_mask:0xf bank_mask:0xf
	v_cmp_gt_f32_e32 vcc, v26, v27
	v_cndmask_b32_e32 v26, v27, v26, vcc
	s_nop 1
	v_mov_b32_dpp v27, v26 row_ror:8 row_mask:0xf bank_mask:0xf
	v_cmp_gt_f32_e32 vcc, v26, v27
	v_cndmask_b32_e32 v26, v27, v26, vcc
	s_nop 1
	v_mov_b32_dpp v27, v26 row_bcast:15 row_mask:0xf bank_mask:0xf
	v_cmp_gt_f32_e32 vcc, v26, v27
	v_cndmask_b32_e32 v26, v27, v26, vcc
	s_nop 1
	v_mov_b32_dpp v27, v26 row_bcast:31 row_mask:0xf bank_mask:0xf
	v_cmp_gt_f32_e32 vcc, v26, v27
	v_cndmask_b32_e32 v26, v27, v26, vcc
	v_mbcnt_lo_u32_b32 v27, -1, 0
	v_mbcnt_hi_u32_b32 v27, -1, v27
	v_lshl_or_b32 v27, v27, 2, v29
	ds_bpermute_b32 v26, v27, v26
.LBB108_9:
	s_mov_b64 s[2:3], 0
	s_branch .LBB108_14
.LBB108_10:
	s_mov_b64 s[2:3], 0
                                        ; implicit-def: $vgpr29
                                        ; implicit-def: $vgpr26_vgpr27
	s_cbranch_execnz .LBB108_43
	s_branch .LBB108_46
.LBB108_11:
                                        ; implicit-def: $vgpr26
	s_branch .LBB108_21
.LBB108_12:
                                        ; implicit-def: $vgpr26
	s_branch .LBB108_18
.LBB108_13:
	s_mov_b64 s[2:3], -1
                                        ; implicit-def: $vgpr26
.LBB108_14:
	s_andn2_b64 vcc, exec, s[2:3]
	s_cbranch_vccnz .LBB108_17
; %bb.15:
	s_cmp_eq_u32 s16, 32
	s_waitcnt lgkmcnt(0)
	v_mov_b32_e32 v26, v28
	s_cbranch_scc0 .LBB108_17
; %bb.16:
	s_nop 0
	v_mov_b32_dpp v26, v28 quad_perm:[1,0,3,2] row_mask:0xf bank_mask:0xf
	v_cmp_gt_f32_e32 vcc, v28, v26
	v_cndmask_b32_e32 v26, v26, v28, vcc
	v_mov_b32_e32 v29, 0x7c
	s_nop 0
	v_mov_b32_dpp v27, v26 quad_perm:[2,3,0,1] row_mask:0xf bank_mask:0xf
	v_cmp_gt_f32_e32 vcc, v26, v27
	v_cndmask_b32_e32 v26, v27, v26, vcc
	s_nop 1
	v_mov_b32_dpp v27, v26 row_half_mirror row_mask:0xf bank_mask:0xf
	v_cmp_gt_f32_e32 vcc, v26, v27
	v_cndmask_b32_e32 v26, v27, v26, vcc
	s_nop 1
	v_mov_b32_dpp v27, v26 row_mirror row_mask:0xf bank_mask:0xf
	v_cmp_gt_f32_e32 vcc, v26, v27
	v_cndmask_b32_e32 v26, v27, v26, vcc
	s_nop 1
	v_mov_b32_dpp v27, v26 row_bcast:15 row_mask:0xa bank_mask:0xf
	v_cmp_gt_f32_e32 vcc, v26, v27
	v_cndmask_b32_e32 v26, v27, v26, vcc
	v_mbcnt_lo_u32_b32 v27, -1, 0
	v_mbcnt_hi_u32_b32 v27, -1, v27
	v_lshl_or_b32 v27, v27, 2, v29
	ds_bpermute_b32 v26, v27, v26
.LBB108_17:
	s_cbranch_execnz .LBB108_20
.LBB108_18:
	s_cmp_eq_u32 s16, 16
	s_waitcnt lgkmcnt(0)
	v_mov_b32_e32 v26, v28
	s_cbranch_scc0 .LBB108_20
; %bb.19:
	s_nop 0
	v_mov_b32_dpp v26, v28 quad_perm:[1,0,3,2] row_mask:0xf bank_mask:0xf
	v_cmp_gt_f32_e32 vcc, v28, v26
	v_cndmask_b32_e32 v26, v26, v28, vcc
	s_nop 1
	v_mov_b32_dpp v27, v26 quad_perm:[2,3,0,1] row_mask:0xf bank_mask:0xf
	v_cmp_gt_f32_e32 vcc, v26, v27
	v_cndmask_b32_e32 v26, v27, v26, vcc
	s_nop 1
	v_mov_b32_dpp v27, v26 row_half_mirror row_mask:0xf bank_mask:0xf
	v_cmp_gt_f32_e32 vcc, v26, v27
	v_cndmask_b32_e32 v26, v27, v26, vcc
	s_nop 1
	v_mov_b32_dpp v27, v26 row_mirror row_mask:0xf bank_mask:0xf
	v_cmp_gt_f32_e32 vcc, v26, v27
	v_cndmask_b32_e32 v26, v27, v26, vcc
.LBB108_20:
	s_cbranch_execnz .LBB108_33
.LBB108_21:
	s_cmp_lt_i32 s16, 4
	s_cbranch_scc1 .LBB108_25
; %bb.22:
	s_cmp_lt_i32 s16, 8
	s_cbranch_scc1 .LBB108_26
; %bb.23:
	s_cmp_eq_u32 s16, 8
	s_waitcnt lgkmcnt(0)
	v_mov_b32_e32 v26, v28
	s_cbranch_scc0 .LBB108_27
; %bb.24:
	s_nop 0
	v_mov_b32_dpp v26, v28 quad_perm:[1,0,3,2] row_mask:0xf bank_mask:0xf
	v_cmp_gt_f32_e32 vcc, v28, v26
	v_cndmask_b32_e32 v26, v26, v28, vcc
	s_nop 1
	v_mov_b32_dpp v27, v26 quad_perm:[2,3,0,1] row_mask:0xf bank_mask:0xf
	v_cmp_gt_f32_e32 vcc, v26, v27
	v_cndmask_b32_e32 v26, v27, v26, vcc
	s_nop 1
	v_mov_b32_dpp v27, v26 row_half_mirror row_mask:0xf bank_mask:0xf
	v_cmp_gt_f32_e32 vcc, v26, v27
	v_cndmask_b32_e32 v26, v27, v26, vcc
	s_cbranch_execz .LBB108_28
	s_branch .LBB108_30
.LBB108_25:
                                        ; implicit-def: $vgpr26
	s_branch .LBB108_31
.LBB108_26:
                                        ; implicit-def: $vgpr26
	s_branch .LBB108_28
.LBB108_27:
	s_cbranch_execnz .LBB108_30
.LBB108_28:
	s_cmp_eq_u32 s16, 4
	s_waitcnt lgkmcnt(0)
	v_mov_b32_e32 v26, v28
	s_cbranch_scc0 .LBB108_30
; %bb.29:
	s_nop 0
	v_mov_b32_dpp v26, v28 quad_perm:[1,0,3,2] row_mask:0xf bank_mask:0xf
	v_cmp_gt_f32_e32 vcc, v28, v26
	v_cndmask_b32_e32 v26, v26, v28, vcc
	s_nop 1
	v_mov_b32_dpp v27, v26 quad_perm:[2,3,0,1] row_mask:0xf bank_mask:0xf
	v_cmp_gt_f32_e32 vcc, v26, v27
	v_cndmask_b32_e32 v26, v27, v26, vcc
.LBB108_30:
	s_cbranch_execnz .LBB108_33
.LBB108_31:
	s_cmp_lg_u32 s16, 2
	s_waitcnt lgkmcnt(0)
	v_mov_b32_e32 v26, v28
	s_cbranch_scc1 .LBB108_33
; %bb.32:
	s_nop 0
	v_mov_b32_dpp v26, v28 quad_perm:[1,0,3,2] row_mask:0xf bank_mask:0xf
	v_cmp_gt_f32_e32 vcc, v28, v26
	v_cndmask_b32_e32 v26, v26, v28, vcc
.LBB108_33:
	v_cvt_f32_u32_e32 v27, s16
	s_waitcnt lgkmcnt(0)
	v_mul_f32_e32 v29, 0x3c010204, v26
	s_sub_i32 s2, 0, s16
	v_cmp_gt_u32_e32 vcc, s9, v1
	v_rcp_iflag_f32_e32 v27, v27
	s_mov_b64 s[14:15], 0
	v_mul_f32_e32 v26, 0x4f7ffffe, v27
	v_cvt_u32_f32_e32 v26, v26
	v_mul_lo_u32 v27, s2, v26
	v_mul_hi_u32 v27, v26, v27
	v_add_u32_e32 v26, v26, v27
	v_mul_hi_u32 v26, v0, v26
	v_mul_lo_u32 v27, v26, s16
	v_sub_u32_e32 v27, v0, v27
	v_add_u32_e32 v30, 1, v26
	v_cmp_le_u32_e64 s[2:3], s16, v27
	v_cndmask_b32_e64 v26, v26, v30, s[2:3]
	v_subrev_u32_e32 v30, s16, v27
	v_cndmask_b32_e64 v27, v27, v30, s[2:3]
	v_add_u32_e32 v30, 1, v26
	v_cmp_le_u32_e64 s[2:3], s16, v27
	v_cndmask_b32_e64 v30, v26, v30, s[2:3]
	v_mul_lo_u32 v26, v30, s16
	v_sub_u32_e32 v26, v0, v26
	v_cmp_eq_u32_e64 s[2:3], 0, v26
	s_and_b64 s[16:17], s[2:3], vcc
	s_mov_b64 s[2:3], 0
                                        ; implicit-def: $vgpr26_vgpr27
	s_and_saveexec_b64 s[20:21], s[16:17]
	s_xor_b64 s[16:17], exec, s[20:21]
	s_cbranch_execz .LBB108_42
; %bb.34:
	s_bitcmp0_b32 s18, 0
	s_cbranch_scc0 .LBB108_39
; %bb.35:
	s_ashr_i32 s2, s9, 31
	s_mul_hi_u32 s3, s9, s6
	s_mul_i32 s2, s2, s6
	s_add_i32 s21, s3, s2
	s_mul_i32 s20, s9, s6
	s_ashr_i32 s19, s11, 31
	s_mov_b32 s18, s11
	s_or_b64 s[2:3], s[20:21], s[18:19]
	s_mov_b32 s2, 0
	s_cmp_lg_u64 s[2:3], 0
	s_cbranch_scc0 .LBB108_50
; %bb.36:
	s_add_u32 s2, s18, s19
	s_mov_b32 s24, s19
	s_mov_b32 s25, s19
	s_addc_u32 s3, s19, s19
	s_xor_b64 s[26:27], s[2:3], s[24:25]
	v_cvt_f32_u32_e32 v26, s26
	v_cvt_f32_u32_e32 v27, s27
	s_sub_u32 s2, 0, s26
	s_subb_u32 s3, 0, s27
	v_madmk_f32 v26, v27, 0x4f800000, v26
	v_rcp_f32_e32 v26, v26
	v_mul_f32_e32 v26, 0x5f7ffffc, v26
	v_mul_f32_e32 v27, 0x2f800000, v26
	v_trunc_f32_e32 v27, v27
	v_madmk_f32 v26, v27, 0xcf800000, v26
	v_cvt_u32_f32_e32 v27, v27
	v_cvt_u32_f32_e32 v26, v26
	v_readfirstlane_b32 s11, v27
	v_readfirstlane_b32 s19, v26
	s_mul_i32 s28, s2, s11
	s_mul_hi_u32 s30, s2, s19
	s_mul_i32 s29, s3, s19
	s_add_i32 s28, s30, s28
	s_add_i32 s28, s28, s29
	s_mul_i32 s31, s2, s19
	s_mul_hi_u32 s29, s19, s28
	s_mul_i32 s30, s19, s28
	s_mul_hi_u32 s19, s19, s31
	s_add_u32 s19, s19, s30
	s_addc_u32 s29, 0, s29
	s_mul_hi_u32 s33, s11, s31
	s_mul_i32 s31, s11, s31
	s_add_u32 s19, s19, s31
	s_mul_hi_u32 s30, s11, s28
	s_addc_u32 s19, s29, s33
	s_addc_u32 s29, s30, 0
	s_mul_i32 s28, s11, s28
	s_add_u32 s19, s19, s28
	s_addc_u32 s28, 0, s29
	v_add_co_u32_e32 v26, vcc, s19, v26
	s_cmp_lg_u64 vcc, 0
	s_addc_u32 s11, s11, s28
	v_readfirstlane_b32 s28, v26
	s_mul_i32 s19, s2, s11
	s_mul_hi_u32 s29, s2, s28
	s_add_i32 s19, s29, s19
	s_mul_i32 s3, s3, s28
	s_add_i32 s19, s19, s3
	s_mul_i32 s2, s2, s28
	s_mul_hi_u32 s29, s11, s2
	s_mul_i32 s30, s11, s2
	s_mul_i32 s33, s28, s19
	s_mul_hi_u32 s2, s28, s2
	s_mul_hi_u32 s31, s28, s19
	s_add_u32 s2, s2, s33
	s_addc_u32 s28, 0, s31
	s_add_u32 s2, s2, s30
	s_mul_hi_u32 s3, s11, s19
	s_addc_u32 s2, s28, s29
	s_addc_u32 s3, s3, 0
	s_mul_i32 s19, s11, s19
	s_add_u32 s2, s2, s19
	s_addc_u32 s3, 0, s3
	v_add_co_u32_e32 v26, vcc, s2, v26
	s_cmp_lg_u64 vcc, 0
	s_addc_u32 s11, s11, s3
	s_ashr_i32 s28, s21, 31
	s_add_u32 s2, s20, s28
	s_mov_b32 s29, s28
	s_addc_u32 s3, s21, s28
	s_xor_b64 s[30:31], s[2:3], s[28:29]
	v_readfirstlane_b32 s19, v26
	s_mul_i32 s3, s30, s11
	s_mul_hi_u32 s21, s30, s19
	s_mul_hi_u32 s2, s30, s11
	s_add_u32 s3, s21, s3
	s_addc_u32 s2, 0, s2
	s_mul_hi_u32 s33, s31, s19
	s_mul_i32 s19, s31, s19
	s_add_u32 s3, s3, s19
	s_mul_hi_u32 s21, s31, s11
	s_addc_u32 s2, s2, s33
	s_addc_u32 s3, s21, 0
	s_mul_i32 s11, s31, s11
	s_add_u32 s11, s2, s11
	s_addc_u32 s19, 0, s3
	s_mul_i32 s2, s26, s19
	s_mul_hi_u32 s3, s26, s11
	s_add_i32 s2, s3, s2
	s_mul_i32 s3, s27, s11
	s_add_i32 s21, s2, s3
	s_mul_i32 s3, s26, s11
	v_mov_b32_e32 v26, s3
	s_sub_i32 s2, s31, s21
	v_sub_co_u32_e32 v26, vcc, s30, v26
	s_cmp_lg_u64 vcc, 0
	s_subb_u32 s30, s2, s27
	v_subrev_co_u32_e64 v27, s[2:3], s26, v26
	s_cmp_lg_u64 s[2:3], 0
	s_subb_u32 s30, s30, 0
	s_cmp_ge_u32 s30, s27
	s_cselect_b32 s33, -1, 0
	v_cmp_le_u32_e64 s[2:3], s26, v27
	s_cmp_eq_u32 s30, s27
	v_cndmask_b32_e64 v27, 0, -1, s[2:3]
	v_mov_b32_e32 v31, s33
	s_cselect_b64 s[2:3], -1, 0
	v_cndmask_b32_e64 v27, v31, v27, s[2:3]
	s_add_u32 s2, s11, 1
	s_addc_u32 s30, s19, 0
	s_add_u32 s3, s11, 2
	s_addc_u32 s33, s19, 0
	v_mov_b32_e32 v31, s2
	v_mov_b32_e32 v32, s3
	v_cmp_ne_u32_e64 s[2:3], 0, v27
	v_cndmask_b32_e64 v27, v31, v32, s[2:3]
	v_mov_b32_e32 v31, s30
	v_mov_b32_e32 v32, s33
	s_cmp_lg_u64 vcc, 0
	v_cndmask_b32_e64 v31, v31, v32, s[2:3]
	s_subb_u32 s2, s31, s21
	s_cmp_ge_u32 s2, s27
	s_cselect_b32 s3, -1, 0
	v_cmp_le_u32_e32 vcc, s26, v26
	s_cmp_eq_u32 s2, s27
	v_cndmask_b32_e64 v26, 0, -1, vcc
	v_mov_b32_e32 v32, s3
	s_cselect_b64 vcc, -1, 0
	v_cndmask_b32_e32 v26, v32, v26, vcc
	v_mov_b32_e32 v32, s19
	v_cmp_ne_u32_e32 vcc, 0, v26
	v_cndmask_b32_e32 v26, v32, v31, vcc
	v_mov_b32_e32 v31, s11
	v_cndmask_b32_e32 v27, v31, v27, vcc
	s_xor_b64 s[2:3], s[28:29], s[24:25]
	v_xor_b32_e32 v27, s2, v27
	v_xor_b32_e32 v31, s3, v26
	v_mov_b32_e32 v32, s3
	v_subrev_co_u32_e32 v26, vcc, s2, v27
	v_subb_co_u32_e32 v27, vcc, v31, v32, vcc
	s_cbranch_execnz .LBB108_38
.LBB108_37:
	v_cvt_f32_u32_e32 v26, s18
	s_sub_i32 s2, 0, s18
	s_mov_b32 s3, 0
	v_rcp_iflag_f32_e32 v26, v26
	v_mul_f32_e32 v26, 0x4f7ffffe, v26
	v_cvt_u32_f32_e32 v26, v26
	v_readfirstlane_b32 s11, v26
	s_mul_i32 s2, s2, s11
	s_mul_hi_u32 s2, s11, s2
	s_add_i32 s11, s11, s2
	s_mul_hi_u32 s2, s20, s11
	s_mul_i32 s19, s2, s18
	s_sub_i32 s19, s20, s19
	s_add_i32 s11, s2, 1
	s_sub_i32 s20, s19, s18
	s_cmp_ge_u32 s19, s18
	s_cselect_b32 s2, s11, s2
	s_cselect_b32 s19, s20, s19
	s_add_i32 s11, s2, 1
	s_cmp_ge_u32 s19, s18
	s_cselect_b32 s2, s11, s2
	v_pk_mov_b32 v[26:27], s[2:3], s[2:3] op_sel:[0,1]
.LBB108_38:
	v_add_co_u32_e32 v26, vcc, v26, v30
	v_addc_co_u32_e32 v27, vcc, 0, v27, vcc
	s_branch .LBB108_41
.LBB108_39:
                                        ; implicit-def: $vgpr26_vgpr27
	s_cbranch_execz .LBB108_41
; %bb.40:
	v_mul_lo_u32 v26, v30, s8
	v_ashrrev_i32_e32 v27, 31, v26
	v_mov_b32_e32 v30, s7
	v_add_co_u32_e32 v26, vcc, s6, v26
	v_addc_co_u32_e32 v27, vcc, v27, v30, vcc
.LBB108_41:
	s_mov_b64 s[2:3], exec
.LBB108_42:
	s_or_b64 exec, exec, s[16:17]
	s_and_b64 vcc, exec, s[14:15]
	s_cbranch_vccz .LBB108_46
.LBB108_43:
	v_mov_b32_dpp v26, v28 quad_perm:[1,0,3,2] row_mask:0xf bank_mask:0xf
	v_cmp_gt_f32_e32 vcc, v28, v26
	v_cndmask_b32_e32 v26, v26, v28, vcc
	s_nop 1
	v_mov_b32_dpp v27, v26 quad_perm:[2,3,0,1] row_mask:0xf bank_mask:0xf
	v_cmp_gt_f32_e32 vcc, v26, v27
	v_cndmask_b32_e32 v26, v27, v26, vcc
	s_nop 1
	v_mov_b32_dpp v27, v26 row_half_mirror row_mask:0xf bank_mask:0xf
	v_cmp_gt_f32_e32 vcc, v26, v27
	v_cndmask_b32_e32 v26, v27, v26, vcc
	s_nop 1
	v_mov_b32_dpp v27, v26 row_mirror row_mask:0xf bank_mask:0xf
	v_cmp_gt_f32_e32 vcc, v26, v27
	v_cndmask_b32_e32 v26, v27, v26, vcc
	s_nop 1
	v_mov_b32_dpp v27, v26 row_bcast:15 row_mask:0xf bank_mask:0xf
	v_cmp_gt_f32_e32 vcc, v26, v27
	v_cndmask_b32_e32 v26, v27, v26, vcc
	s_nop 1
	v_mov_b32_dpp v27, v26 row_bcast:31 row_mask:0xf bank_mask:0xf
	s_and_saveexec_b64 s[2:3], s[0:1]
	s_cbranch_execz .LBB108_45
; %bb.44:
	v_lshrrev_b32_e32 v28, 4, v0
	v_cmp_gt_f32_e32 vcc, v26, v27
	v_and_b32_e32 v28, 60, v28
	v_cndmask_b32_e32 v26, v27, v26, vcc
	ds_write_b32 v28, v26
.LBB108_45:
	s_or_b64 exec, exec, s[2:3]
	s_waitcnt lgkmcnt(0)
	s_barrier
	ds_read_b32 v26, v38
	v_cmp_eq_u32_e64 s[2:3], 0, v0
	s_waitcnt lgkmcnt(0)
	v_mov_b32_dpp v27, v26 quad_perm:[1,0,3,2] row_mask:0xf bank_mask:0xf
	v_cmp_gt_f32_e32 vcc, v26, v27
	v_cndmask_b32_e32 v26, v27, v26, vcc
	s_nop 1
	v_mov_b32_dpp v27, v26 quad_perm:[2,3,0,1] row_mask:0xf bank_mask:0xf
	v_cmp_gt_f32_e32 vcc, v26, v27
	v_cndmask_b32_e32 v26, v27, v26, vcc
	v_mul_f32_e32 v29, 0x3c010204, v26
	v_pk_mov_b32 v[26:27], s[6:7], s[6:7] op_sel:[0,1]
.LBB108_46:
	s_and_saveexec_b64 s[0:1], s[2:3]
	s_cbranch_execz .LBB108_48
; %bb.47:
	v_lshlrev_b64 v[26:27], 2, v[26:27]
	v_mov_b32_e32 v0, s13
	v_add_co_u32_e32 v26, vcc, s12, v26
	v_addc_co_u32_e32 v27, vcc, v0, v27, vcc
	global_store_dword v[26:27], v29, off
.LBB108_48:
	s_or_b64 exec, exec, s[0:1]
	s_add_i32 s2, s9, 3
	s_load_dwordx2 s[0:1], s[4:5], 0x0
	s_ashr_i32 s3, s2, 31
	;;#ASMSTART
	v_rcp_f32 v26, v29
	;;#ASMEND
	v_mov_b32_e32 v27, v26
	;;#ASMSTART
	v_pk_mul_f32 v[24:25], v[24:25], v[26:27]
	;;#ASMEND
	;;#ASMSTART
	v_pk_mul_f32 v[22:23], v[22:23], v[26:27]
	;;#ASMEND
	s_lshr_b32 s3, s3, 30
	v_cvt_i32_f32_e32 v0, v24
	v_cvt_i32_f32_sdwa v24, v25 dst_sel:BYTE_1 dst_unused:UNUSED_PAD src0_sel:DWORD
	v_cvt_i32_f32_e32 v22, v22
	v_cvt_i32_f32_sdwa v23, v23 dst_sel:BYTE_1 dst_unused:UNUSED_PAD src0_sel:DWORD
	;;#ASMSTART
	v_pk_mul_f32 v[18:19], v[18:19], v[26:27]
	;;#ASMEND
	;;#ASMSTART
	v_pk_mul_f32 v[16:17], v[16:17], v[26:27]
	;;#ASMEND
	s_add_i32 s2, s2, s3
	s_ashr_i32 s3, s10, 31
	v_cvt_i32_f32_e32 v18, v18
	v_cvt_i32_f32_sdwa v19, v19 dst_sel:BYTE_1 dst_unused:UNUSED_PAD src0_sel:DWORD
	v_cvt_i32_f32_e32 v25, v16
	v_cvt_i32_f32_sdwa v17, v17 dst_sel:BYTE_1 dst_unused:UNUSED_PAD src0_sel:DWORD
	s_mul_hi_u32 s4, s10, s6
	s_mul_i32 s3, s3, s6
	s_and_b32 s2, s2, -4
	s_add_i32 s4, s4, s3
	s_mul_i32 s3, s10, s6
	s_waitcnt lgkmcnt(0)
	s_add_u32 s0, s0, s3
	v_or_b32_sdwa v0, v0, v24 dst_sel:DWORD dst_unused:UNUSED_PAD src0_sel:BYTE_0 src1_sel:DWORD
	v_or_b32_sdwa v16, v22, v23 dst_sel:WORD_1 dst_unused:UNUSED_PAD src0_sel:BYTE_0 src1_sel:DWORD
	s_addc_u32 s1, s1, s4
	v_or_b32_sdwa v16, v0, v16 dst_sel:DWORD dst_unused:UNUSED_PAD src0_sel:WORD_0 src1_sel:DWORD
	v_or_b32_sdwa v0, v18, v19 dst_sel:DWORD dst_unused:UNUSED_PAD src0_sel:BYTE_0 src1_sel:DWORD
	v_or_b32_sdwa v17, v25, v17 dst_sel:WORD_1 dst_unused:UNUSED_PAD src0_sel:BYTE_0 src1_sel:DWORD
	s_and_b32 s1, s1, 0xffff
	s_mov_b32 s3, 0x20000
	v_or_b32_sdwa v17, v0, v17 dst_sel:DWORD dst_unused:UNUSED_PAD src0_sel:WORD_0 src1_sel:DWORD
	buffer_store_dwordx2 v[16:17], v1, s[0:3], 0 offen
	;;#ASMSTART
	s_nop 0
	;;#ASMEND
	;;#ASMSTART
	v_pk_mul_f32 v[16:17], v[20:21], v[26:27]
	;;#ASMEND
	;;#ASMSTART
	v_pk_mul_f32 v[14:15], v[14:15], v[26:27]
	;;#ASMEND
	v_cvt_i32_f32_e32 v0, v16
	v_cvt_i32_f32_sdwa v16, v17 dst_sel:BYTE_1 dst_unused:UNUSED_PAD src0_sel:DWORD
	v_cvt_i32_f32_e32 v14, v14
	v_cvt_i32_f32_sdwa v15, v15 dst_sel:BYTE_1 dst_unused:UNUSED_PAD src0_sel:DWORD
	;;#ASMSTART
	v_pk_mul_f32 v[12:13], v[12:13], v[26:27]
	;;#ASMEND
	;;#ASMSTART
	v_pk_mul_f32 v[8:9], v[8:9], v[26:27]
	;;#ASMEND
	v_cvt_i32_f32_e32 v12, v12
	v_cvt_i32_f32_sdwa v13, v13 dst_sel:BYTE_1 dst_unused:UNUSED_PAD src0_sel:DWORD
	v_cvt_i32_f32_e32 v17, v8
	v_cvt_i32_f32_sdwa v9, v9 dst_sel:BYTE_1 dst_unused:UNUSED_PAD src0_sel:DWORD
	v_or_b32_sdwa v0, v0, v16 dst_sel:DWORD dst_unused:UNUSED_PAD src0_sel:BYTE_0 src1_sel:DWORD
	v_or_b32_sdwa v8, v14, v15 dst_sel:WORD_1 dst_unused:UNUSED_PAD src0_sel:BYTE_0 src1_sel:DWORD
	v_or_b32_sdwa v8, v0, v8 dst_sel:DWORD dst_unused:UNUSED_PAD src0_sel:WORD_0 src1_sel:DWORD
	v_or_b32_sdwa v0, v12, v13 dst_sel:DWORD dst_unused:UNUSED_PAD src0_sel:BYTE_0 src1_sel:DWORD
	v_or_b32_sdwa v9, v17, v9 dst_sel:WORD_1 dst_unused:UNUSED_PAD src0_sel:BYTE_0 src1_sel:DWORD
	v_or_b32_sdwa v9, v0, v9 dst_sel:DWORD dst_unused:UNUSED_PAD src0_sel:WORD_0 src1_sel:DWORD
	buffer_store_dwordx2 v[8:9], v1, s[0:3], 8 offen
	;;#ASMSTART
	s_nop 0
	;;#ASMEND
	;;#ASMSTART
	v_pk_mul_f32 v[8:9], v[10:11], v[26:27]
	;;#ASMEND
	;;#ASMSTART
	v_pk_mul_f32 v[6:7], v[6:7], v[26:27]
	;;#ASMEND
	v_cvt_i32_f32_e32 v0, v8
	v_cvt_i32_f32_sdwa v8, v9 dst_sel:BYTE_1 dst_unused:UNUSED_PAD src0_sel:DWORD
	v_cvt_i32_f32_e32 v6, v6
	v_cvt_i32_f32_sdwa v7, v7 dst_sel:BYTE_1 dst_unused:UNUSED_PAD src0_sel:DWORD
	;;#ASMSTART
	v_pk_mul_f32 v[4:5], v[4:5], v[26:27]
	;;#ASMEND
	;;#ASMSTART
	v_pk_mul_f32 v[2:3], v[2:3], v[26:27]
	;;#ASMEND
	v_cvt_i32_f32_e32 v4, v4
	v_cvt_i32_f32_sdwa v5, v5 dst_sel:BYTE_1 dst_unused:UNUSED_PAD src0_sel:DWORD
	v_cvt_i32_f32_e32 v9, v2
	v_cvt_i32_f32_sdwa v3, v3 dst_sel:BYTE_1 dst_unused:UNUSED_PAD src0_sel:DWORD
	v_or_b32_sdwa v0, v0, v8 dst_sel:DWORD dst_unused:UNUSED_PAD src0_sel:BYTE_0 src1_sel:DWORD
	v_or_b32_sdwa v2, v6, v7 dst_sel:WORD_1 dst_unused:UNUSED_PAD src0_sel:BYTE_0 src1_sel:DWORD
	v_or_b32_sdwa v2, v0, v2 dst_sel:DWORD dst_unused:UNUSED_PAD src0_sel:WORD_0 src1_sel:DWORD
	v_or_b32_sdwa v0, v4, v5 dst_sel:DWORD dst_unused:UNUSED_PAD src0_sel:BYTE_0 src1_sel:DWORD
	v_or_b32_sdwa v3, v9, v3 dst_sel:WORD_1 dst_unused:UNUSED_PAD src0_sel:BYTE_0 src1_sel:DWORD
	v_or_b32_sdwa v3, v0, v3 dst_sel:DWORD dst_unused:UNUSED_PAD src0_sel:WORD_0 src1_sel:DWORD
	buffer_store_dwordx2 v[2:3], v1, s[0:3], 16 offen
	;;#ASMSTART
	s_nop 0
	;;#ASMEND
.LBB108_49:
	s_endpgm
.LBB108_50:
                                        ; implicit-def: $vgpr26_vgpr27
	s_branch .LBB108_37
	.section	.rodata,"a",@progbits
	.p2align	6, 0x0
	.amdhsa_kernel _ZN5aiter24add_rmsnorm_quant_kernelItaLi256ELi24ELb0ELb1ELb0ELi1EEEvPT0_PT_PfS4_S4_S4_diiiiiiib
		.amdhsa_group_segment_fixed_size 32
		.amdhsa_private_segment_fixed_size 0
		.amdhsa_kernarg_size 88
		.amdhsa_user_sgpr_count 6
		.amdhsa_user_sgpr_private_segment_buffer 1
		.amdhsa_user_sgpr_dispatch_ptr 0
		.amdhsa_user_sgpr_queue_ptr 0
		.amdhsa_user_sgpr_kernarg_segment_ptr 1
		.amdhsa_user_sgpr_dispatch_id 0
		.amdhsa_user_sgpr_flat_scratch_init 0
		.amdhsa_user_sgpr_kernarg_preload_length 0
		.amdhsa_user_sgpr_kernarg_preload_offset 0
		.amdhsa_user_sgpr_private_segment_size 0
		.amdhsa_uses_dynamic_stack 0
		.amdhsa_system_sgpr_private_segment_wavefront_offset 0
		.amdhsa_system_sgpr_workgroup_id_x 1
		.amdhsa_system_sgpr_workgroup_id_y 0
		.amdhsa_system_sgpr_workgroup_id_z 0
		.amdhsa_system_sgpr_workgroup_info 0
		.amdhsa_system_vgpr_workitem_id 0
		.amdhsa_next_free_vgpr 61
		.amdhsa_next_free_sgpr 34
		.amdhsa_accum_offset 64
		.amdhsa_reserve_vcc 1
		.amdhsa_reserve_flat_scratch 0
		.amdhsa_float_round_mode_32 0
		.amdhsa_float_round_mode_16_64 0
		.amdhsa_float_denorm_mode_32 3
		.amdhsa_float_denorm_mode_16_64 3
		.amdhsa_dx10_clamp 1
		.amdhsa_ieee_mode 1
		.amdhsa_fp16_overflow 0
		.amdhsa_tg_split 0
		.amdhsa_exception_fp_ieee_invalid_op 0
		.amdhsa_exception_fp_denorm_src 0
		.amdhsa_exception_fp_ieee_div_zero 0
		.amdhsa_exception_fp_ieee_overflow 0
		.amdhsa_exception_fp_ieee_underflow 0
		.amdhsa_exception_fp_ieee_inexact 0
		.amdhsa_exception_int_div_zero 0
	.end_amdhsa_kernel
	.section	.text._ZN5aiter24add_rmsnorm_quant_kernelItaLi256ELi24ELb0ELb1ELb0ELi1EEEvPT0_PT_PfS4_S4_S4_diiiiiiib,"axG",@progbits,_ZN5aiter24add_rmsnorm_quant_kernelItaLi256ELi24ELb0ELb1ELb0ELi1EEEvPT0_PT_PfS4_S4_S4_diiiiiiib,comdat
.Lfunc_end108:
	.size	_ZN5aiter24add_rmsnorm_quant_kernelItaLi256ELi24ELb0ELb1ELb0ELi1EEEvPT0_PT_PfS4_S4_S4_diiiiiiib, .Lfunc_end108-_ZN5aiter24add_rmsnorm_quant_kernelItaLi256ELi24ELb0ELb1ELb0ELi1EEEvPT0_PT_PfS4_S4_S4_diiiiiiib
                                        ; -- End function
	.section	.AMDGPU.csdata,"",@progbits
; Kernel info:
; codeLenInByte = 4144
; NumSgprs: 38
; NumVgprs: 61
; NumAgprs: 0
; TotalNumVgprs: 61
; ScratchSize: 0
; MemoryBound: 0
; FloatMode: 240
; IeeeMode: 1
; LDSByteSize: 32 bytes/workgroup (compile time only)
; SGPRBlocks: 4
; VGPRBlocks: 7
; NumSGPRsForWavesPerEU: 38
; NumVGPRsForWavesPerEU: 61
; AccumOffset: 64
; Occupancy: 8
; WaveLimiterHint : 0
; COMPUTE_PGM_RSRC2:SCRATCH_EN: 0
; COMPUTE_PGM_RSRC2:USER_SGPR: 6
; COMPUTE_PGM_RSRC2:TRAP_HANDLER: 0
; COMPUTE_PGM_RSRC2:TGID_X_EN: 1
; COMPUTE_PGM_RSRC2:TGID_Y_EN: 0
; COMPUTE_PGM_RSRC2:TGID_Z_EN: 0
; COMPUTE_PGM_RSRC2:TIDIG_COMP_CNT: 0
; COMPUTE_PGM_RSRC3_GFX90A:ACCUM_OFFSET: 15
; COMPUTE_PGM_RSRC3_GFX90A:TG_SPLIT: 0
	.section	.text._ZN5aiter24add_rmsnorm_quant_kernelIDF16_aLi256ELi32ELb0ELb1ELb1ELi1EEEvPT0_PT_PfS4_S4_S4_diiiiiiib,"axG",@progbits,_ZN5aiter24add_rmsnorm_quant_kernelIDF16_aLi256ELi32ELb0ELb1ELb1ELi1EEEvPT0_PT_PfS4_S4_S4_diiiiiiib,comdat
	.protected	_ZN5aiter24add_rmsnorm_quant_kernelIDF16_aLi256ELi32ELb0ELb1ELb1ELi1EEEvPT0_PT_PfS4_S4_S4_diiiiiiib ; -- Begin function _ZN5aiter24add_rmsnorm_quant_kernelIDF16_aLi256ELi32ELb0ELb1ELb1ELi1EEEvPT0_PT_PfS4_S4_S4_diiiiiiib
	.globl	_ZN5aiter24add_rmsnorm_quant_kernelIDF16_aLi256ELi32ELb0ELb1ELb1ELi1EEEvPT0_PT_PfS4_S4_S4_diiiiiiib
	.p2align	8
	.type	_ZN5aiter24add_rmsnorm_quant_kernelIDF16_aLi256ELi32ELb0ELb1ELb1ELi1EEEvPT0_PT_PfS4_S4_S4_diiiiiiib,@function
_ZN5aiter24add_rmsnorm_quant_kernelIDF16_aLi256ELi32ELb0ELb1ELb1ELi1EEEvPT0_PT_PfS4_S4_S4_diiiiiiib: ; @_ZN5aiter24add_rmsnorm_quant_kernelIDF16_aLi256ELi32ELb0ELb1ELb1ELi1EEEvPT0_PT_PfS4_S4_S4_diiiiiiib
; %bb.0:
	s_load_dwordx4 s[8:11], s[4:5], 0x38
	s_mov_b32 s7, 0
	s_waitcnt lgkmcnt(0)
	s_ashr_i32 s0, s8, 31
	v_mov_b32_e32 v2, s8
	v_mov_b32_e32 v3, s0
	v_cmp_ge_i64_e32 vcc, s[6:7], v[2:3]
	s_cbranch_vccnz .LBB109_49
; %bb.1:
	s_load_dwordx4 s[12:15], s[4:5], 0x10
	s_load_dwordx4 s[0:3], s[4:5], 0x28
	s_ashr_i32 s11, s10, 31
	s_mul_hi_u32 s16, s10, s6
	s_mul_i32 s11, s11, s6
	s_add_i32 s11, s16, s11
	s_mul_i32 s10, s10, s6
	s_lshl_b64 s[10:11], s[10:11], 1
	s_waitcnt lgkmcnt(0)
	s_add_u32 s16, s14, s10
	s_addc_u32 s10, s15, s11
	s_add_i32 s11, s9, 1
	s_lshr_b32 s14, s11, 31
	v_lshlrev_b32_e32 v53, 5, v0
	s_add_i32 s11, s11, s14
	s_and_b32 s17, s10, 0xffff
	v_lshlrev_b32_e32 v1, 3, v0
	v_and_b32_e32 v2, 0x7800, v53
	s_movk_i32 s10, 0x1f8
	s_lshl_b32 s11, s11, 1
	v_and_or_b32 v1, v1, s10, v2
	s_and_b32 s18, s11, -4
	s_mov_b32 s19, 0x20000
	v_lshlrev_b32_e32 v34, 1, v1
	buffer_load_dwordx4 v[30:33], v34, s[16:19], 0 offen glc slc
	s_movk_i32 s10, 0x400
	buffer_load_dwordx4 v[26:29], v34, s[16:19], s10 offen glc slc
	s_movk_i32 s11, 0x800
	s_movk_i32 s14, 0xc00
	buffer_load_dwordx4 v[22:25], v34, s[16:19], s11 offen glc slc
	buffer_load_dwordx4 v[18:21], v34, s[16:19], s14 offen glc slc
	s_mov_b32 s16, s0
	s_and_b32 s17, s1, 0xffff
	buffer_load_dwordx4 v[14:17], v34, s[16:19], 0 offen
	buffer_load_dwordx4 v[10:13], v34, s[16:19], s10 offen
	;; [unrolled: 1-line block ×4, first 2 shown]
	v_and_b32_e32 v52, 63, v0
	v_cmp_eq_u32_e64 s[0:1], 63, v52
	s_waitcnt vmcnt(7)
	v_cvt_f32_f16_e32 v50, v30
	v_cvt_f32_f16_sdwa v51, v30 dst_sel:DWORD dst_unused:UNUSED_PAD src0_sel:WORD_1
	v_cvt_f32_f16_e32 v48, v31
	v_cvt_f32_f16_sdwa v49, v31 dst_sel:DWORD dst_unused:UNUSED_PAD src0_sel:WORD_1
	v_cvt_f32_f16_e32 v46, v32
	v_cvt_f32_f16_sdwa v47, v32 dst_sel:DWORD dst_unused:UNUSED_PAD src0_sel:WORD_1
	v_cvt_f32_f16_e32 v44, v33
	v_cvt_f32_f16_sdwa v45, v33 dst_sel:DWORD dst_unused:UNUSED_PAD src0_sel:WORD_1
	s_waitcnt vmcnt(6)
	v_cvt_f32_f16_e32 v42, v26
	v_cvt_f32_f16_sdwa v43, v26 dst_sel:DWORD dst_unused:UNUSED_PAD src0_sel:WORD_1
	v_cvt_f32_f16_e32 v40, v27
	v_cvt_f32_f16_sdwa v41, v27 dst_sel:DWORD dst_unused:UNUSED_PAD src0_sel:WORD_1
	v_cvt_f32_f16_e32 v38, v28
	v_cvt_f32_f16_sdwa v39, v28 dst_sel:DWORD dst_unused:UNUSED_PAD src0_sel:WORD_1
	v_cvt_f32_f16_e32 v36, v29
	v_cvt_f32_f16_sdwa v37, v29 dst_sel:DWORD dst_unused:UNUSED_PAD src0_sel:WORD_1
	;; [unrolled: 9-line block ×4, first 2 shown]
	v_pk_mul_f32 v[20:21], v[50:51], v[50:51]
	v_pk_mul_f32 v[54:55], v[48:49], v[48:49]
	v_add_f32_e32 v20, v20, v21
	v_add_f32_e32 v20, v54, v20
	v_pk_mul_f32 v[56:57], v[46:47], v[46:47]
	v_add_f32_e32 v54, v55, v20
	v_add_f32_e32 v54, v56, v54
	;; [unrolled: 3-line block ×15, first 2 shown]
	v_add_f32_e32 v20, v57, v20
	s_nop 1
	v_mov_b32_dpp v21, v20 quad_perm:[1,0,3,2] row_mask:0xf bank_mask:0xf
	v_add_f32_e32 v20, v20, v21
	s_nop 1
	v_mov_b32_dpp v21, v20 quad_perm:[2,3,0,1] row_mask:0xf bank_mask:0xf
	v_add_f32_e32 v20, v20, v21
	s_nop 1
	v_mov_b32_dpp v21, v20 row_half_mirror row_mask:0xf bank_mask:0xf
	v_add_f32_e32 v20, v20, v21
	s_nop 1
	v_mov_b32_dpp v21, v20 row_mirror row_mask:0xf bank_mask:0xf
	v_add_f32_e32 v20, v20, v21
	s_nop 1
	v_mov_b32_dpp v21, v20 row_bcast:15 row_mask:0xf bank_mask:0xf
	v_add_f32_e32 v20, v20, v21
	s_nop 1
	v_mov_b32_dpp v21, v20 row_bcast:31 row_mask:0xf bank_mask:0xf
	s_and_saveexec_b64 s[10:11], s[0:1]
	s_cbranch_execz .LBB109_3
; %bb.2:
	v_lshrrev_b32_e32 v52, 4, v0
	v_and_b32_e32 v52, 60, v52
	v_add_f32_e32 v20, v20, v21
	ds_write_b32 v52, v20 offset:16
.LBB109_3:
	s_or_b64 exec, exec, s[10:11]
	v_and_b32_e32 v20, 3, v0
	v_lshlrev_b32_e32 v52, 2, v20
	s_waitcnt lgkmcnt(0)
	s_barrier
	ds_read_b32 v20, v52 offset:16
	v_cvt_f32_i32_e32 v21, s9
	s_waitcnt lgkmcnt(0)
	v_mov_b32_dpp v54, v20 quad_perm:[1,0,3,2] row_mask:0xf bank_mask:0xf
	v_add_f32_e32 v20, v20, v54
	s_nop 1
	v_mov_b32_dpp v54, v20 quad_perm:[2,3,0,1] row_mask:0xf bank_mask:0xf
	v_add_f32_e32 v20, v20, v54
	v_div_scale_f32 v54, s[10:11], v21, v21, v20
	v_rcp_f32_e32 v55, v54
	v_div_scale_f32 v56, vcc, v20, v21, v20
	s_load_dwordx2 s[10:11], s[4:5], 0x4c
	s_load_dword s14, s[4:5], 0x54
	v_fma_f32 v57, -v54, v55, 1.0
	v_fmac_f32_e32 v55, v57, v55
	v_mul_f32_e32 v57, v56, v55
	v_fma_f32 v58, -v54, v57, v56
	v_fmac_f32_e32 v57, v58, v55
	v_fma_f32 v54, -v54, v57, v56
	v_div_fmas_f32 v54, v54, v55, v57
	v_div_fixup_f32 v20, v54, v21, v20
	v_cvt_f64_f32_e32 v[20:21], v20
	v_add_f64 v[20:21], v[20:21], s[2:3]
	v_cvt_f32_f64_e32 v20, v[20:21]
	s_mov_b32 s2, 0x800000
	v_mul_f32_e32 v21, 0x4b800000, v20
	v_cmp_gt_f32_e32 vcc, s2, v20
	v_cndmask_b32_e32 v20, v20, v21, vcc
	v_rsq_f32_e32 v20, v20
	s_waitcnt lgkmcnt(0)
	s_cmp_lg_u32 s11, 0
	v_mul_f32_e32 v21, 0x45800000, v20
	v_cndmask_b32_e32 v20, v20, v21, vcc
	v_mov_b32_e32 v21, v20
	;;#ASMSTART
	v_pk_mul_f32 v[50:51], v[50:51], v[20:21]
	;;#ASMEND
	;;#ASMSTART
	v_pk_mul_f32 v[48:49], v[48:49], v[20:21]
	;;#ASMEND
	;; [unrolled: 3-line block ×16, first 2 shown]
	s_waitcnt vmcnt(3)
	v_cvt_f32_f16_sdwa v19, v14 dst_sel:DWORD dst_unused:UNUSED_PAD src0_sel:WORD_1
	v_cvt_f32_f16_e32 v18, v14
	v_cvt_f32_f16_sdwa v21, v15 dst_sel:DWORD dst_unused:UNUSED_PAD src0_sel:WORD_1
	v_cvt_f32_f16_e32 v20, v15
	;; [unrolled: 2-line block ×4, first 2 shown]
	;;#ASMSTART
	v_pk_mul_f32 v[32:33], v[50:51], v[18:19]
	;;#ASMEND
	;;#ASMSTART
	v_pk_mul_f32 v[30:31], v[48:49], v[20:21]
	;;#ASMEND
	;;#ASMSTART
	v_pk_mul_f32 v[26:27], v[46:47], v[14:15]
	;;#ASMEND
	s_waitcnt vmcnt(2)
	v_cvt_f32_f16_sdwa v15, v10 dst_sel:DWORD dst_unused:UNUSED_PAD src0_sel:WORD_1
	v_cvt_f32_f16_e32 v14, v10
	v_cvt_f32_f16_sdwa v17, v11 dst_sel:DWORD dst_unused:UNUSED_PAD src0_sel:WORD_1
	v_cvt_f32_f16_e32 v16, v11
	;; [unrolled: 2-line block ×3, first 2 shown]
	;;#ASMSTART
	v_pk_mul_f32 v[24:25], v[44:45], v[22:23]
	;;#ASMEND
	v_cvt_f32_f16_sdwa v19, v13 dst_sel:DWORD dst_unused:UNUSED_PAD src0_sel:WORD_1
	v_cvt_f32_f16_e32 v18, v13
	;;#ASMSTART
	v_pk_mul_f32 v[28:29], v[42:43], v[14:15]
	;;#ASMEND
	;;#ASMSTART
	v_pk_mul_f32 v[22:23], v[40:41], v[16:17]
	;;#ASMEND
	;; [unrolled: 3-line block ×4, first 2 shown]
	s_waitcnt vmcnt(1)
	v_cvt_f32_f16_sdwa v11, v6 dst_sel:DWORD dst_unused:UNUSED_PAD src0_sel:WORD_1
	v_cvt_f32_f16_e32 v10, v6
	v_cvt_f32_f16_sdwa v13, v7 dst_sel:DWORD dst_unused:UNUSED_PAD src0_sel:WORD_1
	v_cvt_f32_f16_e32 v12, v7
	;; [unrolled: 2-line block ×3, first 2 shown]
	v_cvt_f32_f16_e32 v36, v9
	v_cvt_f32_f16_sdwa v37, v9 dst_sel:DWORD dst_unused:UNUSED_PAD src0_sel:WORD_1
	;;#ASMSTART
	v_pk_mul_f32 v[18:19], v[34:35], v[10:11]
	;;#ASMEND
	;;#ASMSTART
	v_pk_mul_f32 v[14:15], v[54:55], v[12:13]
	;;#ASMEND
	;; [unrolled: 3-line block ×4, first 2 shown]
	s_waitcnt vmcnt(0)
	v_cvt_f32_f16_sdwa v7, v2 dst_sel:DWORD dst_unused:UNUSED_PAD src0_sel:WORD_1
	v_cvt_f32_f16_e32 v6, v2
	v_cvt_f32_f16_sdwa v35, v3 dst_sel:DWORD dst_unused:UNUSED_PAD src0_sel:WORD_1
	v_cvt_f32_f16_e32 v34, v3
	;; [unrolled: 2-line block ×3, first 2 shown]
	v_cvt_f32_f16_e32 v36, v5
	v_cvt_f32_f16_sdwa v37, v5 dst_sel:DWORD dst_unused:UNUSED_PAD src0_sel:WORD_1
	;;#ASMSTART
	v_pk_mul_f32 v[10:11], v[60:61], v[6:7]
	;;#ASMEND
	;;#ASMSTART
	v_pk_mul_f32 v[6:7], v[62:63], v[34:35]
	;;#ASMEND
	;; [unrolled: 3-line block ×4, first 2 shown]
	v_and_b32_e32 v34, 0x7fffffff, v32
	v_mov_b32_e32 v36, 0x2edbe6ff
	v_and_b32_e32 v35, 0x7fffffff, v33
	;;#ASMSTART
	v_max3_f32 v34, v36, v34, v35

	;;#ASMEND
	v_and_b32_e32 v36, 0x7fffffff, v31
	v_and_b32_e32 v35, 0x7fffffff, v30
	;;#ASMSTART
	v_max3_f32 v34, v34, v35, v36

	;;#ASMEND
	v_and_b32_e32 v36, 0x7fffffff, v27
	;; [unrolled: 6-line block ×15, first 2 shown]
	v_and_b32_e32 v35, 0x7fffffff, v2
	;;#ASMSTART
	v_max3_f32 v36, v34, v35, v36

	;;#ASMEND
	s_cbranch_scc0 .LBB109_10
; %bb.4:
	s_ashr_i32 s15, s11, 31
	s_lshr_b32 s2, s15, 27
	s_add_i32 s2, s11, s2
	s_ashr_i32 s18, s2, 5
	s_cmp_lt_i32 s18, 16
	s_cbranch_scc1 .LBB109_11
; %bb.5:
	s_cmp_lt_i32 s18, 32
	s_cbranch_scc1 .LBB109_12
; %bb.6:
	s_cmp_lt_i32 s18, 64
	s_cbranch_scc1 .LBB109_13
; %bb.7:
	s_cmp_eq_u32 s18, 64
	v_mov_b32_e32 v34, v36
	s_cbranch_scc0 .LBB109_9
; %bb.8:
	s_nop 0
	v_mov_b32_dpp v34, v36 quad_perm:[1,0,3,2] row_mask:0xf bank_mask:0xf
	v_cmp_gt_f32_e32 vcc, v36, v34
	v_cndmask_b32_e32 v34, v34, v36, vcc
	v_bfrev_b32_e32 v37, 0.5
	s_nop 0
	v_mov_b32_dpp v35, v34 quad_perm:[2,3,0,1] row_mask:0xf bank_mask:0xf
	v_cmp_gt_f32_e32 vcc, v34, v35
	v_cndmask_b32_e32 v34, v35, v34, vcc
	s_nop 1
	v_mov_b32_dpp v35, v34 row_ror:4 row_mask:0xf bank_mask:0xf
	v_cmp_gt_f32_e32 vcc, v34, v35
	v_cndmask_b32_e32 v34, v35, v34, vcc
	s_nop 1
	v_mov_b32_dpp v35, v34 row_ror:8 row_mask:0xf bank_mask:0xf
	v_cmp_gt_f32_e32 vcc, v34, v35
	v_cndmask_b32_e32 v34, v35, v34, vcc
	s_nop 1
	v_mov_b32_dpp v35, v34 row_bcast:15 row_mask:0xf bank_mask:0xf
	v_cmp_gt_f32_e32 vcc, v34, v35
	v_cndmask_b32_e32 v34, v35, v34, vcc
	s_nop 1
	v_mov_b32_dpp v35, v34 row_bcast:31 row_mask:0xf bank_mask:0xf
	v_cmp_gt_f32_e32 vcc, v34, v35
	v_cndmask_b32_e32 v34, v35, v34, vcc
	v_mbcnt_lo_u32_b32 v35, -1, 0
	v_mbcnt_hi_u32_b32 v35, -1, v35
	v_lshl_or_b32 v35, v35, 2, v37
	ds_bpermute_b32 v34, v35, v34
.LBB109_9:
	s_mov_b64 s[2:3], 0
	s_branch .LBB109_14
.LBB109_10:
	s_mov_b64 s[2:3], 0
                                        ; implicit-def: $vgpr37
                                        ; implicit-def: $vgpr34_vgpr35
	s_cbranch_execnz .LBB109_43
	s_branch .LBB109_46
.LBB109_11:
                                        ; implicit-def: $vgpr34
	s_branch .LBB109_21
.LBB109_12:
                                        ; implicit-def: $vgpr34
	s_branch .LBB109_18
.LBB109_13:
	s_mov_b64 s[2:3], -1
                                        ; implicit-def: $vgpr34
.LBB109_14:
	s_andn2_b64 vcc, exec, s[2:3]
	s_cbranch_vccnz .LBB109_17
; %bb.15:
	s_cmp_eq_u32 s18, 32
	s_waitcnt lgkmcnt(0)
	v_mov_b32_e32 v34, v36
	s_cbranch_scc0 .LBB109_17
; %bb.16:
	s_nop 0
	v_mov_b32_dpp v34, v36 quad_perm:[1,0,3,2] row_mask:0xf bank_mask:0xf
	v_cmp_gt_f32_e32 vcc, v36, v34
	v_cndmask_b32_e32 v34, v34, v36, vcc
	v_mov_b32_e32 v37, 0x7c
	s_nop 0
	v_mov_b32_dpp v35, v34 quad_perm:[2,3,0,1] row_mask:0xf bank_mask:0xf
	v_cmp_gt_f32_e32 vcc, v34, v35
	v_cndmask_b32_e32 v34, v35, v34, vcc
	s_nop 1
	v_mov_b32_dpp v35, v34 row_half_mirror row_mask:0xf bank_mask:0xf
	v_cmp_gt_f32_e32 vcc, v34, v35
	v_cndmask_b32_e32 v34, v35, v34, vcc
	s_nop 1
	v_mov_b32_dpp v35, v34 row_mirror row_mask:0xf bank_mask:0xf
	v_cmp_gt_f32_e32 vcc, v34, v35
	v_cndmask_b32_e32 v34, v35, v34, vcc
	s_nop 1
	v_mov_b32_dpp v35, v34 row_bcast:15 row_mask:0xa bank_mask:0xf
	v_cmp_gt_f32_e32 vcc, v34, v35
	v_cndmask_b32_e32 v34, v35, v34, vcc
	v_mbcnt_lo_u32_b32 v35, -1, 0
	v_mbcnt_hi_u32_b32 v35, -1, v35
	v_lshl_or_b32 v35, v35, 2, v37
	ds_bpermute_b32 v34, v35, v34
.LBB109_17:
	s_cbranch_execnz .LBB109_20
.LBB109_18:
	s_cmp_eq_u32 s18, 16
	s_waitcnt lgkmcnt(0)
	v_mov_b32_e32 v34, v36
	s_cbranch_scc0 .LBB109_20
; %bb.19:
	s_nop 0
	v_mov_b32_dpp v34, v36 quad_perm:[1,0,3,2] row_mask:0xf bank_mask:0xf
	v_cmp_gt_f32_e32 vcc, v36, v34
	v_cndmask_b32_e32 v34, v34, v36, vcc
	s_nop 1
	v_mov_b32_dpp v35, v34 quad_perm:[2,3,0,1] row_mask:0xf bank_mask:0xf
	v_cmp_gt_f32_e32 vcc, v34, v35
	v_cndmask_b32_e32 v34, v35, v34, vcc
	s_nop 1
	v_mov_b32_dpp v35, v34 row_half_mirror row_mask:0xf bank_mask:0xf
	v_cmp_gt_f32_e32 vcc, v34, v35
	v_cndmask_b32_e32 v34, v35, v34, vcc
	s_nop 1
	v_mov_b32_dpp v35, v34 row_mirror row_mask:0xf bank_mask:0xf
	v_cmp_gt_f32_e32 vcc, v34, v35
	v_cndmask_b32_e32 v34, v35, v34, vcc
.LBB109_20:
	s_cbranch_execnz .LBB109_33
.LBB109_21:
	s_cmp_lt_i32 s18, 4
	s_cbranch_scc1 .LBB109_25
; %bb.22:
	s_cmp_lt_i32 s18, 8
	s_cbranch_scc1 .LBB109_26
; %bb.23:
	s_cmp_eq_u32 s18, 8
	s_waitcnt lgkmcnt(0)
	v_mov_b32_e32 v34, v36
	s_cbranch_scc0 .LBB109_27
; %bb.24:
	s_nop 0
	v_mov_b32_dpp v34, v36 quad_perm:[1,0,3,2] row_mask:0xf bank_mask:0xf
	v_cmp_gt_f32_e32 vcc, v36, v34
	v_cndmask_b32_e32 v34, v34, v36, vcc
	s_nop 1
	v_mov_b32_dpp v35, v34 quad_perm:[2,3,0,1] row_mask:0xf bank_mask:0xf
	v_cmp_gt_f32_e32 vcc, v34, v35
	v_cndmask_b32_e32 v34, v35, v34, vcc
	s_nop 1
	v_mov_b32_dpp v35, v34 row_half_mirror row_mask:0xf bank_mask:0xf
	v_cmp_gt_f32_e32 vcc, v34, v35
	v_cndmask_b32_e32 v34, v35, v34, vcc
	s_cbranch_execz .LBB109_28
	s_branch .LBB109_30
.LBB109_25:
                                        ; implicit-def: $vgpr34
	s_branch .LBB109_31
.LBB109_26:
                                        ; implicit-def: $vgpr34
	s_branch .LBB109_28
.LBB109_27:
	s_cbranch_execnz .LBB109_30
.LBB109_28:
	s_cmp_eq_u32 s18, 4
	s_waitcnt lgkmcnt(0)
	v_mov_b32_e32 v34, v36
	s_cbranch_scc0 .LBB109_30
; %bb.29:
	s_nop 0
	v_mov_b32_dpp v34, v36 quad_perm:[1,0,3,2] row_mask:0xf bank_mask:0xf
	v_cmp_gt_f32_e32 vcc, v36, v34
	v_cndmask_b32_e32 v34, v34, v36, vcc
	s_nop 1
	v_mov_b32_dpp v35, v34 quad_perm:[2,3,0,1] row_mask:0xf bank_mask:0xf
	v_cmp_gt_f32_e32 vcc, v34, v35
	v_cndmask_b32_e32 v34, v35, v34, vcc
.LBB109_30:
	s_cbranch_execnz .LBB109_33
.LBB109_31:
	s_cmp_lg_u32 s18, 2
	s_waitcnt lgkmcnt(0)
	v_mov_b32_e32 v34, v36
	s_cbranch_scc1 .LBB109_33
; %bb.32:
	s_nop 0
	v_mov_b32_dpp v34, v36 quad_perm:[1,0,3,2] row_mask:0xf bank_mask:0xf
	v_cmp_gt_f32_e32 vcc, v36, v34
	v_cndmask_b32_e32 v34, v34, v36, vcc
.LBB109_33:
	v_cvt_f32_u32_e32 v35, s18
	s_waitcnt lgkmcnt(0)
	v_mul_f32_e32 v37, 0x3c010204, v34
	s_sub_i32 s2, 0, s18
	v_cmp_gt_u32_e32 vcc, s9, v53
	v_rcp_iflag_f32_e32 v35, v35
	s_mov_b64 s[16:17], 0
	v_mul_f32_e32 v34, 0x4f7ffffe, v35
	v_cvt_u32_f32_e32 v34, v34
	v_mul_lo_u32 v35, s2, v34
	v_mul_hi_u32 v35, v34, v35
	v_add_u32_e32 v34, v34, v35
	v_mul_hi_u32 v34, v0, v34
	v_mul_lo_u32 v35, v34, s18
	v_sub_u32_e32 v35, v0, v35
	v_add_u32_e32 v38, 1, v34
	v_cmp_le_u32_e64 s[2:3], s18, v35
	v_cndmask_b32_e64 v34, v34, v38, s[2:3]
	v_subrev_u32_e32 v38, s18, v35
	v_cndmask_b32_e64 v35, v35, v38, s[2:3]
	v_add_u32_e32 v38, 1, v34
	v_cmp_le_u32_e64 s[2:3], s18, v35
	v_cndmask_b32_e64 v38, v34, v38, s[2:3]
	v_mul_lo_u32 v34, v38, s18
	v_sub_u32_e32 v34, v0, v34
	v_cmp_eq_u32_e64 s[2:3], 0, v34
	s_and_b64 s[18:19], s[2:3], vcc
	s_mov_b64 s[2:3], 0
                                        ; implicit-def: $vgpr34_vgpr35
	s_and_saveexec_b64 s[20:21], s[18:19]
	s_xor_b64 s[18:19], exec, s[20:21]
	s_cbranch_execz .LBB109_42
; %bb.34:
	s_bitcmp0_b32 s14, 0
	s_cbranch_scc0 .LBB109_39
; %bb.35:
	s_ashr_i32 s2, s9, 31
	s_mul_hi_u32 s3, s9, s6
	s_mul_i32 s2, s2, s6
	s_add_i32 s21, s3, s2
	s_mul_i32 s20, s9, s6
	s_mov_b32 s14, s11
	s_or_b64 s[2:3], s[20:21], s[14:15]
	s_mov_b32 s2, 0
	s_cmp_lg_u64 s[2:3], 0
	s_cbranch_scc0 .LBB109_50
; %bb.36:
	s_add_u32 s2, s14, s15
	s_mov_b32 s24, s15
	s_mov_b32 s25, s15
	s_addc_u32 s3, s15, s15
	s_xor_b64 s[26:27], s[2:3], s[24:25]
	v_cvt_f32_u32_e32 v34, s26
	v_cvt_f32_u32_e32 v35, s27
	s_sub_u32 s2, 0, s26
	s_subb_u32 s3, 0, s27
	v_madmk_f32 v34, v35, 0x4f800000, v34
	v_rcp_f32_e32 v34, v34
	v_mul_f32_e32 v34, 0x5f7ffffc, v34
	v_mul_f32_e32 v35, 0x2f800000, v34
	v_trunc_f32_e32 v35, v35
	v_madmk_f32 v34, v35, 0xcf800000, v34
	v_cvt_u32_f32_e32 v35, v35
	v_cvt_u32_f32_e32 v34, v34
	v_readfirstlane_b32 s11, v35
	v_readfirstlane_b32 s15, v34
	s_mul_i32 s28, s2, s11
	s_mul_hi_u32 s30, s2, s15
	s_mul_i32 s29, s3, s15
	s_add_i32 s28, s30, s28
	s_add_i32 s28, s28, s29
	s_mul_i32 s31, s2, s15
	s_mul_hi_u32 s29, s15, s28
	s_mul_i32 s30, s15, s28
	s_mul_hi_u32 s15, s15, s31
	s_add_u32 s15, s15, s30
	s_addc_u32 s29, 0, s29
	s_mul_hi_u32 s33, s11, s31
	s_mul_i32 s31, s11, s31
	s_add_u32 s15, s15, s31
	s_mul_hi_u32 s30, s11, s28
	s_addc_u32 s15, s29, s33
	s_addc_u32 s29, s30, 0
	s_mul_i32 s28, s11, s28
	s_add_u32 s15, s15, s28
	s_addc_u32 s28, 0, s29
	v_add_co_u32_e32 v34, vcc, s15, v34
	s_cmp_lg_u64 vcc, 0
	s_addc_u32 s11, s11, s28
	v_readfirstlane_b32 s28, v34
	s_mul_i32 s15, s2, s11
	s_mul_hi_u32 s29, s2, s28
	s_add_i32 s15, s29, s15
	s_mul_i32 s3, s3, s28
	s_add_i32 s15, s15, s3
	s_mul_i32 s2, s2, s28
	s_mul_hi_u32 s29, s11, s2
	s_mul_i32 s30, s11, s2
	s_mul_i32 s33, s28, s15
	s_mul_hi_u32 s2, s28, s2
	s_mul_hi_u32 s31, s28, s15
	s_add_u32 s2, s2, s33
	s_addc_u32 s28, 0, s31
	s_add_u32 s2, s2, s30
	s_mul_hi_u32 s3, s11, s15
	s_addc_u32 s2, s28, s29
	s_addc_u32 s3, s3, 0
	s_mul_i32 s15, s11, s15
	s_add_u32 s2, s2, s15
	s_addc_u32 s3, 0, s3
	v_add_co_u32_e32 v34, vcc, s2, v34
	s_cmp_lg_u64 vcc, 0
	s_addc_u32 s11, s11, s3
	s_ashr_i32 s28, s21, 31
	s_add_u32 s2, s20, s28
	s_mov_b32 s29, s28
	s_addc_u32 s3, s21, s28
	s_xor_b64 s[30:31], s[2:3], s[28:29]
	v_readfirstlane_b32 s15, v34
	s_mul_i32 s3, s30, s11
	s_mul_hi_u32 s21, s30, s15
	s_mul_hi_u32 s2, s30, s11
	s_add_u32 s3, s21, s3
	s_addc_u32 s2, 0, s2
	s_mul_hi_u32 s33, s31, s15
	s_mul_i32 s15, s31, s15
	s_add_u32 s3, s3, s15
	s_mul_hi_u32 s21, s31, s11
	s_addc_u32 s2, s2, s33
	s_addc_u32 s3, s21, 0
	s_mul_i32 s11, s31, s11
	s_add_u32 s11, s2, s11
	s_addc_u32 s15, 0, s3
	s_mul_i32 s2, s26, s15
	s_mul_hi_u32 s3, s26, s11
	s_add_i32 s2, s3, s2
	s_mul_i32 s3, s27, s11
	s_add_i32 s21, s2, s3
	s_mul_i32 s3, s26, s11
	v_mov_b32_e32 v34, s3
	s_sub_i32 s2, s31, s21
	v_sub_co_u32_e32 v34, vcc, s30, v34
	s_cmp_lg_u64 vcc, 0
	s_subb_u32 s30, s2, s27
	v_subrev_co_u32_e64 v35, s[2:3], s26, v34
	s_cmp_lg_u64 s[2:3], 0
	s_subb_u32 s30, s30, 0
	s_cmp_ge_u32 s30, s27
	s_cselect_b32 s33, -1, 0
	v_cmp_le_u32_e64 s[2:3], s26, v35
	s_cmp_eq_u32 s30, s27
	v_cndmask_b32_e64 v35, 0, -1, s[2:3]
	v_mov_b32_e32 v39, s33
	s_cselect_b64 s[2:3], -1, 0
	v_cndmask_b32_e64 v35, v39, v35, s[2:3]
	s_add_u32 s2, s11, 1
	s_addc_u32 s30, s15, 0
	s_add_u32 s3, s11, 2
	s_addc_u32 s33, s15, 0
	v_mov_b32_e32 v39, s2
	v_mov_b32_e32 v40, s3
	v_cmp_ne_u32_e64 s[2:3], 0, v35
	v_cndmask_b32_e64 v35, v39, v40, s[2:3]
	v_mov_b32_e32 v39, s30
	v_mov_b32_e32 v40, s33
	s_cmp_lg_u64 vcc, 0
	v_cndmask_b32_e64 v39, v39, v40, s[2:3]
	s_subb_u32 s2, s31, s21
	s_cmp_ge_u32 s2, s27
	s_cselect_b32 s3, -1, 0
	v_cmp_le_u32_e32 vcc, s26, v34
	s_cmp_eq_u32 s2, s27
	v_cndmask_b32_e64 v34, 0, -1, vcc
	v_mov_b32_e32 v40, s3
	s_cselect_b64 vcc, -1, 0
	v_cndmask_b32_e32 v34, v40, v34, vcc
	v_mov_b32_e32 v40, s15
	v_cmp_ne_u32_e32 vcc, 0, v34
	v_cndmask_b32_e32 v34, v40, v39, vcc
	v_mov_b32_e32 v39, s11
	v_cndmask_b32_e32 v35, v39, v35, vcc
	s_xor_b64 s[2:3], s[28:29], s[24:25]
	v_xor_b32_e32 v35, s2, v35
	v_xor_b32_e32 v39, s3, v34
	v_mov_b32_e32 v40, s3
	v_subrev_co_u32_e32 v34, vcc, s2, v35
	v_subb_co_u32_e32 v35, vcc, v39, v40, vcc
	s_cbranch_execnz .LBB109_38
.LBB109_37:
	v_cvt_f32_u32_e32 v34, s14
	s_sub_i32 s2, 0, s14
	s_mov_b32 s3, 0
	v_rcp_iflag_f32_e32 v34, v34
	v_mul_f32_e32 v34, 0x4f7ffffe, v34
	v_cvt_u32_f32_e32 v34, v34
	v_readfirstlane_b32 s11, v34
	s_mul_i32 s2, s2, s11
	s_mul_hi_u32 s2, s11, s2
	s_add_i32 s11, s11, s2
	s_mul_hi_u32 s2, s20, s11
	s_mul_i32 s15, s2, s14
	s_sub_i32 s15, s20, s15
	s_add_i32 s11, s2, 1
	s_sub_i32 s20, s15, s14
	s_cmp_ge_u32 s15, s14
	s_cselect_b32 s2, s11, s2
	s_cselect_b32 s15, s20, s15
	s_add_i32 s11, s2, 1
	s_cmp_ge_u32 s15, s14
	s_cselect_b32 s2, s11, s2
	v_pk_mov_b32 v[34:35], s[2:3], s[2:3] op_sel:[0,1]
.LBB109_38:
	v_add_co_u32_e32 v34, vcc, v34, v38
	v_addc_co_u32_e32 v35, vcc, 0, v35, vcc
	s_branch .LBB109_41
.LBB109_39:
                                        ; implicit-def: $vgpr34_vgpr35
	s_cbranch_execz .LBB109_41
; %bb.40:
	v_mul_lo_u32 v34, v38, s8
	v_ashrrev_i32_e32 v35, 31, v34
	v_mov_b32_e32 v38, s7
	v_add_co_u32_e32 v34, vcc, s6, v34
	v_addc_co_u32_e32 v35, vcc, v35, v38, vcc
.LBB109_41:
	s_mov_b64 s[2:3], exec
.LBB109_42:
	s_or_b64 exec, exec, s[18:19]
	s_and_b64 vcc, exec, s[16:17]
	s_cbranch_vccz .LBB109_46
.LBB109_43:
	v_mov_b32_dpp v34, v36 quad_perm:[1,0,3,2] row_mask:0xf bank_mask:0xf
	v_cmp_gt_f32_e32 vcc, v36, v34
	v_cndmask_b32_e32 v34, v34, v36, vcc
	s_nop 1
	v_mov_b32_dpp v35, v34 quad_perm:[2,3,0,1] row_mask:0xf bank_mask:0xf
	v_cmp_gt_f32_e32 vcc, v34, v35
	v_cndmask_b32_e32 v34, v35, v34, vcc
	s_nop 1
	v_mov_b32_dpp v35, v34 row_half_mirror row_mask:0xf bank_mask:0xf
	v_cmp_gt_f32_e32 vcc, v34, v35
	v_cndmask_b32_e32 v34, v35, v34, vcc
	s_nop 1
	v_mov_b32_dpp v35, v34 row_mirror row_mask:0xf bank_mask:0xf
	v_cmp_gt_f32_e32 vcc, v34, v35
	v_cndmask_b32_e32 v34, v35, v34, vcc
	s_nop 1
	v_mov_b32_dpp v35, v34 row_bcast:15 row_mask:0xf bank_mask:0xf
	v_cmp_gt_f32_e32 vcc, v34, v35
	v_cndmask_b32_e32 v34, v35, v34, vcc
	s_nop 1
	v_mov_b32_dpp v35, v34 row_bcast:31 row_mask:0xf bank_mask:0xf
	s_and_saveexec_b64 s[2:3], s[0:1]
	s_cbranch_execz .LBB109_45
; %bb.44:
	v_lshrrev_b32_e32 v36, 4, v0
	v_cmp_gt_f32_e32 vcc, v34, v35
	v_and_b32_e32 v36, 60, v36
	v_cndmask_b32_e32 v34, v35, v34, vcc
	ds_write_b32 v36, v34
.LBB109_45:
	s_or_b64 exec, exec, s[2:3]
	s_waitcnt lgkmcnt(0)
	s_barrier
	ds_read_b32 v34, v52
	v_cmp_eq_u32_e64 s[2:3], 0, v0
	s_waitcnt lgkmcnt(0)
	v_mov_b32_dpp v35, v34 quad_perm:[1,0,3,2] row_mask:0xf bank_mask:0xf
	v_cmp_gt_f32_e32 vcc, v34, v35
	v_cndmask_b32_e32 v34, v35, v34, vcc
	s_nop 1
	v_mov_b32_dpp v35, v34 quad_perm:[2,3,0,1] row_mask:0xf bank_mask:0xf
	v_cmp_gt_f32_e32 vcc, v34, v35
	v_cndmask_b32_e32 v34, v35, v34, vcc
	v_mul_f32_e32 v37, 0x3c010204, v34
	v_pk_mov_b32 v[34:35], s[6:7], s[6:7] op_sel:[0,1]
.LBB109_46:
	s_and_saveexec_b64 s[0:1], s[2:3]
	s_cbranch_execz .LBB109_48
; %bb.47:
	v_lshlrev_b64 v[34:35], 2, v[34:35]
	v_mov_b32_e32 v0, s13
	v_add_co_u32_e32 v34, vcc, s12, v34
	v_addc_co_u32_e32 v35, vcc, v0, v35, vcc
	global_store_dword v[34:35], v37, off
.LBB109_48:
	s_or_b64 exec, exec, s[0:1]
	s_add_i32 s2, s9, 3
	s_load_dwordx2 s[0:1], s[4:5], 0x0
	s_ashr_i32 s3, s2, 31
	;;#ASMSTART
	v_rcp_f32 v34, v37
	;;#ASMEND
	v_mov_b32_e32 v35, v34
	;;#ASMSTART
	v_pk_mul_f32 v[32:33], v[32:33], v[34:35]
	;;#ASMEND
	;;#ASMSTART
	v_pk_mul_f32 v[30:31], v[30:31], v[34:35]
	;;#ASMEND
	s_lshr_b32 s3, s3, 30
	v_cvt_i32_f32_e32 v0, v32
	v_cvt_i32_f32_sdwa v32, v33 dst_sel:BYTE_1 dst_unused:UNUSED_PAD src0_sel:DWORD
	v_cvt_i32_f32_e32 v30, v30
	v_cvt_i32_f32_sdwa v31, v31 dst_sel:BYTE_1 dst_unused:UNUSED_PAD src0_sel:DWORD
	;;#ASMSTART
	v_pk_mul_f32 v[26:27], v[26:27], v[34:35]
	;;#ASMEND
	;;#ASMSTART
	v_pk_mul_f32 v[24:25], v[24:25], v[34:35]
	;;#ASMEND
	s_add_i32 s2, s2, s3
	s_ashr_i32 s3, s10, 31
	v_cvt_i32_f32_e32 v26, v26
	v_cvt_i32_f32_sdwa v27, v27 dst_sel:BYTE_1 dst_unused:UNUSED_PAD src0_sel:DWORD
	v_cvt_i32_f32_e32 v33, v24
	v_cvt_i32_f32_sdwa v25, v25 dst_sel:BYTE_1 dst_unused:UNUSED_PAD src0_sel:DWORD
	s_mul_hi_u32 s4, s10, s6
	s_mul_i32 s3, s3, s6
	s_and_b32 s2, s2, -4
	s_add_i32 s4, s4, s3
	s_mul_i32 s3, s10, s6
	s_waitcnt lgkmcnt(0)
	s_add_u32 s0, s0, s3
	v_or_b32_sdwa v0, v0, v32 dst_sel:DWORD dst_unused:UNUSED_PAD src0_sel:BYTE_0 src1_sel:DWORD
	v_or_b32_sdwa v24, v30, v31 dst_sel:WORD_1 dst_unused:UNUSED_PAD src0_sel:BYTE_0 src1_sel:DWORD
	s_addc_u32 s1, s1, s4
	v_or_b32_sdwa v24, v0, v24 dst_sel:DWORD dst_unused:UNUSED_PAD src0_sel:WORD_0 src1_sel:DWORD
	v_or_b32_sdwa v0, v26, v27 dst_sel:DWORD dst_unused:UNUSED_PAD src0_sel:BYTE_0 src1_sel:DWORD
	v_or_b32_sdwa v25, v33, v25 dst_sel:WORD_1 dst_unused:UNUSED_PAD src0_sel:BYTE_0 src1_sel:DWORD
	s_and_b32 s1, s1, 0xffff
	s_mov_b32 s3, 0x20000
	v_or_b32_sdwa v25, v0, v25 dst_sel:DWORD dst_unused:UNUSED_PAD src0_sel:WORD_0 src1_sel:DWORD
	buffer_store_dwordx2 v[24:25], v1, s[0:3], 0 offen
	;;#ASMSTART
	s_nop 0
	;;#ASMEND
	;;#ASMSTART
	v_pk_mul_f32 v[24:25], v[28:29], v[34:35]
	;;#ASMEND
	;;#ASMSTART
	v_pk_mul_f32 v[22:23], v[22:23], v[34:35]
	;;#ASMEND
	v_cvt_i32_f32_e32 v0, v24
	v_cvt_i32_f32_sdwa v24, v25 dst_sel:BYTE_1 dst_unused:UNUSED_PAD src0_sel:DWORD
	v_cvt_i32_f32_e32 v22, v22
	v_cvt_i32_f32_sdwa v23, v23 dst_sel:BYTE_1 dst_unused:UNUSED_PAD src0_sel:DWORD
	;;#ASMSTART
	v_pk_mul_f32 v[20:21], v[20:21], v[34:35]
	;;#ASMEND
	;;#ASMSTART
	v_pk_mul_f32 v[16:17], v[16:17], v[34:35]
	;;#ASMEND
	v_cvt_i32_f32_e32 v20, v20
	v_cvt_i32_f32_sdwa v21, v21 dst_sel:BYTE_1 dst_unused:UNUSED_PAD src0_sel:DWORD
	v_cvt_i32_f32_e32 v25, v16
	v_cvt_i32_f32_sdwa v17, v17 dst_sel:BYTE_1 dst_unused:UNUSED_PAD src0_sel:DWORD
	v_or_b32_sdwa v0, v0, v24 dst_sel:DWORD dst_unused:UNUSED_PAD src0_sel:BYTE_0 src1_sel:DWORD
	v_or_b32_sdwa v16, v22, v23 dst_sel:WORD_1 dst_unused:UNUSED_PAD src0_sel:BYTE_0 src1_sel:DWORD
	v_or_b32_sdwa v16, v0, v16 dst_sel:DWORD dst_unused:UNUSED_PAD src0_sel:WORD_0 src1_sel:DWORD
	v_or_b32_sdwa v0, v20, v21 dst_sel:DWORD dst_unused:UNUSED_PAD src0_sel:BYTE_0 src1_sel:DWORD
	v_or_b32_sdwa v17, v25, v17 dst_sel:WORD_1 dst_unused:UNUSED_PAD src0_sel:BYTE_0 src1_sel:DWORD
	v_or_b32_sdwa v17, v0, v17 dst_sel:DWORD dst_unused:UNUSED_PAD src0_sel:WORD_0 src1_sel:DWORD
	s_movk_i32 s4, 0x200
	buffer_store_dwordx2 v[16:17], v1, s[0:3], s4 offen
	;;#ASMSTART
	s_nop 0
	;;#ASMEND
	;;#ASMSTART
	v_pk_mul_f32 v[16:17], v[18:19], v[34:35]
	;;#ASMEND
	;;#ASMSTART
	v_pk_mul_f32 v[14:15], v[14:15], v[34:35]
	;;#ASMEND
	v_cvt_i32_f32_e32 v0, v16
	v_cvt_i32_f32_sdwa v16, v17 dst_sel:BYTE_1 dst_unused:UNUSED_PAD src0_sel:DWORD
	v_cvt_i32_f32_e32 v14, v14
	v_cvt_i32_f32_sdwa v15, v15 dst_sel:BYTE_1 dst_unused:UNUSED_PAD src0_sel:DWORD
	;;#ASMSTART
	v_pk_mul_f32 v[12:13], v[12:13], v[34:35]
	;;#ASMEND
	;;#ASMSTART
	v_pk_mul_f32 v[8:9], v[8:9], v[34:35]
	;;#ASMEND
	v_cvt_i32_f32_e32 v12, v12
	v_cvt_i32_f32_sdwa v13, v13 dst_sel:BYTE_1 dst_unused:UNUSED_PAD src0_sel:DWORD
	v_cvt_i32_f32_e32 v17, v8
	v_cvt_i32_f32_sdwa v9, v9 dst_sel:BYTE_1 dst_unused:UNUSED_PAD src0_sel:DWORD
	v_or_b32_sdwa v0, v0, v16 dst_sel:DWORD dst_unused:UNUSED_PAD src0_sel:BYTE_0 src1_sel:DWORD
	v_or_b32_sdwa v8, v14, v15 dst_sel:WORD_1 dst_unused:UNUSED_PAD src0_sel:BYTE_0 src1_sel:DWORD
	v_or_b32_sdwa v8, v0, v8 dst_sel:DWORD dst_unused:UNUSED_PAD src0_sel:WORD_0 src1_sel:DWORD
	v_or_b32_sdwa v0, v12, v13 dst_sel:DWORD dst_unused:UNUSED_PAD src0_sel:BYTE_0 src1_sel:DWORD
	v_or_b32_sdwa v9, v17, v9 dst_sel:WORD_1 dst_unused:UNUSED_PAD src0_sel:BYTE_0 src1_sel:DWORD
	v_or_b32_sdwa v9, v0, v9 dst_sel:DWORD dst_unused:UNUSED_PAD src0_sel:WORD_0 src1_sel:DWORD
	s_movk_i32 s4, 0x400
	;; [unrolled: 31-line block ×3, first 2 shown]
	buffer_store_dwordx2 v[2:3], v1, s[0:3], s4 offen
	;;#ASMSTART
	s_nop 0
	;;#ASMEND
.LBB109_49:
	s_endpgm
.LBB109_50:
                                        ; implicit-def: $vgpr34_vgpr35
	s_branch .LBB109_37
	.section	.rodata,"a",@progbits
	.p2align	6, 0x0
	.amdhsa_kernel _ZN5aiter24add_rmsnorm_quant_kernelIDF16_aLi256ELi32ELb0ELb1ELb1ELi1EEEvPT0_PT_PfS4_S4_S4_diiiiiiib
		.amdhsa_group_segment_fixed_size 32
		.amdhsa_private_segment_fixed_size 0
		.amdhsa_kernarg_size 88
		.amdhsa_user_sgpr_count 6
		.amdhsa_user_sgpr_private_segment_buffer 1
		.amdhsa_user_sgpr_dispatch_ptr 0
		.amdhsa_user_sgpr_queue_ptr 0
		.amdhsa_user_sgpr_kernarg_segment_ptr 1
		.amdhsa_user_sgpr_dispatch_id 0
		.amdhsa_user_sgpr_flat_scratch_init 0
		.amdhsa_user_sgpr_kernarg_preload_length 0
		.amdhsa_user_sgpr_kernarg_preload_offset 0
		.amdhsa_user_sgpr_private_segment_size 0
		.amdhsa_uses_dynamic_stack 0
		.amdhsa_system_sgpr_private_segment_wavefront_offset 0
		.amdhsa_system_sgpr_workgroup_id_x 1
		.amdhsa_system_sgpr_workgroup_id_y 0
		.amdhsa_system_sgpr_workgroup_id_z 0
		.amdhsa_system_sgpr_workgroup_info 0
		.amdhsa_system_vgpr_workitem_id 0
		.amdhsa_next_free_vgpr 68
		.amdhsa_next_free_sgpr 34
		.amdhsa_accum_offset 68
		.amdhsa_reserve_vcc 1
		.amdhsa_reserve_flat_scratch 0
		.amdhsa_float_round_mode_32 0
		.amdhsa_float_round_mode_16_64 0
		.amdhsa_float_denorm_mode_32 3
		.amdhsa_float_denorm_mode_16_64 3
		.amdhsa_dx10_clamp 1
		.amdhsa_ieee_mode 1
		.amdhsa_fp16_overflow 0
		.amdhsa_tg_split 0
		.amdhsa_exception_fp_ieee_invalid_op 0
		.amdhsa_exception_fp_denorm_src 0
		.amdhsa_exception_fp_ieee_div_zero 0
		.amdhsa_exception_fp_ieee_overflow 0
		.amdhsa_exception_fp_ieee_underflow 0
		.amdhsa_exception_fp_ieee_inexact 0
		.amdhsa_exception_int_div_zero 0
	.end_amdhsa_kernel
	.section	.text._ZN5aiter24add_rmsnorm_quant_kernelIDF16_aLi256ELi32ELb0ELb1ELb1ELi1EEEvPT0_PT_PfS4_S4_S4_diiiiiiib,"axG",@progbits,_ZN5aiter24add_rmsnorm_quant_kernelIDF16_aLi256ELi32ELb0ELb1ELb1ELi1EEEvPT0_PT_PfS4_S4_S4_diiiiiiib,comdat
.Lfunc_end109:
	.size	_ZN5aiter24add_rmsnorm_quant_kernelIDF16_aLi256ELi32ELb0ELb1ELb1ELi1EEEvPT0_PT_PfS4_S4_S4_diiiiiiib, .Lfunc_end109-_ZN5aiter24add_rmsnorm_quant_kernelIDF16_aLi256ELi32ELb0ELb1ELb1ELi1EEEvPT0_PT_PfS4_S4_S4_diiiiiiib
                                        ; -- End function
	.section	.AMDGPU.csdata,"",@progbits
; Kernel info:
; codeLenInByte = 4576
; NumSgprs: 38
; NumVgprs: 68
; NumAgprs: 0
; TotalNumVgprs: 68
; ScratchSize: 0
; MemoryBound: 0
; FloatMode: 240
; IeeeMode: 1
; LDSByteSize: 32 bytes/workgroup (compile time only)
; SGPRBlocks: 4
; VGPRBlocks: 8
; NumSGPRsForWavesPerEU: 38
; NumVGPRsForWavesPerEU: 68
; AccumOffset: 68
; Occupancy: 7
; WaveLimiterHint : 0
; COMPUTE_PGM_RSRC2:SCRATCH_EN: 0
; COMPUTE_PGM_RSRC2:USER_SGPR: 6
; COMPUTE_PGM_RSRC2:TRAP_HANDLER: 0
; COMPUTE_PGM_RSRC2:TGID_X_EN: 1
; COMPUTE_PGM_RSRC2:TGID_Y_EN: 0
; COMPUTE_PGM_RSRC2:TGID_Z_EN: 0
; COMPUTE_PGM_RSRC2:TIDIG_COMP_CNT: 0
; COMPUTE_PGM_RSRC3_GFX90A:ACCUM_OFFSET: 16
; COMPUTE_PGM_RSRC3_GFX90A:TG_SPLIT: 0
	.section	.text._ZN5aiter24add_rmsnorm_quant_kernelItaLi256ELi32ELb0ELb1ELb1ELi1EEEvPT0_PT_PfS4_S4_S4_diiiiiiib,"axG",@progbits,_ZN5aiter24add_rmsnorm_quant_kernelItaLi256ELi32ELb0ELb1ELb1ELi1EEEvPT0_PT_PfS4_S4_S4_diiiiiiib,comdat
	.protected	_ZN5aiter24add_rmsnorm_quant_kernelItaLi256ELi32ELb0ELb1ELb1ELi1EEEvPT0_PT_PfS4_S4_S4_diiiiiiib ; -- Begin function _ZN5aiter24add_rmsnorm_quant_kernelItaLi256ELi32ELb0ELb1ELb1ELi1EEEvPT0_PT_PfS4_S4_S4_diiiiiiib
	.globl	_ZN5aiter24add_rmsnorm_quant_kernelItaLi256ELi32ELb0ELb1ELb1ELi1EEEvPT0_PT_PfS4_S4_S4_diiiiiiib
	.p2align	8
	.type	_ZN5aiter24add_rmsnorm_quant_kernelItaLi256ELi32ELb0ELb1ELb1ELi1EEEvPT0_PT_PfS4_S4_S4_diiiiiiib,@function
_ZN5aiter24add_rmsnorm_quant_kernelItaLi256ELi32ELb0ELb1ELb1ELi1EEEvPT0_PT_PfS4_S4_S4_diiiiiiib: ; @_ZN5aiter24add_rmsnorm_quant_kernelItaLi256ELi32ELb0ELb1ELb1ELi1EEEvPT0_PT_PfS4_S4_S4_diiiiiiib
; %bb.0:
	s_load_dwordx4 s[8:11], s[4:5], 0x38
	s_mov_b32 s7, 0
	s_waitcnt lgkmcnt(0)
	s_ashr_i32 s0, s8, 31
	v_mov_b32_e32 v2, s8
	v_mov_b32_e32 v3, s0
	v_cmp_ge_i64_e32 vcc, s[6:7], v[2:3]
	s_cbranch_vccnz .LBB110_49
; %bb.1:
	s_load_dwordx4 s[12:15], s[4:5], 0x10
	s_load_dwordx4 s[0:3], s[4:5], 0x28
	s_ashr_i32 s11, s10, 31
	s_mul_hi_u32 s16, s10, s6
	s_mul_i32 s11, s11, s6
	s_add_i32 s11, s16, s11
	s_mul_i32 s10, s10, s6
	s_lshl_b64 s[10:11], s[10:11], 1
	s_waitcnt lgkmcnt(0)
	s_add_u32 s16, s14, s10
	s_addc_u32 s10, s15, s11
	s_add_i32 s11, s9, 1
	s_lshr_b32 s14, s11, 31
	v_lshlrev_b32_e32 v53, 5, v0
	s_add_i32 s11, s11, s14
	s_and_b32 s17, s10, 0xffff
	v_lshlrev_b32_e32 v1, 3, v0
	v_and_b32_e32 v2, 0x7800, v53
	s_movk_i32 s10, 0x1f8
	s_lshl_b32 s11, s11, 1
	v_and_or_b32 v1, v1, s10, v2
	s_and_b32 s18, s11, -4
	s_mov_b32 s19, 0x20000
	v_lshlrev_b32_e32 v34, 1, v1
	buffer_load_dwordx4 v[30:33], v34, s[16:19], 0 offen glc slc
	s_movk_i32 s10, 0x400
	buffer_load_dwordx4 v[26:29], v34, s[16:19], s10 offen glc slc
	s_movk_i32 s11, 0x800
	s_movk_i32 s14, 0xc00
	buffer_load_dwordx4 v[22:25], v34, s[16:19], s11 offen glc slc
	buffer_load_dwordx4 v[18:21], v34, s[16:19], s14 offen glc slc
	s_mov_b32 s16, s0
	s_and_b32 s17, s1, 0xffff
	buffer_load_dwordx4 v[14:17], v34, s[16:19], 0 offen
	buffer_load_dwordx4 v[10:13], v34, s[16:19], s10 offen
	;; [unrolled: 1-line block ×4, first 2 shown]
	v_and_b32_e32 v52, 63, v0
	v_cmp_eq_u32_e64 s[0:1], 63, v52
	s_waitcnt vmcnt(7)
	v_cvt_f32_u32_sdwa v51, v30 dst_sel:DWORD dst_unused:UNUSED_PAD src0_sel:WORD_1
	v_cvt_f32_u32_sdwa v50, v30 dst_sel:DWORD dst_unused:UNUSED_PAD src0_sel:WORD_0
	v_cvt_f32_u32_sdwa v49, v31 dst_sel:DWORD dst_unused:UNUSED_PAD src0_sel:WORD_1
	v_cvt_f32_u32_sdwa v48, v31 dst_sel:DWORD dst_unused:UNUSED_PAD src0_sel:WORD_0
	v_cvt_f32_u32_sdwa v47, v32 dst_sel:DWORD dst_unused:UNUSED_PAD src0_sel:WORD_1
	v_cvt_f32_u32_sdwa v46, v32 dst_sel:DWORD dst_unused:UNUSED_PAD src0_sel:WORD_0
	v_cvt_f32_u32_sdwa v45, v33 dst_sel:DWORD dst_unused:UNUSED_PAD src0_sel:WORD_1
	v_cvt_f32_u32_sdwa v44, v33 dst_sel:DWORD dst_unused:UNUSED_PAD src0_sel:WORD_0
	s_waitcnt vmcnt(6)
	v_cvt_f32_u32_sdwa v43, v26 dst_sel:DWORD dst_unused:UNUSED_PAD src0_sel:WORD_1
	v_cvt_f32_u32_sdwa v42, v26 dst_sel:DWORD dst_unused:UNUSED_PAD src0_sel:WORD_0
	v_cvt_f32_u32_sdwa v41, v27 dst_sel:DWORD dst_unused:UNUSED_PAD src0_sel:WORD_1
	v_cvt_f32_u32_sdwa v40, v27 dst_sel:DWORD dst_unused:UNUSED_PAD src0_sel:WORD_0
	v_cvt_f32_u32_sdwa v39, v28 dst_sel:DWORD dst_unused:UNUSED_PAD src0_sel:WORD_1
	v_cvt_f32_u32_sdwa v38, v28 dst_sel:DWORD dst_unused:UNUSED_PAD src0_sel:WORD_0
	v_cvt_f32_u32_sdwa v37, v29 dst_sel:DWORD dst_unused:UNUSED_PAD src0_sel:WORD_1
	v_cvt_f32_u32_sdwa v36, v29 dst_sel:DWORD dst_unused:UNUSED_PAD src0_sel:WORD_0
	;; [unrolled: 9-line block ×4, first 2 shown]
	v_pk_mul_f32 v[20:21], v[50:51], v[50:51]
	v_pk_mul_f32 v[54:55], v[48:49], v[48:49]
	v_add_f32_e32 v20, v20, v21
	v_add_f32_e32 v20, v54, v20
	v_pk_mul_f32 v[56:57], v[46:47], v[46:47]
	v_add_f32_e32 v54, v55, v20
	v_add_f32_e32 v54, v56, v54
	;; [unrolled: 3-line block ×15, first 2 shown]
	v_add_f32_e32 v20, v57, v20
	s_nop 1
	v_mov_b32_dpp v21, v20 quad_perm:[1,0,3,2] row_mask:0xf bank_mask:0xf
	v_add_f32_e32 v20, v20, v21
	s_nop 1
	v_mov_b32_dpp v21, v20 quad_perm:[2,3,0,1] row_mask:0xf bank_mask:0xf
	v_add_f32_e32 v20, v20, v21
	s_nop 1
	v_mov_b32_dpp v21, v20 row_half_mirror row_mask:0xf bank_mask:0xf
	v_add_f32_e32 v20, v20, v21
	s_nop 1
	v_mov_b32_dpp v21, v20 row_mirror row_mask:0xf bank_mask:0xf
	v_add_f32_e32 v20, v20, v21
	s_nop 1
	v_mov_b32_dpp v21, v20 row_bcast:15 row_mask:0xf bank_mask:0xf
	v_add_f32_e32 v20, v20, v21
	s_nop 1
	v_mov_b32_dpp v21, v20 row_bcast:31 row_mask:0xf bank_mask:0xf
	s_and_saveexec_b64 s[10:11], s[0:1]
	s_cbranch_execz .LBB110_3
; %bb.2:
	v_lshrrev_b32_e32 v52, 4, v0
	v_and_b32_e32 v52, 60, v52
	v_add_f32_e32 v20, v20, v21
	ds_write_b32 v52, v20 offset:16
.LBB110_3:
	s_or_b64 exec, exec, s[10:11]
	v_and_b32_e32 v20, 3, v0
	v_lshlrev_b32_e32 v52, 2, v20
	s_waitcnt lgkmcnt(0)
	s_barrier
	ds_read_b32 v20, v52 offset:16
	v_cvt_f32_i32_e32 v21, s9
	s_waitcnt lgkmcnt(0)
	v_mov_b32_dpp v54, v20 quad_perm:[1,0,3,2] row_mask:0xf bank_mask:0xf
	v_add_f32_e32 v20, v20, v54
	s_nop 1
	v_mov_b32_dpp v54, v20 quad_perm:[2,3,0,1] row_mask:0xf bank_mask:0xf
	v_add_f32_e32 v20, v20, v54
	v_div_scale_f32 v54, s[10:11], v21, v21, v20
	v_rcp_f32_e32 v55, v54
	v_div_scale_f32 v56, vcc, v20, v21, v20
	s_load_dwordx2 s[10:11], s[4:5], 0x4c
	s_load_dword s14, s[4:5], 0x54
	v_fma_f32 v57, -v54, v55, 1.0
	v_fmac_f32_e32 v55, v57, v55
	v_mul_f32_e32 v57, v56, v55
	v_fma_f32 v58, -v54, v57, v56
	v_fmac_f32_e32 v57, v58, v55
	v_fma_f32 v54, -v54, v57, v56
	v_div_fmas_f32 v54, v54, v55, v57
	v_div_fixup_f32 v20, v54, v21, v20
	v_cvt_f64_f32_e32 v[20:21], v20
	v_add_f64 v[20:21], v[20:21], s[2:3]
	v_cvt_f32_f64_e32 v20, v[20:21]
	s_mov_b32 s2, 0x800000
	v_mul_f32_e32 v21, 0x4b800000, v20
	v_cmp_gt_f32_e32 vcc, s2, v20
	v_cndmask_b32_e32 v20, v20, v21, vcc
	v_rsq_f32_e32 v20, v20
	s_waitcnt lgkmcnt(0)
	s_cmp_lg_u32 s11, 0
	v_mul_f32_e32 v21, 0x45800000, v20
	v_cndmask_b32_e32 v20, v20, v21, vcc
	v_mov_b32_e32 v21, v20
	;;#ASMSTART
	v_pk_mul_f32 v[50:51], v[50:51], v[20:21]
	;;#ASMEND
	;;#ASMSTART
	v_pk_mul_f32 v[48:49], v[48:49], v[20:21]
	;;#ASMEND
	;; [unrolled: 3-line block ×16, first 2 shown]
	s_waitcnt vmcnt(3)
	v_cvt_f32_u32_sdwa v19, v14 dst_sel:DWORD dst_unused:UNUSED_PAD src0_sel:WORD_1
	v_cvt_f32_u32_sdwa v18, v14 dst_sel:DWORD dst_unused:UNUSED_PAD src0_sel:WORD_0
	v_cvt_f32_u32_sdwa v21, v15 dst_sel:DWORD dst_unused:UNUSED_PAD src0_sel:WORD_1
	v_cvt_f32_u32_sdwa v20, v15 dst_sel:DWORD dst_unused:UNUSED_PAD src0_sel:WORD_0
	;; [unrolled: 2-line block ×4, first 2 shown]
	;;#ASMSTART
	v_pk_mul_f32 v[32:33], v[50:51], v[18:19]
	;;#ASMEND
	;;#ASMSTART
	v_pk_mul_f32 v[30:31], v[48:49], v[20:21]
	;;#ASMEND
	;; [unrolled: 3-line block ×3, first 2 shown]
	s_waitcnt vmcnt(2)
	v_cvt_f32_u32_sdwa v15, v10 dst_sel:DWORD dst_unused:UNUSED_PAD src0_sel:WORD_1
	v_cvt_f32_u32_sdwa v14, v10 dst_sel:DWORD dst_unused:UNUSED_PAD src0_sel:WORD_0
	v_cvt_f32_u32_sdwa v17, v11 dst_sel:DWORD dst_unused:UNUSED_PAD src0_sel:WORD_1
	v_cvt_f32_u32_sdwa v16, v11 dst_sel:DWORD dst_unused:UNUSED_PAD src0_sel:WORD_0
	;; [unrolled: 2-line block ×3, first 2 shown]
	;;#ASMSTART
	v_pk_mul_f32 v[24:25], v[44:45], v[22:23]
	;;#ASMEND
	v_cvt_f32_u32_sdwa v19, v13 dst_sel:DWORD dst_unused:UNUSED_PAD src0_sel:WORD_1
	v_cvt_f32_u32_sdwa v18, v13 dst_sel:DWORD dst_unused:UNUSED_PAD src0_sel:WORD_0
	;;#ASMSTART
	v_pk_mul_f32 v[28:29], v[42:43], v[14:15]
	;;#ASMEND
	;;#ASMSTART
	v_pk_mul_f32 v[22:23], v[40:41], v[16:17]
	;;#ASMEND
	;; [unrolled: 3-line block ×4, first 2 shown]
	s_waitcnt vmcnt(1)
	v_cvt_f32_u32_sdwa v11, v6 dst_sel:DWORD dst_unused:UNUSED_PAD src0_sel:WORD_1
	v_cvt_f32_u32_sdwa v10, v6 dst_sel:DWORD dst_unused:UNUSED_PAD src0_sel:WORD_0
	v_cvt_f32_u32_sdwa v13, v7 dst_sel:DWORD dst_unused:UNUSED_PAD src0_sel:WORD_1
	v_cvt_f32_u32_sdwa v12, v7 dst_sel:DWORD dst_unused:UNUSED_PAD src0_sel:WORD_0
	;; [unrolled: 2-line block ×3, first 2 shown]
	v_cvt_f32_u32_sdwa v36, v9 dst_sel:DWORD dst_unused:UNUSED_PAD src0_sel:WORD_0
	v_cvt_f32_u32_sdwa v37, v9 dst_sel:DWORD dst_unused:UNUSED_PAD src0_sel:WORD_1
	;;#ASMSTART
	v_pk_mul_f32 v[18:19], v[34:35], v[10:11]
	;;#ASMEND
	;;#ASMSTART
	v_pk_mul_f32 v[14:15], v[54:55], v[12:13]
	;;#ASMEND
	;; [unrolled: 3-line block ×4, first 2 shown]
	s_waitcnt vmcnt(0)
	v_cvt_f32_u32_sdwa v7, v2 dst_sel:DWORD dst_unused:UNUSED_PAD src0_sel:WORD_1
	v_cvt_f32_u32_sdwa v6, v2 dst_sel:DWORD dst_unused:UNUSED_PAD src0_sel:WORD_0
	v_cvt_f32_u32_sdwa v35, v3 dst_sel:DWORD dst_unused:UNUSED_PAD src0_sel:WORD_1
	v_cvt_f32_u32_sdwa v34, v3 dst_sel:DWORD dst_unused:UNUSED_PAD src0_sel:WORD_0
	;; [unrolled: 2-line block ×3, first 2 shown]
	v_cvt_f32_u32_sdwa v36, v5 dst_sel:DWORD dst_unused:UNUSED_PAD src0_sel:WORD_0
	v_cvt_f32_u32_sdwa v37, v5 dst_sel:DWORD dst_unused:UNUSED_PAD src0_sel:WORD_1
	;;#ASMSTART
	v_pk_mul_f32 v[10:11], v[60:61], v[6:7]
	;;#ASMEND
	;;#ASMSTART
	v_pk_mul_f32 v[6:7], v[62:63], v[34:35]
	;;#ASMEND
	;; [unrolled: 3-line block ×4, first 2 shown]
	v_and_b32_e32 v34, 0x7fffffff, v32
	v_mov_b32_e32 v36, 0x2edbe6ff
	v_and_b32_e32 v35, 0x7fffffff, v33
	;;#ASMSTART
	v_max3_f32 v34, v36, v34, v35

	;;#ASMEND
	v_and_b32_e32 v36, 0x7fffffff, v31
	v_and_b32_e32 v35, 0x7fffffff, v30
	;;#ASMSTART
	v_max3_f32 v34, v34, v35, v36

	;;#ASMEND
	v_and_b32_e32 v36, 0x7fffffff, v27
	;; [unrolled: 6-line block ×15, first 2 shown]
	v_and_b32_e32 v35, 0x7fffffff, v2
	;;#ASMSTART
	v_max3_f32 v36, v34, v35, v36

	;;#ASMEND
	s_cbranch_scc0 .LBB110_10
; %bb.4:
	s_ashr_i32 s15, s11, 31
	s_lshr_b32 s2, s15, 27
	s_add_i32 s2, s11, s2
	s_ashr_i32 s18, s2, 5
	s_cmp_lt_i32 s18, 16
	s_cbranch_scc1 .LBB110_11
; %bb.5:
	s_cmp_lt_i32 s18, 32
	s_cbranch_scc1 .LBB110_12
; %bb.6:
	;; [unrolled: 3-line block ×3, first 2 shown]
	s_cmp_eq_u32 s18, 64
	v_mov_b32_e32 v34, v36
	s_cbranch_scc0 .LBB110_9
; %bb.8:
	s_nop 0
	v_mov_b32_dpp v34, v36 quad_perm:[1,0,3,2] row_mask:0xf bank_mask:0xf
	v_cmp_gt_f32_e32 vcc, v36, v34
	v_cndmask_b32_e32 v34, v34, v36, vcc
	v_bfrev_b32_e32 v37, 0.5
	s_nop 0
	v_mov_b32_dpp v35, v34 quad_perm:[2,3,0,1] row_mask:0xf bank_mask:0xf
	v_cmp_gt_f32_e32 vcc, v34, v35
	v_cndmask_b32_e32 v34, v35, v34, vcc
	s_nop 1
	v_mov_b32_dpp v35, v34 row_ror:4 row_mask:0xf bank_mask:0xf
	v_cmp_gt_f32_e32 vcc, v34, v35
	v_cndmask_b32_e32 v34, v35, v34, vcc
	s_nop 1
	v_mov_b32_dpp v35, v34 row_ror:8 row_mask:0xf bank_mask:0xf
	v_cmp_gt_f32_e32 vcc, v34, v35
	v_cndmask_b32_e32 v34, v35, v34, vcc
	s_nop 1
	v_mov_b32_dpp v35, v34 row_bcast:15 row_mask:0xf bank_mask:0xf
	v_cmp_gt_f32_e32 vcc, v34, v35
	v_cndmask_b32_e32 v34, v35, v34, vcc
	s_nop 1
	v_mov_b32_dpp v35, v34 row_bcast:31 row_mask:0xf bank_mask:0xf
	v_cmp_gt_f32_e32 vcc, v34, v35
	v_cndmask_b32_e32 v34, v35, v34, vcc
	v_mbcnt_lo_u32_b32 v35, -1, 0
	v_mbcnt_hi_u32_b32 v35, -1, v35
	v_lshl_or_b32 v35, v35, 2, v37
	ds_bpermute_b32 v34, v35, v34
.LBB110_9:
	s_mov_b64 s[2:3], 0
	s_branch .LBB110_14
.LBB110_10:
	s_mov_b64 s[2:3], 0
                                        ; implicit-def: $vgpr37
                                        ; implicit-def: $vgpr34_vgpr35
	s_cbranch_execnz .LBB110_43
	s_branch .LBB110_46
.LBB110_11:
                                        ; implicit-def: $vgpr34
	s_branch .LBB110_21
.LBB110_12:
                                        ; implicit-def: $vgpr34
	s_branch .LBB110_18
.LBB110_13:
	s_mov_b64 s[2:3], -1
                                        ; implicit-def: $vgpr34
.LBB110_14:
	s_andn2_b64 vcc, exec, s[2:3]
	s_cbranch_vccnz .LBB110_17
; %bb.15:
	s_cmp_eq_u32 s18, 32
	s_waitcnt lgkmcnt(0)
	v_mov_b32_e32 v34, v36
	s_cbranch_scc0 .LBB110_17
; %bb.16:
	s_nop 0
	v_mov_b32_dpp v34, v36 quad_perm:[1,0,3,2] row_mask:0xf bank_mask:0xf
	v_cmp_gt_f32_e32 vcc, v36, v34
	v_cndmask_b32_e32 v34, v34, v36, vcc
	v_mov_b32_e32 v37, 0x7c
	s_nop 0
	v_mov_b32_dpp v35, v34 quad_perm:[2,3,0,1] row_mask:0xf bank_mask:0xf
	v_cmp_gt_f32_e32 vcc, v34, v35
	v_cndmask_b32_e32 v34, v35, v34, vcc
	s_nop 1
	v_mov_b32_dpp v35, v34 row_half_mirror row_mask:0xf bank_mask:0xf
	v_cmp_gt_f32_e32 vcc, v34, v35
	v_cndmask_b32_e32 v34, v35, v34, vcc
	s_nop 1
	v_mov_b32_dpp v35, v34 row_mirror row_mask:0xf bank_mask:0xf
	v_cmp_gt_f32_e32 vcc, v34, v35
	v_cndmask_b32_e32 v34, v35, v34, vcc
	s_nop 1
	v_mov_b32_dpp v35, v34 row_bcast:15 row_mask:0xa bank_mask:0xf
	v_cmp_gt_f32_e32 vcc, v34, v35
	v_cndmask_b32_e32 v34, v35, v34, vcc
	v_mbcnt_lo_u32_b32 v35, -1, 0
	v_mbcnt_hi_u32_b32 v35, -1, v35
	v_lshl_or_b32 v35, v35, 2, v37
	ds_bpermute_b32 v34, v35, v34
.LBB110_17:
	s_cbranch_execnz .LBB110_20
.LBB110_18:
	s_cmp_eq_u32 s18, 16
	s_waitcnt lgkmcnt(0)
	v_mov_b32_e32 v34, v36
	s_cbranch_scc0 .LBB110_20
; %bb.19:
	s_nop 0
	v_mov_b32_dpp v34, v36 quad_perm:[1,0,3,2] row_mask:0xf bank_mask:0xf
	v_cmp_gt_f32_e32 vcc, v36, v34
	v_cndmask_b32_e32 v34, v34, v36, vcc
	s_nop 1
	v_mov_b32_dpp v35, v34 quad_perm:[2,3,0,1] row_mask:0xf bank_mask:0xf
	v_cmp_gt_f32_e32 vcc, v34, v35
	v_cndmask_b32_e32 v34, v35, v34, vcc
	s_nop 1
	v_mov_b32_dpp v35, v34 row_half_mirror row_mask:0xf bank_mask:0xf
	v_cmp_gt_f32_e32 vcc, v34, v35
	v_cndmask_b32_e32 v34, v35, v34, vcc
	s_nop 1
	v_mov_b32_dpp v35, v34 row_mirror row_mask:0xf bank_mask:0xf
	v_cmp_gt_f32_e32 vcc, v34, v35
	v_cndmask_b32_e32 v34, v35, v34, vcc
.LBB110_20:
	s_cbranch_execnz .LBB110_33
.LBB110_21:
	s_cmp_lt_i32 s18, 4
	s_cbranch_scc1 .LBB110_25
; %bb.22:
	s_cmp_lt_i32 s18, 8
	s_cbranch_scc1 .LBB110_26
; %bb.23:
	s_cmp_eq_u32 s18, 8
	s_waitcnt lgkmcnt(0)
	v_mov_b32_e32 v34, v36
	s_cbranch_scc0 .LBB110_27
; %bb.24:
	s_nop 0
	v_mov_b32_dpp v34, v36 quad_perm:[1,0,3,2] row_mask:0xf bank_mask:0xf
	v_cmp_gt_f32_e32 vcc, v36, v34
	v_cndmask_b32_e32 v34, v34, v36, vcc
	s_nop 1
	v_mov_b32_dpp v35, v34 quad_perm:[2,3,0,1] row_mask:0xf bank_mask:0xf
	v_cmp_gt_f32_e32 vcc, v34, v35
	v_cndmask_b32_e32 v34, v35, v34, vcc
	s_nop 1
	v_mov_b32_dpp v35, v34 row_half_mirror row_mask:0xf bank_mask:0xf
	v_cmp_gt_f32_e32 vcc, v34, v35
	v_cndmask_b32_e32 v34, v35, v34, vcc
	s_cbranch_execz .LBB110_28
	s_branch .LBB110_30
.LBB110_25:
                                        ; implicit-def: $vgpr34
	s_branch .LBB110_31
.LBB110_26:
                                        ; implicit-def: $vgpr34
	s_branch .LBB110_28
.LBB110_27:
	s_cbranch_execnz .LBB110_30
.LBB110_28:
	s_cmp_eq_u32 s18, 4
	s_waitcnt lgkmcnt(0)
	v_mov_b32_e32 v34, v36
	s_cbranch_scc0 .LBB110_30
; %bb.29:
	s_nop 0
	v_mov_b32_dpp v34, v36 quad_perm:[1,0,3,2] row_mask:0xf bank_mask:0xf
	v_cmp_gt_f32_e32 vcc, v36, v34
	v_cndmask_b32_e32 v34, v34, v36, vcc
	s_nop 1
	v_mov_b32_dpp v35, v34 quad_perm:[2,3,0,1] row_mask:0xf bank_mask:0xf
	v_cmp_gt_f32_e32 vcc, v34, v35
	v_cndmask_b32_e32 v34, v35, v34, vcc
.LBB110_30:
	s_cbranch_execnz .LBB110_33
.LBB110_31:
	s_cmp_lg_u32 s18, 2
	s_waitcnt lgkmcnt(0)
	v_mov_b32_e32 v34, v36
	s_cbranch_scc1 .LBB110_33
; %bb.32:
	s_nop 0
	v_mov_b32_dpp v34, v36 quad_perm:[1,0,3,2] row_mask:0xf bank_mask:0xf
	v_cmp_gt_f32_e32 vcc, v36, v34
	v_cndmask_b32_e32 v34, v34, v36, vcc
.LBB110_33:
	v_cvt_f32_u32_e32 v35, s18
	s_waitcnt lgkmcnt(0)
	v_mul_f32_e32 v37, 0x3c010204, v34
	s_sub_i32 s2, 0, s18
	v_cmp_gt_u32_e32 vcc, s9, v53
	v_rcp_iflag_f32_e32 v35, v35
	s_mov_b64 s[16:17], 0
	v_mul_f32_e32 v34, 0x4f7ffffe, v35
	v_cvt_u32_f32_e32 v34, v34
	v_mul_lo_u32 v35, s2, v34
	v_mul_hi_u32 v35, v34, v35
	v_add_u32_e32 v34, v34, v35
	v_mul_hi_u32 v34, v0, v34
	v_mul_lo_u32 v35, v34, s18
	v_sub_u32_e32 v35, v0, v35
	v_add_u32_e32 v38, 1, v34
	v_cmp_le_u32_e64 s[2:3], s18, v35
	v_cndmask_b32_e64 v34, v34, v38, s[2:3]
	v_subrev_u32_e32 v38, s18, v35
	v_cndmask_b32_e64 v35, v35, v38, s[2:3]
	v_add_u32_e32 v38, 1, v34
	v_cmp_le_u32_e64 s[2:3], s18, v35
	v_cndmask_b32_e64 v38, v34, v38, s[2:3]
	v_mul_lo_u32 v34, v38, s18
	v_sub_u32_e32 v34, v0, v34
	v_cmp_eq_u32_e64 s[2:3], 0, v34
	s_and_b64 s[18:19], s[2:3], vcc
	s_mov_b64 s[2:3], 0
                                        ; implicit-def: $vgpr34_vgpr35
	s_and_saveexec_b64 s[20:21], s[18:19]
	s_xor_b64 s[18:19], exec, s[20:21]
	s_cbranch_execz .LBB110_42
; %bb.34:
	s_bitcmp0_b32 s14, 0
	s_cbranch_scc0 .LBB110_39
; %bb.35:
	s_ashr_i32 s2, s9, 31
	s_mul_hi_u32 s3, s9, s6
	s_mul_i32 s2, s2, s6
	s_add_i32 s21, s3, s2
	s_mul_i32 s20, s9, s6
	s_mov_b32 s14, s11
	s_or_b64 s[2:3], s[20:21], s[14:15]
	s_mov_b32 s2, 0
	s_cmp_lg_u64 s[2:3], 0
	s_cbranch_scc0 .LBB110_50
; %bb.36:
	s_add_u32 s2, s14, s15
	s_mov_b32 s24, s15
	s_mov_b32 s25, s15
	s_addc_u32 s3, s15, s15
	s_xor_b64 s[26:27], s[2:3], s[24:25]
	v_cvt_f32_u32_e32 v34, s26
	v_cvt_f32_u32_e32 v35, s27
	s_sub_u32 s2, 0, s26
	s_subb_u32 s3, 0, s27
	v_madmk_f32 v34, v35, 0x4f800000, v34
	v_rcp_f32_e32 v34, v34
	v_mul_f32_e32 v34, 0x5f7ffffc, v34
	v_mul_f32_e32 v35, 0x2f800000, v34
	v_trunc_f32_e32 v35, v35
	v_madmk_f32 v34, v35, 0xcf800000, v34
	v_cvt_u32_f32_e32 v35, v35
	v_cvt_u32_f32_e32 v34, v34
	v_readfirstlane_b32 s11, v35
	v_readfirstlane_b32 s15, v34
	s_mul_i32 s28, s2, s11
	s_mul_hi_u32 s30, s2, s15
	s_mul_i32 s29, s3, s15
	s_add_i32 s28, s30, s28
	s_add_i32 s28, s28, s29
	s_mul_i32 s31, s2, s15
	s_mul_hi_u32 s29, s15, s28
	s_mul_i32 s30, s15, s28
	s_mul_hi_u32 s15, s15, s31
	s_add_u32 s15, s15, s30
	s_addc_u32 s29, 0, s29
	s_mul_hi_u32 s33, s11, s31
	s_mul_i32 s31, s11, s31
	s_add_u32 s15, s15, s31
	s_mul_hi_u32 s30, s11, s28
	s_addc_u32 s15, s29, s33
	s_addc_u32 s29, s30, 0
	s_mul_i32 s28, s11, s28
	s_add_u32 s15, s15, s28
	s_addc_u32 s28, 0, s29
	v_add_co_u32_e32 v34, vcc, s15, v34
	s_cmp_lg_u64 vcc, 0
	s_addc_u32 s11, s11, s28
	v_readfirstlane_b32 s28, v34
	s_mul_i32 s15, s2, s11
	s_mul_hi_u32 s29, s2, s28
	s_add_i32 s15, s29, s15
	s_mul_i32 s3, s3, s28
	s_add_i32 s15, s15, s3
	s_mul_i32 s2, s2, s28
	s_mul_hi_u32 s29, s11, s2
	s_mul_i32 s30, s11, s2
	s_mul_i32 s33, s28, s15
	s_mul_hi_u32 s2, s28, s2
	s_mul_hi_u32 s31, s28, s15
	s_add_u32 s2, s2, s33
	s_addc_u32 s28, 0, s31
	s_add_u32 s2, s2, s30
	s_mul_hi_u32 s3, s11, s15
	s_addc_u32 s2, s28, s29
	s_addc_u32 s3, s3, 0
	s_mul_i32 s15, s11, s15
	s_add_u32 s2, s2, s15
	s_addc_u32 s3, 0, s3
	v_add_co_u32_e32 v34, vcc, s2, v34
	s_cmp_lg_u64 vcc, 0
	s_addc_u32 s11, s11, s3
	s_ashr_i32 s28, s21, 31
	s_add_u32 s2, s20, s28
	s_mov_b32 s29, s28
	s_addc_u32 s3, s21, s28
	s_xor_b64 s[30:31], s[2:3], s[28:29]
	v_readfirstlane_b32 s15, v34
	s_mul_i32 s3, s30, s11
	s_mul_hi_u32 s21, s30, s15
	s_mul_hi_u32 s2, s30, s11
	s_add_u32 s3, s21, s3
	s_addc_u32 s2, 0, s2
	s_mul_hi_u32 s33, s31, s15
	s_mul_i32 s15, s31, s15
	s_add_u32 s3, s3, s15
	s_mul_hi_u32 s21, s31, s11
	s_addc_u32 s2, s2, s33
	s_addc_u32 s3, s21, 0
	s_mul_i32 s11, s31, s11
	s_add_u32 s11, s2, s11
	s_addc_u32 s15, 0, s3
	s_mul_i32 s2, s26, s15
	s_mul_hi_u32 s3, s26, s11
	s_add_i32 s2, s3, s2
	s_mul_i32 s3, s27, s11
	s_add_i32 s21, s2, s3
	s_mul_i32 s3, s26, s11
	v_mov_b32_e32 v34, s3
	s_sub_i32 s2, s31, s21
	v_sub_co_u32_e32 v34, vcc, s30, v34
	s_cmp_lg_u64 vcc, 0
	s_subb_u32 s30, s2, s27
	v_subrev_co_u32_e64 v35, s[2:3], s26, v34
	s_cmp_lg_u64 s[2:3], 0
	s_subb_u32 s30, s30, 0
	s_cmp_ge_u32 s30, s27
	s_cselect_b32 s33, -1, 0
	v_cmp_le_u32_e64 s[2:3], s26, v35
	s_cmp_eq_u32 s30, s27
	v_cndmask_b32_e64 v35, 0, -1, s[2:3]
	v_mov_b32_e32 v39, s33
	s_cselect_b64 s[2:3], -1, 0
	v_cndmask_b32_e64 v35, v39, v35, s[2:3]
	s_add_u32 s2, s11, 1
	s_addc_u32 s30, s15, 0
	s_add_u32 s3, s11, 2
	s_addc_u32 s33, s15, 0
	v_mov_b32_e32 v39, s2
	v_mov_b32_e32 v40, s3
	v_cmp_ne_u32_e64 s[2:3], 0, v35
	v_cndmask_b32_e64 v35, v39, v40, s[2:3]
	v_mov_b32_e32 v39, s30
	v_mov_b32_e32 v40, s33
	s_cmp_lg_u64 vcc, 0
	v_cndmask_b32_e64 v39, v39, v40, s[2:3]
	s_subb_u32 s2, s31, s21
	s_cmp_ge_u32 s2, s27
	s_cselect_b32 s3, -1, 0
	v_cmp_le_u32_e32 vcc, s26, v34
	s_cmp_eq_u32 s2, s27
	v_cndmask_b32_e64 v34, 0, -1, vcc
	v_mov_b32_e32 v40, s3
	s_cselect_b64 vcc, -1, 0
	v_cndmask_b32_e32 v34, v40, v34, vcc
	v_mov_b32_e32 v40, s15
	v_cmp_ne_u32_e32 vcc, 0, v34
	v_cndmask_b32_e32 v34, v40, v39, vcc
	v_mov_b32_e32 v39, s11
	v_cndmask_b32_e32 v35, v39, v35, vcc
	s_xor_b64 s[2:3], s[28:29], s[24:25]
	v_xor_b32_e32 v35, s2, v35
	v_xor_b32_e32 v39, s3, v34
	v_mov_b32_e32 v40, s3
	v_subrev_co_u32_e32 v34, vcc, s2, v35
	v_subb_co_u32_e32 v35, vcc, v39, v40, vcc
	s_cbranch_execnz .LBB110_38
.LBB110_37:
	v_cvt_f32_u32_e32 v34, s14
	s_sub_i32 s2, 0, s14
	s_mov_b32 s3, 0
	v_rcp_iflag_f32_e32 v34, v34
	v_mul_f32_e32 v34, 0x4f7ffffe, v34
	v_cvt_u32_f32_e32 v34, v34
	v_readfirstlane_b32 s11, v34
	s_mul_i32 s2, s2, s11
	s_mul_hi_u32 s2, s11, s2
	s_add_i32 s11, s11, s2
	s_mul_hi_u32 s2, s20, s11
	s_mul_i32 s15, s2, s14
	s_sub_i32 s15, s20, s15
	s_add_i32 s11, s2, 1
	s_sub_i32 s20, s15, s14
	s_cmp_ge_u32 s15, s14
	s_cselect_b32 s2, s11, s2
	s_cselect_b32 s15, s20, s15
	s_add_i32 s11, s2, 1
	s_cmp_ge_u32 s15, s14
	s_cselect_b32 s2, s11, s2
	v_pk_mov_b32 v[34:35], s[2:3], s[2:3] op_sel:[0,1]
.LBB110_38:
	v_add_co_u32_e32 v34, vcc, v34, v38
	v_addc_co_u32_e32 v35, vcc, 0, v35, vcc
	s_branch .LBB110_41
.LBB110_39:
                                        ; implicit-def: $vgpr34_vgpr35
	s_cbranch_execz .LBB110_41
; %bb.40:
	v_mul_lo_u32 v34, v38, s8
	v_ashrrev_i32_e32 v35, 31, v34
	v_mov_b32_e32 v38, s7
	v_add_co_u32_e32 v34, vcc, s6, v34
	v_addc_co_u32_e32 v35, vcc, v35, v38, vcc
.LBB110_41:
	s_mov_b64 s[2:3], exec
.LBB110_42:
	s_or_b64 exec, exec, s[18:19]
	s_and_b64 vcc, exec, s[16:17]
	s_cbranch_vccz .LBB110_46
.LBB110_43:
	v_mov_b32_dpp v34, v36 quad_perm:[1,0,3,2] row_mask:0xf bank_mask:0xf
	v_cmp_gt_f32_e32 vcc, v36, v34
	v_cndmask_b32_e32 v34, v34, v36, vcc
	s_nop 1
	v_mov_b32_dpp v35, v34 quad_perm:[2,3,0,1] row_mask:0xf bank_mask:0xf
	v_cmp_gt_f32_e32 vcc, v34, v35
	v_cndmask_b32_e32 v34, v35, v34, vcc
	s_nop 1
	v_mov_b32_dpp v35, v34 row_half_mirror row_mask:0xf bank_mask:0xf
	v_cmp_gt_f32_e32 vcc, v34, v35
	v_cndmask_b32_e32 v34, v35, v34, vcc
	s_nop 1
	v_mov_b32_dpp v35, v34 row_mirror row_mask:0xf bank_mask:0xf
	v_cmp_gt_f32_e32 vcc, v34, v35
	v_cndmask_b32_e32 v34, v35, v34, vcc
	s_nop 1
	v_mov_b32_dpp v35, v34 row_bcast:15 row_mask:0xf bank_mask:0xf
	v_cmp_gt_f32_e32 vcc, v34, v35
	v_cndmask_b32_e32 v34, v35, v34, vcc
	s_nop 1
	v_mov_b32_dpp v35, v34 row_bcast:31 row_mask:0xf bank_mask:0xf
	s_and_saveexec_b64 s[2:3], s[0:1]
	s_cbranch_execz .LBB110_45
; %bb.44:
	v_lshrrev_b32_e32 v36, 4, v0
	v_cmp_gt_f32_e32 vcc, v34, v35
	v_and_b32_e32 v36, 60, v36
	v_cndmask_b32_e32 v34, v35, v34, vcc
	ds_write_b32 v36, v34
.LBB110_45:
	s_or_b64 exec, exec, s[2:3]
	s_waitcnt lgkmcnt(0)
	s_barrier
	ds_read_b32 v34, v52
	v_cmp_eq_u32_e64 s[2:3], 0, v0
	s_waitcnt lgkmcnt(0)
	v_mov_b32_dpp v35, v34 quad_perm:[1,0,3,2] row_mask:0xf bank_mask:0xf
	v_cmp_gt_f32_e32 vcc, v34, v35
	v_cndmask_b32_e32 v34, v35, v34, vcc
	s_nop 1
	v_mov_b32_dpp v35, v34 quad_perm:[2,3,0,1] row_mask:0xf bank_mask:0xf
	v_cmp_gt_f32_e32 vcc, v34, v35
	v_cndmask_b32_e32 v34, v35, v34, vcc
	v_mul_f32_e32 v37, 0x3c010204, v34
	v_pk_mov_b32 v[34:35], s[6:7], s[6:7] op_sel:[0,1]
.LBB110_46:
	s_and_saveexec_b64 s[0:1], s[2:3]
	s_cbranch_execz .LBB110_48
; %bb.47:
	v_lshlrev_b64 v[34:35], 2, v[34:35]
	v_mov_b32_e32 v0, s13
	v_add_co_u32_e32 v34, vcc, s12, v34
	v_addc_co_u32_e32 v35, vcc, v0, v35, vcc
	global_store_dword v[34:35], v37, off
.LBB110_48:
	s_or_b64 exec, exec, s[0:1]
	s_add_i32 s2, s9, 3
	s_load_dwordx2 s[0:1], s[4:5], 0x0
	s_ashr_i32 s3, s2, 31
	;;#ASMSTART
	v_rcp_f32 v34, v37
	;;#ASMEND
	v_mov_b32_e32 v35, v34
	;;#ASMSTART
	v_pk_mul_f32 v[32:33], v[32:33], v[34:35]
	;;#ASMEND
	;;#ASMSTART
	v_pk_mul_f32 v[30:31], v[30:31], v[34:35]
	;;#ASMEND
	s_lshr_b32 s3, s3, 30
	v_cvt_i32_f32_e32 v0, v32
	v_cvt_i32_f32_sdwa v32, v33 dst_sel:BYTE_1 dst_unused:UNUSED_PAD src0_sel:DWORD
	v_cvt_i32_f32_e32 v30, v30
	v_cvt_i32_f32_sdwa v31, v31 dst_sel:BYTE_1 dst_unused:UNUSED_PAD src0_sel:DWORD
	;;#ASMSTART
	v_pk_mul_f32 v[26:27], v[26:27], v[34:35]
	;;#ASMEND
	;;#ASMSTART
	v_pk_mul_f32 v[24:25], v[24:25], v[34:35]
	;;#ASMEND
	s_add_i32 s2, s2, s3
	s_ashr_i32 s3, s10, 31
	v_cvt_i32_f32_e32 v26, v26
	v_cvt_i32_f32_sdwa v27, v27 dst_sel:BYTE_1 dst_unused:UNUSED_PAD src0_sel:DWORD
	v_cvt_i32_f32_e32 v33, v24
	v_cvt_i32_f32_sdwa v25, v25 dst_sel:BYTE_1 dst_unused:UNUSED_PAD src0_sel:DWORD
	s_mul_hi_u32 s4, s10, s6
	s_mul_i32 s3, s3, s6
	s_and_b32 s2, s2, -4
	s_add_i32 s4, s4, s3
	s_mul_i32 s3, s10, s6
	s_waitcnt lgkmcnt(0)
	s_add_u32 s0, s0, s3
	v_or_b32_sdwa v0, v0, v32 dst_sel:DWORD dst_unused:UNUSED_PAD src0_sel:BYTE_0 src1_sel:DWORD
	v_or_b32_sdwa v24, v30, v31 dst_sel:WORD_1 dst_unused:UNUSED_PAD src0_sel:BYTE_0 src1_sel:DWORD
	s_addc_u32 s1, s1, s4
	v_or_b32_sdwa v24, v0, v24 dst_sel:DWORD dst_unused:UNUSED_PAD src0_sel:WORD_0 src1_sel:DWORD
	v_or_b32_sdwa v0, v26, v27 dst_sel:DWORD dst_unused:UNUSED_PAD src0_sel:BYTE_0 src1_sel:DWORD
	v_or_b32_sdwa v25, v33, v25 dst_sel:WORD_1 dst_unused:UNUSED_PAD src0_sel:BYTE_0 src1_sel:DWORD
	s_and_b32 s1, s1, 0xffff
	s_mov_b32 s3, 0x20000
	v_or_b32_sdwa v25, v0, v25 dst_sel:DWORD dst_unused:UNUSED_PAD src0_sel:WORD_0 src1_sel:DWORD
	buffer_store_dwordx2 v[24:25], v1, s[0:3], 0 offen
	;;#ASMSTART
	s_nop 0
	;;#ASMEND
	;;#ASMSTART
	v_pk_mul_f32 v[24:25], v[28:29], v[34:35]
	;;#ASMEND
	;;#ASMSTART
	v_pk_mul_f32 v[22:23], v[22:23], v[34:35]
	;;#ASMEND
	v_cvt_i32_f32_e32 v0, v24
	v_cvt_i32_f32_sdwa v24, v25 dst_sel:BYTE_1 dst_unused:UNUSED_PAD src0_sel:DWORD
	v_cvt_i32_f32_e32 v22, v22
	v_cvt_i32_f32_sdwa v23, v23 dst_sel:BYTE_1 dst_unused:UNUSED_PAD src0_sel:DWORD
	;;#ASMSTART
	v_pk_mul_f32 v[20:21], v[20:21], v[34:35]
	;;#ASMEND
	;;#ASMSTART
	v_pk_mul_f32 v[16:17], v[16:17], v[34:35]
	;;#ASMEND
	v_cvt_i32_f32_e32 v20, v20
	v_cvt_i32_f32_sdwa v21, v21 dst_sel:BYTE_1 dst_unused:UNUSED_PAD src0_sel:DWORD
	v_cvt_i32_f32_e32 v25, v16
	v_cvt_i32_f32_sdwa v17, v17 dst_sel:BYTE_1 dst_unused:UNUSED_PAD src0_sel:DWORD
	v_or_b32_sdwa v0, v0, v24 dst_sel:DWORD dst_unused:UNUSED_PAD src0_sel:BYTE_0 src1_sel:DWORD
	v_or_b32_sdwa v16, v22, v23 dst_sel:WORD_1 dst_unused:UNUSED_PAD src0_sel:BYTE_0 src1_sel:DWORD
	v_or_b32_sdwa v16, v0, v16 dst_sel:DWORD dst_unused:UNUSED_PAD src0_sel:WORD_0 src1_sel:DWORD
	v_or_b32_sdwa v0, v20, v21 dst_sel:DWORD dst_unused:UNUSED_PAD src0_sel:BYTE_0 src1_sel:DWORD
	v_or_b32_sdwa v17, v25, v17 dst_sel:WORD_1 dst_unused:UNUSED_PAD src0_sel:BYTE_0 src1_sel:DWORD
	v_or_b32_sdwa v17, v0, v17 dst_sel:DWORD dst_unused:UNUSED_PAD src0_sel:WORD_0 src1_sel:DWORD
	s_movk_i32 s4, 0x200
	buffer_store_dwordx2 v[16:17], v1, s[0:3], s4 offen
	;;#ASMSTART
	s_nop 0
	;;#ASMEND
	;;#ASMSTART
	v_pk_mul_f32 v[16:17], v[18:19], v[34:35]
	;;#ASMEND
	;;#ASMSTART
	v_pk_mul_f32 v[14:15], v[14:15], v[34:35]
	;;#ASMEND
	v_cvt_i32_f32_e32 v0, v16
	v_cvt_i32_f32_sdwa v16, v17 dst_sel:BYTE_1 dst_unused:UNUSED_PAD src0_sel:DWORD
	v_cvt_i32_f32_e32 v14, v14
	v_cvt_i32_f32_sdwa v15, v15 dst_sel:BYTE_1 dst_unused:UNUSED_PAD src0_sel:DWORD
	;;#ASMSTART
	v_pk_mul_f32 v[12:13], v[12:13], v[34:35]
	;;#ASMEND
	;;#ASMSTART
	v_pk_mul_f32 v[8:9], v[8:9], v[34:35]
	;;#ASMEND
	v_cvt_i32_f32_e32 v12, v12
	v_cvt_i32_f32_sdwa v13, v13 dst_sel:BYTE_1 dst_unused:UNUSED_PAD src0_sel:DWORD
	v_cvt_i32_f32_e32 v17, v8
	v_cvt_i32_f32_sdwa v9, v9 dst_sel:BYTE_1 dst_unused:UNUSED_PAD src0_sel:DWORD
	v_or_b32_sdwa v0, v0, v16 dst_sel:DWORD dst_unused:UNUSED_PAD src0_sel:BYTE_0 src1_sel:DWORD
	v_or_b32_sdwa v8, v14, v15 dst_sel:WORD_1 dst_unused:UNUSED_PAD src0_sel:BYTE_0 src1_sel:DWORD
	v_or_b32_sdwa v8, v0, v8 dst_sel:DWORD dst_unused:UNUSED_PAD src0_sel:WORD_0 src1_sel:DWORD
	v_or_b32_sdwa v0, v12, v13 dst_sel:DWORD dst_unused:UNUSED_PAD src0_sel:BYTE_0 src1_sel:DWORD
	v_or_b32_sdwa v9, v17, v9 dst_sel:WORD_1 dst_unused:UNUSED_PAD src0_sel:BYTE_0 src1_sel:DWORD
	v_or_b32_sdwa v9, v0, v9 dst_sel:DWORD dst_unused:UNUSED_PAD src0_sel:WORD_0 src1_sel:DWORD
	s_movk_i32 s4, 0x400
	buffer_store_dwordx2 v[8:9], v1, s[0:3], s4 offen
	;;#ASMSTART
	s_nop 0
	;;#ASMEND
	;;#ASMSTART
	v_pk_mul_f32 v[8:9], v[10:11], v[34:35]
	;;#ASMEND
	;;#ASMSTART
	v_pk_mul_f32 v[6:7], v[6:7], v[34:35]
	;;#ASMEND
	v_cvt_i32_f32_e32 v0, v8
	v_cvt_i32_f32_sdwa v8, v9 dst_sel:BYTE_1 dst_unused:UNUSED_PAD src0_sel:DWORD
	v_cvt_i32_f32_e32 v6, v6
	v_cvt_i32_f32_sdwa v7, v7 dst_sel:BYTE_1 dst_unused:UNUSED_PAD src0_sel:DWORD
	;;#ASMSTART
	v_pk_mul_f32 v[4:5], v[4:5], v[34:35]
	;;#ASMEND
	;;#ASMSTART
	v_pk_mul_f32 v[2:3], v[2:3], v[34:35]
	;;#ASMEND
	v_cvt_i32_f32_e32 v4, v4
	v_cvt_i32_f32_sdwa v5, v5 dst_sel:BYTE_1 dst_unused:UNUSED_PAD src0_sel:DWORD
	v_cvt_i32_f32_e32 v9, v2
	v_cvt_i32_f32_sdwa v3, v3 dst_sel:BYTE_1 dst_unused:UNUSED_PAD src0_sel:DWORD
	v_or_b32_sdwa v0, v0, v8 dst_sel:DWORD dst_unused:UNUSED_PAD src0_sel:BYTE_0 src1_sel:DWORD
	v_or_b32_sdwa v2, v6, v7 dst_sel:WORD_1 dst_unused:UNUSED_PAD src0_sel:BYTE_0 src1_sel:DWORD
	v_or_b32_sdwa v2, v0, v2 dst_sel:DWORD dst_unused:UNUSED_PAD src0_sel:WORD_0 src1_sel:DWORD
	v_or_b32_sdwa v0, v4, v5 dst_sel:DWORD dst_unused:UNUSED_PAD src0_sel:BYTE_0 src1_sel:DWORD
	v_or_b32_sdwa v3, v9, v3 dst_sel:WORD_1 dst_unused:UNUSED_PAD src0_sel:BYTE_0 src1_sel:DWORD
	v_or_b32_sdwa v3, v0, v3 dst_sel:DWORD dst_unused:UNUSED_PAD src0_sel:WORD_0 src1_sel:DWORD
	s_movk_i32 s4, 0x600
	buffer_store_dwordx2 v[2:3], v1, s[0:3], s4 offen
	;;#ASMSTART
	s_nop 0
	;;#ASMEND
.LBB110_49:
	s_endpgm
.LBB110_50:
                                        ; implicit-def: $vgpr34_vgpr35
	s_branch .LBB110_37
	.section	.rodata,"a",@progbits
	.p2align	6, 0x0
	.amdhsa_kernel _ZN5aiter24add_rmsnorm_quant_kernelItaLi256ELi32ELb0ELb1ELb1ELi1EEEvPT0_PT_PfS4_S4_S4_diiiiiiib
		.amdhsa_group_segment_fixed_size 32
		.amdhsa_private_segment_fixed_size 0
		.amdhsa_kernarg_size 88
		.amdhsa_user_sgpr_count 6
		.amdhsa_user_sgpr_private_segment_buffer 1
		.amdhsa_user_sgpr_dispatch_ptr 0
		.amdhsa_user_sgpr_queue_ptr 0
		.amdhsa_user_sgpr_kernarg_segment_ptr 1
		.amdhsa_user_sgpr_dispatch_id 0
		.amdhsa_user_sgpr_flat_scratch_init 0
		.amdhsa_user_sgpr_kernarg_preload_length 0
		.amdhsa_user_sgpr_kernarg_preload_offset 0
		.amdhsa_user_sgpr_private_segment_size 0
		.amdhsa_uses_dynamic_stack 0
		.amdhsa_system_sgpr_private_segment_wavefront_offset 0
		.amdhsa_system_sgpr_workgroup_id_x 1
		.amdhsa_system_sgpr_workgroup_id_y 0
		.amdhsa_system_sgpr_workgroup_id_z 0
		.amdhsa_system_sgpr_workgroup_info 0
		.amdhsa_system_vgpr_workitem_id 0
		.amdhsa_next_free_vgpr 68
		.amdhsa_next_free_sgpr 34
		.amdhsa_accum_offset 68
		.amdhsa_reserve_vcc 1
		.amdhsa_reserve_flat_scratch 0
		.amdhsa_float_round_mode_32 0
		.amdhsa_float_round_mode_16_64 0
		.amdhsa_float_denorm_mode_32 3
		.amdhsa_float_denorm_mode_16_64 3
		.amdhsa_dx10_clamp 1
		.amdhsa_ieee_mode 1
		.amdhsa_fp16_overflow 0
		.amdhsa_tg_split 0
		.amdhsa_exception_fp_ieee_invalid_op 0
		.amdhsa_exception_fp_denorm_src 0
		.amdhsa_exception_fp_ieee_div_zero 0
		.amdhsa_exception_fp_ieee_overflow 0
		.amdhsa_exception_fp_ieee_underflow 0
		.amdhsa_exception_fp_ieee_inexact 0
		.amdhsa_exception_int_div_zero 0
	.end_amdhsa_kernel
	.section	.text._ZN5aiter24add_rmsnorm_quant_kernelItaLi256ELi32ELb0ELb1ELb1ELi1EEEvPT0_PT_PfS4_S4_S4_diiiiiiib,"axG",@progbits,_ZN5aiter24add_rmsnorm_quant_kernelItaLi256ELi32ELb0ELb1ELb1ELi1EEEvPT0_PT_PfS4_S4_S4_diiiiiiib,comdat
.Lfunc_end110:
	.size	_ZN5aiter24add_rmsnorm_quant_kernelItaLi256ELi32ELb0ELb1ELb1ELi1EEEvPT0_PT_PfS4_S4_S4_diiiiiiib, .Lfunc_end110-_ZN5aiter24add_rmsnorm_quant_kernelItaLi256ELi32ELb0ELb1ELb1ELi1EEEvPT0_PT_PfS4_S4_S4_diiiiiiib
                                        ; -- End function
	.section	.AMDGPU.csdata,"",@progbits
; Kernel info:
; codeLenInByte = 4704
; NumSgprs: 38
; NumVgprs: 68
; NumAgprs: 0
; TotalNumVgprs: 68
; ScratchSize: 0
; MemoryBound: 0
; FloatMode: 240
; IeeeMode: 1
; LDSByteSize: 32 bytes/workgroup (compile time only)
; SGPRBlocks: 4
; VGPRBlocks: 8
; NumSGPRsForWavesPerEU: 38
; NumVGPRsForWavesPerEU: 68
; AccumOffset: 68
; Occupancy: 7
; WaveLimiterHint : 0
; COMPUTE_PGM_RSRC2:SCRATCH_EN: 0
; COMPUTE_PGM_RSRC2:USER_SGPR: 6
; COMPUTE_PGM_RSRC2:TRAP_HANDLER: 0
; COMPUTE_PGM_RSRC2:TGID_X_EN: 1
; COMPUTE_PGM_RSRC2:TGID_Y_EN: 0
; COMPUTE_PGM_RSRC2:TGID_Z_EN: 0
; COMPUTE_PGM_RSRC2:TIDIG_COMP_CNT: 0
; COMPUTE_PGM_RSRC3_GFX90A:ACCUM_OFFSET: 16
; COMPUTE_PGM_RSRC3_GFX90A:TG_SPLIT: 0
	.section	.text._ZN5aiter24add_rmsnorm_quant_kernelIDF16_aLi256ELi32ELb0ELb1ELb0ELi1EEEvPT0_PT_PfS4_S4_S4_diiiiiiib,"axG",@progbits,_ZN5aiter24add_rmsnorm_quant_kernelIDF16_aLi256ELi32ELb0ELb1ELb0ELi1EEEvPT0_PT_PfS4_S4_S4_diiiiiiib,comdat
	.protected	_ZN5aiter24add_rmsnorm_quant_kernelIDF16_aLi256ELi32ELb0ELb1ELb0ELi1EEEvPT0_PT_PfS4_S4_S4_diiiiiiib ; -- Begin function _ZN5aiter24add_rmsnorm_quant_kernelIDF16_aLi256ELi32ELb0ELb1ELb0ELi1EEEvPT0_PT_PfS4_S4_S4_diiiiiiib
	.globl	_ZN5aiter24add_rmsnorm_quant_kernelIDF16_aLi256ELi32ELb0ELb1ELb0ELi1EEEvPT0_PT_PfS4_S4_S4_diiiiiiib
	.p2align	8
	.type	_ZN5aiter24add_rmsnorm_quant_kernelIDF16_aLi256ELi32ELb0ELb1ELb0ELi1EEEvPT0_PT_PfS4_S4_S4_diiiiiiib,@function
_ZN5aiter24add_rmsnorm_quant_kernelIDF16_aLi256ELi32ELb0ELb1ELb0ELi1EEEvPT0_PT_PfS4_S4_S4_diiiiiiib: ; @_ZN5aiter24add_rmsnorm_quant_kernelIDF16_aLi256ELi32ELb0ELb1ELb0ELi1EEEvPT0_PT_PfS4_S4_S4_diiiiiiib
; %bb.0:
	s_load_dwordx4 s[8:11], s[4:5], 0x38
	s_mov_b32 s7, 0
	s_waitcnt lgkmcnt(0)
	s_ashr_i32 s0, s8, 31
	v_mov_b32_e32 v2, s8
	v_mov_b32_e32 v3, s0
	v_cmp_ge_i64_e32 vcc, s[6:7], v[2:3]
	s_cbranch_vccnz .LBB111_49
; %bb.1:
	s_load_dwordx4 s[12:15], s[4:5], 0x10
	s_load_dwordx4 s[0:3], s[4:5], 0x28
	s_ashr_i32 s11, s10, 31
	s_mul_hi_u32 s16, s10, s6
	s_mul_i32 s11, s11, s6
	s_add_i32 s11, s16, s11
	s_mul_i32 s10, s10, s6
	s_lshl_b64 s[10:11], s[10:11], 1
	s_waitcnt lgkmcnt(0)
	s_add_u32 s16, s14, s10
	s_addc_u32 s10, s15, s11
	s_add_i32 s11, s9, 1
	s_lshr_b32 s14, s11, 31
	s_add_i32 s11, s11, s14
	s_lshl_b32 s11, s11, 1
	s_and_b32 s18, s11, -4
	s_and_b32 s17, s10, 0xffff
	s_mov_b32 s19, 0x20000
	v_lshlrev_b32_e32 v1, 6, v0
	buffer_load_dwordx4 v[30:33], v1, s[16:19], 0 offen
	buffer_load_dwordx4 v[26:29], v1, s[16:19], 16 offen
	;; [unrolled: 1-line block ×4, first 2 shown]
	s_mov_b32 s16, s0
	s_and_b32 s17, s1, 0xffff
	buffer_load_dwordx4 v[14:17], v1, s[16:19], 0 offen
	buffer_load_dwordx4 v[10:13], v1, s[16:19], 16 offen
	;; [unrolled: 1-line block ×4, first 2 shown]
	v_and_b32_e32 v60, 63, v0
	v_cmp_eq_u32_e64 s[0:1], 63, v60
	s_waitcnt vmcnt(7)
	v_cvt_f32_f16_e32 v50, v30
	v_cvt_f32_f16_sdwa v51, v30 dst_sel:DWORD dst_unused:UNUSED_PAD src0_sel:WORD_1
	v_cvt_f32_f16_e32 v48, v31
	v_cvt_f32_f16_sdwa v49, v31 dst_sel:DWORD dst_unused:UNUSED_PAD src0_sel:WORD_1
	v_cvt_f32_f16_e32 v46, v32
	v_cvt_f32_f16_sdwa v47, v32 dst_sel:DWORD dst_unused:UNUSED_PAD src0_sel:WORD_1
	v_cvt_f32_f16_e32 v44, v33
	v_cvt_f32_f16_sdwa v45, v33 dst_sel:DWORD dst_unused:UNUSED_PAD src0_sel:WORD_1
	s_waitcnt vmcnt(6)
	v_cvt_f32_f16_e32 v42, v26
	v_cvt_f32_f16_sdwa v43, v26 dst_sel:DWORD dst_unused:UNUSED_PAD src0_sel:WORD_1
	v_cvt_f32_f16_e32 v40, v27
	v_cvt_f32_f16_sdwa v41, v27 dst_sel:DWORD dst_unused:UNUSED_PAD src0_sel:WORD_1
	v_cvt_f32_f16_e32 v38, v28
	v_cvt_f32_f16_sdwa v39, v28 dst_sel:DWORD dst_unused:UNUSED_PAD src0_sel:WORD_1
	v_cvt_f32_f16_e32 v36, v29
	v_cvt_f32_f16_sdwa v37, v29 dst_sel:DWORD dst_unused:UNUSED_PAD src0_sel:WORD_1
	;; [unrolled: 9-line block ×4, first 2 shown]
	v_pk_mul_f32 v[20:21], v[50:51], v[50:51]
	v_pk_mul_f32 v[52:53], v[48:49], v[48:49]
	v_add_f32_e32 v1, v20, v21
	v_add_f32_e32 v1, v52, v1
	v_pk_mul_f32 v[54:55], v[46:47], v[46:47]
	v_add_f32_e32 v1, v53, v1
	v_add_f32_e32 v1, v54, v1
	;; [unrolled: 3-line block ×15, first 2 shown]
	v_add_f32_e32 v1, v55, v1
	s_nop 1
	v_mov_b32_dpp v20, v1 quad_perm:[1,0,3,2] row_mask:0xf bank_mask:0xf
	v_add_f32_e32 v1, v1, v20
	s_nop 1
	v_mov_b32_dpp v20, v1 quad_perm:[2,3,0,1] row_mask:0xf bank_mask:0xf
	v_add_f32_e32 v1, v1, v20
	s_nop 1
	v_mov_b32_dpp v20, v1 row_half_mirror row_mask:0xf bank_mask:0xf
	v_add_f32_e32 v1, v1, v20
	s_nop 1
	v_mov_b32_dpp v20, v1 row_mirror row_mask:0xf bank_mask:0xf
	v_add_f32_e32 v1, v1, v20
	s_nop 1
	v_mov_b32_dpp v20, v1 row_bcast:15 row_mask:0xf bank_mask:0xf
	v_add_f32_e32 v1, v1, v20
	s_nop 1
	v_mov_b32_dpp v20, v1 row_bcast:31 row_mask:0xf bank_mask:0xf
	s_and_saveexec_b64 s[10:11], s[0:1]
	s_cbranch_execz .LBB111_3
; %bb.2:
	v_lshrrev_b32_e32 v21, 4, v0
	v_and_b32_e32 v21, 60, v21
	v_add_f32_e32 v1, v1, v20
	ds_write_b32 v21, v1 offset:16
.LBB111_3:
	s_or_b64 exec, exec, s[10:11]
	v_and_b32_e32 v1, 3, v0
	v_lshlrev_b32_e32 v52, 2, v1
	s_waitcnt lgkmcnt(0)
	s_barrier
	ds_read_b32 v1, v52 offset:16
	v_cvt_f32_i32_e32 v20, s9
	s_waitcnt lgkmcnt(0)
	v_mov_b32_dpp v21, v1 quad_perm:[1,0,3,2] row_mask:0xf bank_mask:0xf
	v_add_f32_e32 v1, v1, v21
	s_nop 1
	v_mov_b32_dpp v21, v1 quad_perm:[2,3,0,1] row_mask:0xf bank_mask:0xf
	v_add_f32_e32 v1, v1, v21
	v_div_scale_f32 v21, s[10:11], v20, v20, v1
	v_rcp_f32_e32 v53, v21
	v_div_scale_f32 v54, vcc, v1, v20, v1
	s_load_dwordx2 s[10:11], s[4:5], 0x4c
	s_load_dword s14, s[4:5], 0x54
	v_fma_f32 v55, -v21, v53, 1.0
	v_fmac_f32_e32 v53, v55, v53
	v_mul_f32_e32 v55, v54, v53
	v_fma_f32 v56, -v21, v55, v54
	v_fmac_f32_e32 v55, v56, v53
	v_fma_f32 v21, -v21, v55, v54
	v_div_fmas_f32 v21, v21, v53, v55
	v_div_fixup_f32 v1, v21, v20, v1
	v_cvt_f64_f32_e32 v[20:21], v1
	v_add_f64 v[20:21], v[20:21], s[2:3]
	v_cvt_f32_f64_e32 v1, v[20:21]
	s_mov_b32 s2, 0x800000
	v_mul_f32_e32 v20, 0x4b800000, v1
	v_cmp_gt_f32_e32 vcc, s2, v1
	v_cndmask_b32_e32 v1, v1, v20, vcc
	v_rsq_f32_e32 v20, v1
	v_lshlrev_b32_e32 v1, 5, v0
	s_waitcnt lgkmcnt(0)
	s_cmp_lg_u32 s11, 0
	v_mul_f32_e32 v21, 0x45800000, v20
	v_cndmask_b32_e32 v20, v20, v21, vcc
	v_mov_b32_e32 v21, v20
	;;#ASMSTART
	v_pk_mul_f32 v[50:51], v[50:51], v[20:21]
	;;#ASMEND
	;;#ASMSTART
	v_pk_mul_f32 v[48:49], v[48:49], v[20:21]
	;;#ASMEND
	;; [unrolled: 3-line block ×16, first 2 shown]
	s_waitcnt vmcnt(3)
	v_cvt_f32_f16_sdwa v21, v15 dst_sel:DWORD dst_unused:UNUSED_PAD src0_sel:WORD_1
	v_cvt_f32_f16_e32 v20, v15
	v_cvt_f32_f16_sdwa v19, v14 dst_sel:DWORD dst_unused:UNUSED_PAD src0_sel:WORD_1
	v_cvt_f32_f16_e32 v18, v14
	;; [unrolled: 2-line block ×4, first 2 shown]
	;;#ASMSTART
	v_pk_mul_f32 v[24:25], v[50:51], v[18:19]
	;;#ASMEND
	;;#ASMSTART
	v_pk_mul_f32 v[22:23], v[48:49], v[20:21]
	;;#ASMEND
	s_waitcnt vmcnt(2)
	v_cvt_f32_f16_sdwa v17, v10 dst_sel:DWORD dst_unused:UNUSED_PAD src0_sel:WORD_1
	v_cvt_f32_f16_e32 v16, v10
	v_cvt_f32_f16_sdwa v21, v11 dst_sel:DWORD dst_unused:UNUSED_PAD src0_sel:WORD_1
	v_cvt_f32_f16_e32 v20, v11
	;; [unrolled: 2-line block ×3, first 2 shown]
	;;#ASMSTART
	v_pk_mul_f32 v[18:19], v[46:47], v[14:15]
	;;#ASMEND
	;;#ASMSTART
	v_pk_mul_f32 v[14:15], v[44:45], v[26:27]
	;;#ASMEND
	v_cvt_f32_f16_sdwa v27, v13 dst_sel:DWORD dst_unused:UNUSED_PAD src0_sel:WORD_1
	v_cvt_f32_f16_e32 v26, v13
	;;#ASMSTART
	v_pk_mul_f32 v[32:33], v[42:43], v[16:17]
	;;#ASMEND
	;;#ASMSTART
	v_pk_mul_f32 v[30:31], v[40:41], v[20:21]
	;;#ASMEND
	;; [unrolled: 3-line block ×3, first 2 shown]
	s_waitcnt vmcnt(1)
	v_cvt_f32_f16_sdwa v11, v6 dst_sel:DWORD dst_unused:UNUSED_PAD src0_sel:WORD_1
	v_cvt_f32_f16_e32 v10, v6
	;;#ASMSTART
	v_pk_mul_f32 v[26:27], v[36:37], v[26:27]
	;;#ASMEND
	v_cvt_f32_f16_sdwa v13, v7 dst_sel:DWORD dst_unused:UNUSED_PAD src0_sel:WORD_1
	v_cvt_f32_f16_e32 v12, v7
	v_cvt_f32_f16_sdwa v7, v8 dst_sel:DWORD dst_unused:UNUSED_PAD src0_sel:WORD_1
	v_cvt_f32_f16_e32 v6, v8
	;; [unrolled: 2-line block ×3, first 2 shown]
	;;#ASMSTART
	v_pk_mul_f32 v[20:21], v[34:35], v[10:11]
	;;#ASMEND
	s_waitcnt vmcnt(0)
	v_cvt_f32_f16_sdwa v11, v2 dst_sel:DWORD dst_unused:UNUSED_PAD src0_sel:WORD_1
	v_cvt_f32_f16_e32 v10, v2
	v_cvt_f32_f16_sdwa v35, v3 dst_sel:DWORD dst_unused:UNUSED_PAD src0_sel:WORD_1
	v_cvt_f32_f16_e32 v34, v3
	;; [unrolled: 2-line block ×3, first 2 shown]
	v_cvt_f32_f16_e32 v36, v5
	;;#ASMSTART
	v_pk_mul_f32 v[12:13], v[54:55], v[12:13]
	;;#ASMEND
	;;#ASMSTART
	v_pk_mul_f32 v[8:9], v[56:57], v[6:7]
	;;#ASMEND
	;; [unrolled: 3-line block ×3, first 2 shown]
	v_cvt_f32_f16_sdwa v37, v5 dst_sel:DWORD dst_unused:UNUSED_PAD src0_sel:WORD_1
	;;#ASMSTART
	v_pk_mul_f32 v[16:17], v[60:61], v[10:11]
	;;#ASMEND
	;;#ASMSTART
	v_pk_mul_f32 v[10:11], v[62:63], v[34:35]
	;;#ASMEND
	;; [unrolled: 3-line block ×4, first 2 shown]
	v_and_b32_e32 v34, 0x7fffffff, v24
	v_mov_b32_e32 v36, 0x2edbe6ff
	v_and_b32_e32 v35, 0x7fffffff, v25
	;;#ASMSTART
	v_max3_f32 v34, v36, v34, v35

	;;#ASMEND
	v_and_b32_e32 v36, 0x7fffffff, v23
	v_and_b32_e32 v35, 0x7fffffff, v22
	;;#ASMSTART
	v_max3_f32 v34, v34, v35, v36

	;;#ASMEND
	v_and_b32_e32 v36, 0x7fffffff, v19
	;; [unrolled: 6-line block ×15, first 2 shown]
	v_and_b32_e32 v35, 0x7fffffff, v2
	;;#ASMSTART
	v_max3_f32 v36, v34, v35, v36

	;;#ASMEND
	s_cbranch_scc0 .LBB111_10
; %bb.4:
	s_ashr_i32 s15, s11, 31
	s_lshr_b32 s2, s15, 27
	s_add_i32 s2, s11, s2
	s_ashr_i32 s18, s2, 5
	s_cmp_lt_i32 s18, 16
	s_cbranch_scc1 .LBB111_11
; %bb.5:
	s_cmp_lt_i32 s18, 32
	s_cbranch_scc1 .LBB111_12
; %bb.6:
	;; [unrolled: 3-line block ×3, first 2 shown]
	s_cmp_eq_u32 s18, 64
	v_mov_b32_e32 v34, v36
	s_cbranch_scc0 .LBB111_9
; %bb.8:
	s_nop 0
	v_mov_b32_dpp v34, v36 quad_perm:[1,0,3,2] row_mask:0xf bank_mask:0xf
	v_cmp_gt_f32_e32 vcc, v36, v34
	v_cndmask_b32_e32 v34, v34, v36, vcc
	v_bfrev_b32_e32 v37, 0.5
	s_nop 0
	v_mov_b32_dpp v35, v34 quad_perm:[2,3,0,1] row_mask:0xf bank_mask:0xf
	v_cmp_gt_f32_e32 vcc, v34, v35
	v_cndmask_b32_e32 v34, v35, v34, vcc
	s_nop 1
	v_mov_b32_dpp v35, v34 row_ror:4 row_mask:0xf bank_mask:0xf
	v_cmp_gt_f32_e32 vcc, v34, v35
	v_cndmask_b32_e32 v34, v35, v34, vcc
	s_nop 1
	v_mov_b32_dpp v35, v34 row_ror:8 row_mask:0xf bank_mask:0xf
	v_cmp_gt_f32_e32 vcc, v34, v35
	v_cndmask_b32_e32 v34, v35, v34, vcc
	s_nop 1
	v_mov_b32_dpp v35, v34 row_bcast:15 row_mask:0xf bank_mask:0xf
	v_cmp_gt_f32_e32 vcc, v34, v35
	v_cndmask_b32_e32 v34, v35, v34, vcc
	s_nop 1
	v_mov_b32_dpp v35, v34 row_bcast:31 row_mask:0xf bank_mask:0xf
	v_cmp_gt_f32_e32 vcc, v34, v35
	v_cndmask_b32_e32 v34, v35, v34, vcc
	v_mbcnt_lo_u32_b32 v35, -1, 0
	v_mbcnt_hi_u32_b32 v35, -1, v35
	v_lshl_or_b32 v35, v35, 2, v37
	ds_bpermute_b32 v34, v35, v34
.LBB111_9:
	s_mov_b64 s[2:3], 0
	s_branch .LBB111_14
.LBB111_10:
	s_mov_b64 s[2:3], 0
                                        ; implicit-def: $vgpr37
                                        ; implicit-def: $vgpr34_vgpr35
	s_cbranch_execnz .LBB111_43
	s_branch .LBB111_46
.LBB111_11:
                                        ; implicit-def: $vgpr34
	s_branch .LBB111_21
.LBB111_12:
                                        ; implicit-def: $vgpr34
	s_branch .LBB111_18
.LBB111_13:
	s_mov_b64 s[2:3], -1
                                        ; implicit-def: $vgpr34
.LBB111_14:
	s_andn2_b64 vcc, exec, s[2:3]
	s_cbranch_vccnz .LBB111_17
; %bb.15:
	s_cmp_eq_u32 s18, 32
	s_waitcnt lgkmcnt(0)
	v_mov_b32_e32 v34, v36
	s_cbranch_scc0 .LBB111_17
; %bb.16:
	s_nop 0
	v_mov_b32_dpp v34, v36 quad_perm:[1,0,3,2] row_mask:0xf bank_mask:0xf
	v_cmp_gt_f32_e32 vcc, v36, v34
	v_cndmask_b32_e32 v34, v34, v36, vcc
	v_mov_b32_e32 v37, 0x7c
	s_nop 0
	v_mov_b32_dpp v35, v34 quad_perm:[2,3,0,1] row_mask:0xf bank_mask:0xf
	v_cmp_gt_f32_e32 vcc, v34, v35
	v_cndmask_b32_e32 v34, v35, v34, vcc
	s_nop 1
	v_mov_b32_dpp v35, v34 row_half_mirror row_mask:0xf bank_mask:0xf
	v_cmp_gt_f32_e32 vcc, v34, v35
	v_cndmask_b32_e32 v34, v35, v34, vcc
	s_nop 1
	v_mov_b32_dpp v35, v34 row_mirror row_mask:0xf bank_mask:0xf
	v_cmp_gt_f32_e32 vcc, v34, v35
	v_cndmask_b32_e32 v34, v35, v34, vcc
	s_nop 1
	v_mov_b32_dpp v35, v34 row_bcast:15 row_mask:0xa bank_mask:0xf
	v_cmp_gt_f32_e32 vcc, v34, v35
	v_cndmask_b32_e32 v34, v35, v34, vcc
	v_mbcnt_lo_u32_b32 v35, -1, 0
	v_mbcnt_hi_u32_b32 v35, -1, v35
	v_lshl_or_b32 v35, v35, 2, v37
	ds_bpermute_b32 v34, v35, v34
.LBB111_17:
	s_cbranch_execnz .LBB111_20
.LBB111_18:
	s_cmp_eq_u32 s18, 16
	s_waitcnt lgkmcnt(0)
	v_mov_b32_e32 v34, v36
	s_cbranch_scc0 .LBB111_20
; %bb.19:
	s_nop 0
	v_mov_b32_dpp v34, v36 quad_perm:[1,0,3,2] row_mask:0xf bank_mask:0xf
	v_cmp_gt_f32_e32 vcc, v36, v34
	v_cndmask_b32_e32 v34, v34, v36, vcc
	s_nop 1
	v_mov_b32_dpp v35, v34 quad_perm:[2,3,0,1] row_mask:0xf bank_mask:0xf
	v_cmp_gt_f32_e32 vcc, v34, v35
	v_cndmask_b32_e32 v34, v35, v34, vcc
	s_nop 1
	v_mov_b32_dpp v35, v34 row_half_mirror row_mask:0xf bank_mask:0xf
	v_cmp_gt_f32_e32 vcc, v34, v35
	v_cndmask_b32_e32 v34, v35, v34, vcc
	s_nop 1
	v_mov_b32_dpp v35, v34 row_mirror row_mask:0xf bank_mask:0xf
	v_cmp_gt_f32_e32 vcc, v34, v35
	v_cndmask_b32_e32 v34, v35, v34, vcc
.LBB111_20:
	s_cbranch_execnz .LBB111_33
.LBB111_21:
	s_cmp_lt_i32 s18, 4
	s_cbranch_scc1 .LBB111_25
; %bb.22:
	s_cmp_lt_i32 s18, 8
	s_cbranch_scc1 .LBB111_26
; %bb.23:
	s_cmp_eq_u32 s18, 8
	s_waitcnt lgkmcnt(0)
	v_mov_b32_e32 v34, v36
	s_cbranch_scc0 .LBB111_27
; %bb.24:
	s_nop 0
	v_mov_b32_dpp v34, v36 quad_perm:[1,0,3,2] row_mask:0xf bank_mask:0xf
	v_cmp_gt_f32_e32 vcc, v36, v34
	v_cndmask_b32_e32 v34, v34, v36, vcc
	s_nop 1
	v_mov_b32_dpp v35, v34 quad_perm:[2,3,0,1] row_mask:0xf bank_mask:0xf
	v_cmp_gt_f32_e32 vcc, v34, v35
	v_cndmask_b32_e32 v34, v35, v34, vcc
	s_nop 1
	v_mov_b32_dpp v35, v34 row_half_mirror row_mask:0xf bank_mask:0xf
	v_cmp_gt_f32_e32 vcc, v34, v35
	v_cndmask_b32_e32 v34, v35, v34, vcc
	s_cbranch_execz .LBB111_28
	s_branch .LBB111_30
.LBB111_25:
                                        ; implicit-def: $vgpr34
	s_branch .LBB111_31
.LBB111_26:
                                        ; implicit-def: $vgpr34
	s_branch .LBB111_28
.LBB111_27:
	s_cbranch_execnz .LBB111_30
.LBB111_28:
	s_cmp_eq_u32 s18, 4
	s_waitcnt lgkmcnt(0)
	v_mov_b32_e32 v34, v36
	s_cbranch_scc0 .LBB111_30
; %bb.29:
	s_nop 0
	v_mov_b32_dpp v34, v36 quad_perm:[1,0,3,2] row_mask:0xf bank_mask:0xf
	v_cmp_gt_f32_e32 vcc, v36, v34
	v_cndmask_b32_e32 v34, v34, v36, vcc
	s_nop 1
	v_mov_b32_dpp v35, v34 quad_perm:[2,3,0,1] row_mask:0xf bank_mask:0xf
	v_cmp_gt_f32_e32 vcc, v34, v35
	v_cndmask_b32_e32 v34, v35, v34, vcc
.LBB111_30:
	s_cbranch_execnz .LBB111_33
.LBB111_31:
	s_cmp_lg_u32 s18, 2
	s_waitcnt lgkmcnt(0)
	v_mov_b32_e32 v34, v36
	s_cbranch_scc1 .LBB111_33
; %bb.32:
	s_nop 0
	v_mov_b32_dpp v34, v36 quad_perm:[1,0,3,2] row_mask:0xf bank_mask:0xf
	v_cmp_gt_f32_e32 vcc, v36, v34
	v_cndmask_b32_e32 v34, v34, v36, vcc
.LBB111_33:
	v_cvt_f32_u32_e32 v35, s18
	s_waitcnt lgkmcnt(0)
	v_mul_f32_e32 v37, 0x3c010204, v34
	s_sub_i32 s2, 0, s18
	v_cmp_gt_u32_e32 vcc, s9, v1
	v_rcp_iflag_f32_e32 v35, v35
	s_mov_b64 s[16:17], 0
	v_mul_f32_e32 v34, 0x4f7ffffe, v35
	v_cvt_u32_f32_e32 v34, v34
	v_mul_lo_u32 v35, s2, v34
	v_mul_hi_u32 v35, v34, v35
	v_add_u32_e32 v34, v34, v35
	v_mul_hi_u32 v34, v0, v34
	v_mul_lo_u32 v35, v34, s18
	v_sub_u32_e32 v35, v0, v35
	v_add_u32_e32 v38, 1, v34
	v_cmp_le_u32_e64 s[2:3], s18, v35
	v_cndmask_b32_e64 v34, v34, v38, s[2:3]
	v_subrev_u32_e32 v38, s18, v35
	v_cndmask_b32_e64 v35, v35, v38, s[2:3]
	v_add_u32_e32 v38, 1, v34
	v_cmp_le_u32_e64 s[2:3], s18, v35
	v_cndmask_b32_e64 v38, v34, v38, s[2:3]
	v_mul_lo_u32 v34, v38, s18
	v_sub_u32_e32 v34, v0, v34
	v_cmp_eq_u32_e64 s[2:3], 0, v34
	s_and_b64 s[18:19], s[2:3], vcc
	s_mov_b64 s[2:3], 0
                                        ; implicit-def: $vgpr34_vgpr35
	s_and_saveexec_b64 s[20:21], s[18:19]
	s_xor_b64 s[18:19], exec, s[20:21]
	s_cbranch_execz .LBB111_42
; %bb.34:
	s_bitcmp0_b32 s14, 0
	s_cbranch_scc0 .LBB111_39
; %bb.35:
	s_ashr_i32 s2, s9, 31
	s_mul_hi_u32 s3, s9, s6
	s_mul_i32 s2, s2, s6
	s_add_i32 s21, s3, s2
	s_mul_i32 s20, s9, s6
	s_mov_b32 s14, s11
	s_or_b64 s[2:3], s[20:21], s[14:15]
	s_mov_b32 s2, 0
	s_cmp_lg_u64 s[2:3], 0
	s_cbranch_scc0 .LBB111_50
; %bb.36:
	s_add_u32 s2, s14, s15
	s_mov_b32 s24, s15
	s_mov_b32 s25, s15
	s_addc_u32 s3, s15, s15
	s_xor_b64 s[26:27], s[2:3], s[24:25]
	v_cvt_f32_u32_e32 v34, s26
	v_cvt_f32_u32_e32 v35, s27
	s_sub_u32 s2, 0, s26
	s_subb_u32 s3, 0, s27
	v_madmk_f32 v34, v35, 0x4f800000, v34
	v_rcp_f32_e32 v34, v34
	v_mul_f32_e32 v34, 0x5f7ffffc, v34
	v_mul_f32_e32 v35, 0x2f800000, v34
	v_trunc_f32_e32 v35, v35
	v_madmk_f32 v34, v35, 0xcf800000, v34
	v_cvt_u32_f32_e32 v35, v35
	v_cvt_u32_f32_e32 v34, v34
	v_readfirstlane_b32 s11, v35
	v_readfirstlane_b32 s15, v34
	s_mul_i32 s28, s2, s11
	s_mul_hi_u32 s30, s2, s15
	s_mul_i32 s29, s3, s15
	s_add_i32 s28, s30, s28
	s_add_i32 s28, s28, s29
	s_mul_i32 s31, s2, s15
	s_mul_hi_u32 s29, s15, s28
	s_mul_i32 s30, s15, s28
	s_mul_hi_u32 s15, s15, s31
	s_add_u32 s15, s15, s30
	s_addc_u32 s29, 0, s29
	s_mul_hi_u32 s33, s11, s31
	s_mul_i32 s31, s11, s31
	s_add_u32 s15, s15, s31
	s_mul_hi_u32 s30, s11, s28
	s_addc_u32 s15, s29, s33
	s_addc_u32 s29, s30, 0
	s_mul_i32 s28, s11, s28
	s_add_u32 s15, s15, s28
	s_addc_u32 s28, 0, s29
	v_add_co_u32_e32 v34, vcc, s15, v34
	s_cmp_lg_u64 vcc, 0
	s_addc_u32 s11, s11, s28
	v_readfirstlane_b32 s28, v34
	s_mul_i32 s15, s2, s11
	s_mul_hi_u32 s29, s2, s28
	s_add_i32 s15, s29, s15
	s_mul_i32 s3, s3, s28
	s_add_i32 s15, s15, s3
	s_mul_i32 s2, s2, s28
	s_mul_hi_u32 s29, s11, s2
	s_mul_i32 s30, s11, s2
	s_mul_i32 s33, s28, s15
	s_mul_hi_u32 s2, s28, s2
	s_mul_hi_u32 s31, s28, s15
	s_add_u32 s2, s2, s33
	s_addc_u32 s28, 0, s31
	s_add_u32 s2, s2, s30
	s_mul_hi_u32 s3, s11, s15
	s_addc_u32 s2, s28, s29
	s_addc_u32 s3, s3, 0
	s_mul_i32 s15, s11, s15
	s_add_u32 s2, s2, s15
	s_addc_u32 s3, 0, s3
	v_add_co_u32_e32 v34, vcc, s2, v34
	s_cmp_lg_u64 vcc, 0
	s_addc_u32 s11, s11, s3
	s_ashr_i32 s28, s21, 31
	s_add_u32 s2, s20, s28
	s_mov_b32 s29, s28
	s_addc_u32 s3, s21, s28
	s_xor_b64 s[30:31], s[2:3], s[28:29]
	v_readfirstlane_b32 s15, v34
	s_mul_i32 s3, s30, s11
	s_mul_hi_u32 s21, s30, s15
	s_mul_hi_u32 s2, s30, s11
	s_add_u32 s3, s21, s3
	s_addc_u32 s2, 0, s2
	s_mul_hi_u32 s33, s31, s15
	s_mul_i32 s15, s31, s15
	s_add_u32 s3, s3, s15
	s_mul_hi_u32 s21, s31, s11
	s_addc_u32 s2, s2, s33
	s_addc_u32 s3, s21, 0
	s_mul_i32 s11, s31, s11
	s_add_u32 s11, s2, s11
	s_addc_u32 s15, 0, s3
	s_mul_i32 s2, s26, s15
	s_mul_hi_u32 s3, s26, s11
	s_add_i32 s2, s3, s2
	s_mul_i32 s3, s27, s11
	s_add_i32 s21, s2, s3
	s_mul_i32 s3, s26, s11
	v_mov_b32_e32 v34, s3
	s_sub_i32 s2, s31, s21
	v_sub_co_u32_e32 v34, vcc, s30, v34
	s_cmp_lg_u64 vcc, 0
	s_subb_u32 s30, s2, s27
	v_subrev_co_u32_e64 v35, s[2:3], s26, v34
	s_cmp_lg_u64 s[2:3], 0
	s_subb_u32 s30, s30, 0
	s_cmp_ge_u32 s30, s27
	s_cselect_b32 s33, -1, 0
	v_cmp_le_u32_e64 s[2:3], s26, v35
	s_cmp_eq_u32 s30, s27
	v_cndmask_b32_e64 v35, 0, -1, s[2:3]
	v_mov_b32_e32 v39, s33
	s_cselect_b64 s[2:3], -1, 0
	v_cndmask_b32_e64 v35, v39, v35, s[2:3]
	s_add_u32 s2, s11, 1
	s_addc_u32 s30, s15, 0
	s_add_u32 s3, s11, 2
	s_addc_u32 s33, s15, 0
	v_mov_b32_e32 v39, s2
	v_mov_b32_e32 v40, s3
	v_cmp_ne_u32_e64 s[2:3], 0, v35
	v_cndmask_b32_e64 v35, v39, v40, s[2:3]
	v_mov_b32_e32 v39, s30
	v_mov_b32_e32 v40, s33
	s_cmp_lg_u64 vcc, 0
	v_cndmask_b32_e64 v39, v39, v40, s[2:3]
	s_subb_u32 s2, s31, s21
	s_cmp_ge_u32 s2, s27
	s_cselect_b32 s3, -1, 0
	v_cmp_le_u32_e32 vcc, s26, v34
	s_cmp_eq_u32 s2, s27
	v_cndmask_b32_e64 v34, 0, -1, vcc
	v_mov_b32_e32 v40, s3
	s_cselect_b64 vcc, -1, 0
	v_cndmask_b32_e32 v34, v40, v34, vcc
	v_mov_b32_e32 v40, s15
	v_cmp_ne_u32_e32 vcc, 0, v34
	v_cndmask_b32_e32 v34, v40, v39, vcc
	v_mov_b32_e32 v39, s11
	v_cndmask_b32_e32 v35, v39, v35, vcc
	s_xor_b64 s[2:3], s[28:29], s[24:25]
	v_xor_b32_e32 v35, s2, v35
	v_xor_b32_e32 v39, s3, v34
	v_mov_b32_e32 v40, s3
	v_subrev_co_u32_e32 v34, vcc, s2, v35
	v_subb_co_u32_e32 v35, vcc, v39, v40, vcc
	s_cbranch_execnz .LBB111_38
.LBB111_37:
	v_cvt_f32_u32_e32 v34, s14
	s_sub_i32 s2, 0, s14
	s_mov_b32 s3, 0
	v_rcp_iflag_f32_e32 v34, v34
	v_mul_f32_e32 v34, 0x4f7ffffe, v34
	v_cvt_u32_f32_e32 v34, v34
	v_readfirstlane_b32 s11, v34
	s_mul_i32 s2, s2, s11
	s_mul_hi_u32 s2, s11, s2
	s_add_i32 s11, s11, s2
	s_mul_hi_u32 s2, s20, s11
	s_mul_i32 s15, s2, s14
	s_sub_i32 s15, s20, s15
	s_add_i32 s11, s2, 1
	s_sub_i32 s20, s15, s14
	s_cmp_ge_u32 s15, s14
	s_cselect_b32 s2, s11, s2
	s_cselect_b32 s15, s20, s15
	s_add_i32 s11, s2, 1
	s_cmp_ge_u32 s15, s14
	s_cselect_b32 s2, s11, s2
	v_pk_mov_b32 v[34:35], s[2:3], s[2:3] op_sel:[0,1]
.LBB111_38:
	v_add_co_u32_e32 v34, vcc, v34, v38
	v_addc_co_u32_e32 v35, vcc, 0, v35, vcc
	s_branch .LBB111_41
.LBB111_39:
                                        ; implicit-def: $vgpr34_vgpr35
	s_cbranch_execz .LBB111_41
; %bb.40:
	v_mul_lo_u32 v34, v38, s8
	v_ashrrev_i32_e32 v35, 31, v34
	v_mov_b32_e32 v38, s7
	v_add_co_u32_e32 v34, vcc, s6, v34
	v_addc_co_u32_e32 v35, vcc, v35, v38, vcc
.LBB111_41:
	s_mov_b64 s[2:3], exec
.LBB111_42:
	s_or_b64 exec, exec, s[18:19]
	s_and_b64 vcc, exec, s[16:17]
	s_cbranch_vccz .LBB111_46
.LBB111_43:
	v_mov_b32_dpp v34, v36 quad_perm:[1,0,3,2] row_mask:0xf bank_mask:0xf
	v_cmp_gt_f32_e32 vcc, v36, v34
	v_cndmask_b32_e32 v34, v34, v36, vcc
	s_nop 1
	v_mov_b32_dpp v35, v34 quad_perm:[2,3,0,1] row_mask:0xf bank_mask:0xf
	v_cmp_gt_f32_e32 vcc, v34, v35
	v_cndmask_b32_e32 v34, v35, v34, vcc
	s_nop 1
	v_mov_b32_dpp v35, v34 row_half_mirror row_mask:0xf bank_mask:0xf
	v_cmp_gt_f32_e32 vcc, v34, v35
	v_cndmask_b32_e32 v34, v35, v34, vcc
	s_nop 1
	v_mov_b32_dpp v35, v34 row_mirror row_mask:0xf bank_mask:0xf
	v_cmp_gt_f32_e32 vcc, v34, v35
	v_cndmask_b32_e32 v34, v35, v34, vcc
	s_nop 1
	v_mov_b32_dpp v35, v34 row_bcast:15 row_mask:0xf bank_mask:0xf
	v_cmp_gt_f32_e32 vcc, v34, v35
	v_cndmask_b32_e32 v34, v35, v34, vcc
	s_nop 1
	v_mov_b32_dpp v35, v34 row_bcast:31 row_mask:0xf bank_mask:0xf
	s_and_saveexec_b64 s[2:3], s[0:1]
	s_cbranch_execz .LBB111_45
; %bb.44:
	v_lshrrev_b32_e32 v36, 4, v0
	v_cmp_gt_f32_e32 vcc, v34, v35
	v_and_b32_e32 v36, 60, v36
	v_cndmask_b32_e32 v34, v35, v34, vcc
	ds_write_b32 v36, v34
.LBB111_45:
	s_or_b64 exec, exec, s[2:3]
	s_waitcnt lgkmcnt(0)
	s_barrier
	ds_read_b32 v34, v52
	v_cmp_eq_u32_e64 s[2:3], 0, v0
	s_waitcnt lgkmcnt(0)
	v_mov_b32_dpp v35, v34 quad_perm:[1,0,3,2] row_mask:0xf bank_mask:0xf
	v_cmp_gt_f32_e32 vcc, v34, v35
	v_cndmask_b32_e32 v34, v35, v34, vcc
	s_nop 1
	v_mov_b32_dpp v35, v34 quad_perm:[2,3,0,1] row_mask:0xf bank_mask:0xf
	v_cmp_gt_f32_e32 vcc, v34, v35
	v_cndmask_b32_e32 v34, v35, v34, vcc
	v_mul_f32_e32 v37, 0x3c010204, v34
	v_pk_mov_b32 v[34:35], s[6:7], s[6:7] op_sel:[0,1]
.LBB111_46:
	s_and_saveexec_b64 s[0:1], s[2:3]
	s_cbranch_execz .LBB111_48
; %bb.47:
	v_lshlrev_b64 v[34:35], 2, v[34:35]
	v_mov_b32_e32 v0, s13
	v_add_co_u32_e32 v34, vcc, s12, v34
	v_addc_co_u32_e32 v35, vcc, v0, v35, vcc
	global_store_dword v[34:35], v37, off
.LBB111_48:
	s_or_b64 exec, exec, s[0:1]
	;;#ASMSTART
	v_rcp_f32 v34, v37
	;;#ASMEND
	v_mov_b32_e32 v35, v34
	;;#ASMSTART
	v_pk_mul_f32 v[24:25], v[24:25], v[34:35]
	;;#ASMEND
	;;#ASMSTART
	v_pk_mul_f32 v[22:23], v[22:23], v[34:35]
	;;#ASMEND
	;; [unrolled: 3-line block ×4, first 2 shown]
	v_cvt_i32_f32_e32 v0, v24
	v_cvt_i32_f32_sdwa v24, v25 dst_sel:BYTE_1 dst_unused:UNUSED_PAD src0_sel:DWORD
	v_cvt_i32_f32_e32 v25, v14
	v_cvt_i32_f32_sdwa v36, v15 dst_sel:BYTE_1 dst_unused:UNUSED_PAD src0_sel:DWORD
	;;#ASMSTART
	v_pk_mul_f32 v[14:15], v[32:33], v[34:35]
	;;#ASMEND
	s_add_i32 s2, s9, 3
	v_cvt_i32_f32_e32 v22, v22
	v_cvt_i32_f32_sdwa v23, v23 dst_sel:BYTE_1 dst_unused:UNUSED_PAD src0_sel:DWORD
	v_cvt_i32_f32_e32 v32, v14
	v_cvt_i32_f32_sdwa v33, v15 dst_sel:BYTE_1 dst_unused:UNUSED_PAD src0_sel:DWORD
	;;#ASMSTART
	v_pk_mul_f32 v[14:15], v[30:31], v[34:35]
	;;#ASMEND
	s_load_dwordx2 s[0:1], s[4:5], 0x0
	s_ashr_i32 s3, s2, 31
	v_cvt_i32_f32_e32 v18, v18
	v_cvt_i32_f32_sdwa v19, v19 dst_sel:BYTE_1 dst_unused:UNUSED_PAD src0_sel:DWORD
	v_cvt_i32_f32_e32 v30, v14
	v_cvt_i32_f32_sdwa v31, v15 dst_sel:BYTE_1 dst_unused:UNUSED_PAD src0_sel:DWORD
	;;#ASMSTART
	v_pk_mul_f32 v[14:15], v[28:29], v[34:35]
	;;#ASMEND
	s_lshr_b32 s3, s3, 30
	v_cvt_i32_f32_e32 v28, v14
	v_cvt_i32_f32_sdwa v29, v15 dst_sel:BYTE_1 dst_unused:UNUSED_PAD src0_sel:DWORD
	;;#ASMSTART
	v_pk_mul_f32 v[14:15], v[26:27], v[34:35]
	;;#ASMEND
	s_add_i32 s2, s2, s3
	s_ashr_i32 s3, s10, 31
	v_cvt_i32_f32_e32 v14, v14
	v_cvt_i32_f32_sdwa v15, v15 dst_sel:BYTE_1 dst_unused:UNUSED_PAD src0_sel:DWORD
	s_mul_hi_u32 s4, s10, s6
	s_mul_i32 s3, s3, s6
	v_or_b32_sdwa v0, v0, v24 dst_sel:DWORD dst_unused:UNUSED_PAD src0_sel:BYTE_0 src1_sel:DWORD
	v_or_b32_sdwa v22, v22, v23 dst_sel:WORD_1 dst_unused:UNUSED_PAD src0_sel:BYTE_0 src1_sel:DWORD
	s_and_b32 s2, s2, -4
	s_add_i32 s4, s4, s3
	s_mul_i32 s3, s10, s6
	v_or_b32_sdwa v22, v0, v22 dst_sel:DWORD dst_unused:UNUSED_PAD src0_sel:WORD_0 src1_sel:DWORD
	v_or_b32_sdwa v0, v18, v19 dst_sel:DWORD dst_unused:UNUSED_PAD src0_sel:BYTE_0 src1_sel:DWORD
	v_or_b32_sdwa v18, v25, v36 dst_sel:WORD_1 dst_unused:UNUSED_PAD src0_sel:BYTE_0 src1_sel:DWORD
	s_waitcnt lgkmcnt(0)
	s_add_u32 s0, s0, s3
	v_or_b32_sdwa v23, v0, v18 dst_sel:DWORD dst_unused:UNUSED_PAD src0_sel:WORD_0 src1_sel:DWORD
	v_or_b32_sdwa v0, v32, v33 dst_sel:DWORD dst_unused:UNUSED_PAD src0_sel:BYTE_0 src1_sel:DWORD
	v_or_b32_sdwa v18, v30, v31 dst_sel:WORD_1 dst_unused:UNUSED_PAD src0_sel:BYTE_0 src1_sel:DWORD
	s_addc_u32 s1, s1, s4
	v_or_b32_sdwa v24, v0, v18 dst_sel:DWORD dst_unused:UNUSED_PAD src0_sel:WORD_0 src1_sel:DWORD
	v_or_b32_sdwa v0, v28, v29 dst_sel:DWORD dst_unused:UNUSED_PAD src0_sel:BYTE_0 src1_sel:DWORD
	v_or_b32_sdwa v14, v14, v15 dst_sel:WORD_1 dst_unused:UNUSED_PAD src0_sel:BYTE_0 src1_sel:DWORD
	s_and_b32 s1, s1, 0xffff
	s_mov_b32 s3, 0x20000
	v_or_b32_sdwa v25, v0, v14 dst_sel:DWORD dst_unused:UNUSED_PAD src0_sel:WORD_0 src1_sel:DWORD
	buffer_store_dwordx4 v[22:25], v1, s[0:3], 0 offen
	;;#ASMSTART
	s_nop 0
	;;#ASMEND
	;;#ASMSTART
	v_pk_mul_f32 v[14:15], v[20:21], v[34:35]
	;;#ASMEND
	;;#ASMSTART
	v_pk_mul_f32 v[12:13], v[12:13], v[34:35]
	;; [unrolled: 3-line block ×4, first 2 shown]
	;;#ASMEND
	v_cvt_i32_f32_e32 v0, v14
	v_cvt_i32_f32_sdwa v14, v15 dst_sel:BYTE_1 dst_unused:UNUSED_PAD src0_sel:DWORD
	v_cvt_i32_f32_e32 v12, v12
	v_cvt_i32_f32_sdwa v13, v13 dst_sel:BYTE_1 dst_unused:UNUSED_PAD src0_sel:DWORD
	;; [unrolled: 2-line block ×3, first 2 shown]
	;;#ASMSTART
	v_pk_mul_f32 v[6:7], v[16:17], v[34:35]
	;;#ASMEND
	v_cvt_i32_f32_e32 v8, v8
	v_cvt_i32_f32_sdwa v9, v9 dst_sel:BYTE_1 dst_unused:UNUSED_PAD src0_sel:DWORD
	v_cvt_i32_f32_e32 v16, v6
	v_cvt_i32_f32_sdwa v17, v7 dst_sel:BYTE_1 dst_unused:UNUSED_PAD src0_sel:DWORD
	;;#ASMSTART
	v_pk_mul_f32 v[6:7], v[10:11], v[34:35]
	;;#ASMEND
	v_cvt_i32_f32_e32 v6, v6
	v_cvt_i32_f32_sdwa v7, v7 dst_sel:BYTE_1 dst_unused:UNUSED_PAD src0_sel:DWORD
	;;#ASMSTART
	v_pk_mul_f32 v[4:5], v[4:5], v[34:35]
	;;#ASMEND
	;; [unrolled: 5-line block ×3, first 2 shown]
	v_cvt_i32_f32_e32 v11, v2
	v_cvt_i32_f32_sdwa v19, v3 dst_sel:BYTE_1 dst_unused:UNUSED_PAD src0_sel:DWORD
	v_or_b32_sdwa v0, v0, v14 dst_sel:DWORD dst_unused:UNUSED_PAD src0_sel:BYTE_0 src1_sel:DWORD
	v_or_b32_sdwa v2, v12, v13 dst_sel:WORD_1 dst_unused:UNUSED_PAD src0_sel:BYTE_0 src1_sel:DWORD
	v_or_b32_sdwa v2, v0, v2 dst_sel:DWORD dst_unused:UNUSED_PAD src0_sel:WORD_0 src1_sel:DWORD
	v_or_b32_sdwa v0, v8, v9 dst_sel:DWORD dst_unused:UNUSED_PAD src0_sel:BYTE_0 src1_sel:DWORD
	v_or_b32_sdwa v3, v15, v18 dst_sel:WORD_1 dst_unused:UNUSED_PAD src0_sel:BYTE_0 src1_sel:DWORD
	v_or_b32_sdwa v3, v0, v3 dst_sel:DWORD dst_unused:UNUSED_PAD src0_sel:WORD_0 src1_sel:DWORD
	;; [unrolled: 3-line block ×4, first 2 shown]
	buffer_store_dwordx4 v[2:5], v1, s[0:3], 16 offen
	;;#ASMSTART
	s_nop 0
	;;#ASMEND
.LBB111_49:
	s_endpgm
.LBB111_50:
                                        ; implicit-def: $vgpr34_vgpr35
	s_branch .LBB111_37
	.section	.rodata,"a",@progbits
	.p2align	6, 0x0
	.amdhsa_kernel _ZN5aiter24add_rmsnorm_quant_kernelIDF16_aLi256ELi32ELb0ELb1ELb0ELi1EEEvPT0_PT_PfS4_S4_S4_diiiiiiib
		.amdhsa_group_segment_fixed_size 32
		.amdhsa_private_segment_fixed_size 0
		.amdhsa_kernarg_size 88
		.amdhsa_user_sgpr_count 6
		.amdhsa_user_sgpr_private_segment_buffer 1
		.amdhsa_user_sgpr_dispatch_ptr 0
		.amdhsa_user_sgpr_queue_ptr 0
		.amdhsa_user_sgpr_kernarg_segment_ptr 1
		.amdhsa_user_sgpr_dispatch_id 0
		.amdhsa_user_sgpr_flat_scratch_init 0
		.amdhsa_user_sgpr_kernarg_preload_length 0
		.amdhsa_user_sgpr_kernarg_preload_offset 0
		.amdhsa_user_sgpr_private_segment_size 0
		.amdhsa_uses_dynamic_stack 0
		.amdhsa_system_sgpr_private_segment_wavefront_offset 0
		.amdhsa_system_sgpr_workgroup_id_x 1
		.amdhsa_system_sgpr_workgroup_id_y 0
		.amdhsa_system_sgpr_workgroup_id_z 0
		.amdhsa_system_sgpr_workgroup_info 0
		.amdhsa_system_vgpr_workitem_id 0
		.amdhsa_next_free_vgpr 68
		.amdhsa_next_free_sgpr 34
		.amdhsa_accum_offset 68
		.amdhsa_reserve_vcc 1
		.amdhsa_reserve_flat_scratch 0
		.amdhsa_float_round_mode_32 0
		.amdhsa_float_round_mode_16_64 0
		.amdhsa_float_denorm_mode_32 3
		.amdhsa_float_denorm_mode_16_64 3
		.amdhsa_dx10_clamp 1
		.amdhsa_ieee_mode 1
		.amdhsa_fp16_overflow 0
		.amdhsa_tg_split 0
		.amdhsa_exception_fp_ieee_invalid_op 0
		.amdhsa_exception_fp_denorm_src 0
		.amdhsa_exception_fp_ieee_div_zero 0
		.amdhsa_exception_fp_ieee_overflow 0
		.amdhsa_exception_fp_ieee_underflow 0
		.amdhsa_exception_fp_ieee_inexact 0
		.amdhsa_exception_int_div_zero 0
	.end_amdhsa_kernel
	.section	.text._ZN5aiter24add_rmsnorm_quant_kernelIDF16_aLi256ELi32ELb0ELb1ELb0ELi1EEEvPT0_PT_PfS4_S4_S4_diiiiiiib,"axG",@progbits,_ZN5aiter24add_rmsnorm_quant_kernelIDF16_aLi256ELi32ELb0ELb1ELb0ELi1EEEvPT0_PT_PfS4_S4_S4_diiiiiiib,comdat
.Lfunc_end111:
	.size	_ZN5aiter24add_rmsnorm_quant_kernelIDF16_aLi256ELi32ELb0ELb1ELb0ELi1EEEvPT0_PT_PfS4_S4_S4_diiiiiiib, .Lfunc_end111-_ZN5aiter24add_rmsnorm_quant_kernelIDF16_aLi256ELi32ELb0ELb1ELb0ELi1EEEvPT0_PT_PfS4_S4_S4_diiiiiiib
                                        ; -- End function
	.section	.AMDGPU.csdata,"",@progbits
; Kernel info:
; codeLenInByte = 4496
; NumSgprs: 38
; NumVgprs: 68
; NumAgprs: 0
; TotalNumVgprs: 68
; ScratchSize: 0
; MemoryBound: 0
; FloatMode: 240
; IeeeMode: 1
; LDSByteSize: 32 bytes/workgroup (compile time only)
; SGPRBlocks: 4
; VGPRBlocks: 8
; NumSGPRsForWavesPerEU: 38
; NumVGPRsForWavesPerEU: 68
; AccumOffset: 68
; Occupancy: 7
; WaveLimiterHint : 0
; COMPUTE_PGM_RSRC2:SCRATCH_EN: 0
; COMPUTE_PGM_RSRC2:USER_SGPR: 6
; COMPUTE_PGM_RSRC2:TRAP_HANDLER: 0
; COMPUTE_PGM_RSRC2:TGID_X_EN: 1
; COMPUTE_PGM_RSRC2:TGID_Y_EN: 0
; COMPUTE_PGM_RSRC2:TGID_Z_EN: 0
; COMPUTE_PGM_RSRC2:TIDIG_COMP_CNT: 0
; COMPUTE_PGM_RSRC3_GFX90A:ACCUM_OFFSET: 16
; COMPUTE_PGM_RSRC3_GFX90A:TG_SPLIT: 0
	.section	.text._ZN5aiter24add_rmsnorm_quant_kernelItaLi256ELi32ELb0ELb1ELb0ELi1EEEvPT0_PT_PfS4_S4_S4_diiiiiiib,"axG",@progbits,_ZN5aiter24add_rmsnorm_quant_kernelItaLi256ELi32ELb0ELb1ELb0ELi1EEEvPT0_PT_PfS4_S4_S4_diiiiiiib,comdat
	.protected	_ZN5aiter24add_rmsnorm_quant_kernelItaLi256ELi32ELb0ELb1ELb0ELi1EEEvPT0_PT_PfS4_S4_S4_diiiiiiib ; -- Begin function _ZN5aiter24add_rmsnorm_quant_kernelItaLi256ELi32ELb0ELb1ELb0ELi1EEEvPT0_PT_PfS4_S4_S4_diiiiiiib
	.globl	_ZN5aiter24add_rmsnorm_quant_kernelItaLi256ELi32ELb0ELb1ELb0ELi1EEEvPT0_PT_PfS4_S4_S4_diiiiiiib
	.p2align	8
	.type	_ZN5aiter24add_rmsnorm_quant_kernelItaLi256ELi32ELb0ELb1ELb0ELi1EEEvPT0_PT_PfS4_S4_S4_diiiiiiib,@function
_ZN5aiter24add_rmsnorm_quant_kernelItaLi256ELi32ELb0ELb1ELb0ELi1EEEvPT0_PT_PfS4_S4_S4_diiiiiiib: ; @_ZN5aiter24add_rmsnorm_quant_kernelItaLi256ELi32ELb0ELb1ELb0ELi1EEEvPT0_PT_PfS4_S4_S4_diiiiiiib
; %bb.0:
	s_load_dwordx4 s[8:11], s[4:5], 0x38
	s_mov_b32 s7, 0
	s_waitcnt lgkmcnt(0)
	s_ashr_i32 s0, s8, 31
	v_mov_b32_e32 v2, s8
	v_mov_b32_e32 v3, s0
	v_cmp_ge_i64_e32 vcc, s[6:7], v[2:3]
	s_cbranch_vccnz .LBB112_49
; %bb.1:
	s_load_dwordx4 s[12:15], s[4:5], 0x10
	s_load_dwordx4 s[0:3], s[4:5], 0x28
	s_ashr_i32 s11, s10, 31
	s_mul_hi_u32 s16, s10, s6
	s_mul_i32 s11, s11, s6
	s_add_i32 s11, s16, s11
	s_mul_i32 s10, s10, s6
	s_lshl_b64 s[10:11], s[10:11], 1
	s_waitcnt lgkmcnt(0)
	s_add_u32 s16, s14, s10
	s_addc_u32 s10, s15, s11
	s_add_i32 s11, s9, 1
	s_lshr_b32 s14, s11, 31
	s_add_i32 s11, s11, s14
	s_lshl_b32 s11, s11, 1
	s_and_b32 s18, s11, -4
	s_and_b32 s17, s10, 0xffff
	s_mov_b32 s19, 0x20000
	v_lshlrev_b32_e32 v1, 6, v0
	buffer_load_dwordx4 v[30:33], v1, s[16:19], 0 offen
	buffer_load_dwordx4 v[26:29], v1, s[16:19], 16 offen
	;; [unrolled: 1-line block ×4, first 2 shown]
	s_mov_b32 s16, s0
	s_and_b32 s17, s1, 0xffff
	buffer_load_dwordx4 v[14:17], v1, s[16:19], 0 offen
	buffer_load_dwordx4 v[10:13], v1, s[16:19], 16 offen
	;; [unrolled: 1-line block ×4, first 2 shown]
	v_and_b32_e32 v60, 63, v0
	v_cmp_eq_u32_e64 s[0:1], 63, v60
	s_waitcnt vmcnt(7)
	v_cvt_f32_u32_sdwa v51, v30 dst_sel:DWORD dst_unused:UNUSED_PAD src0_sel:WORD_1
	v_cvt_f32_u32_sdwa v50, v30 dst_sel:DWORD dst_unused:UNUSED_PAD src0_sel:WORD_0
	v_cvt_f32_u32_sdwa v49, v31 dst_sel:DWORD dst_unused:UNUSED_PAD src0_sel:WORD_1
	v_cvt_f32_u32_sdwa v48, v31 dst_sel:DWORD dst_unused:UNUSED_PAD src0_sel:WORD_0
	v_cvt_f32_u32_sdwa v47, v32 dst_sel:DWORD dst_unused:UNUSED_PAD src0_sel:WORD_1
	v_cvt_f32_u32_sdwa v46, v32 dst_sel:DWORD dst_unused:UNUSED_PAD src0_sel:WORD_0
	v_cvt_f32_u32_sdwa v45, v33 dst_sel:DWORD dst_unused:UNUSED_PAD src0_sel:WORD_1
	v_cvt_f32_u32_sdwa v44, v33 dst_sel:DWORD dst_unused:UNUSED_PAD src0_sel:WORD_0
	s_waitcnt vmcnt(6)
	v_cvt_f32_u32_sdwa v43, v26 dst_sel:DWORD dst_unused:UNUSED_PAD src0_sel:WORD_1
	v_cvt_f32_u32_sdwa v42, v26 dst_sel:DWORD dst_unused:UNUSED_PAD src0_sel:WORD_0
	v_cvt_f32_u32_sdwa v41, v27 dst_sel:DWORD dst_unused:UNUSED_PAD src0_sel:WORD_1
	v_cvt_f32_u32_sdwa v40, v27 dst_sel:DWORD dst_unused:UNUSED_PAD src0_sel:WORD_0
	v_cvt_f32_u32_sdwa v39, v28 dst_sel:DWORD dst_unused:UNUSED_PAD src0_sel:WORD_1
	v_cvt_f32_u32_sdwa v38, v28 dst_sel:DWORD dst_unused:UNUSED_PAD src0_sel:WORD_0
	v_cvt_f32_u32_sdwa v37, v29 dst_sel:DWORD dst_unused:UNUSED_PAD src0_sel:WORD_1
	v_cvt_f32_u32_sdwa v36, v29 dst_sel:DWORD dst_unused:UNUSED_PAD src0_sel:WORD_0
	;; [unrolled: 9-line block ×4, first 2 shown]
	v_pk_mul_f32 v[20:21], v[50:51], v[50:51]
	v_pk_mul_f32 v[52:53], v[48:49], v[48:49]
	v_add_f32_e32 v1, v20, v21
	v_add_f32_e32 v1, v52, v1
	v_pk_mul_f32 v[54:55], v[46:47], v[46:47]
	v_add_f32_e32 v1, v53, v1
	v_add_f32_e32 v1, v54, v1
	v_pk_mul_f32 v[56:57], v[44:45], v[44:45]
	v_add_f32_e32 v1, v55, v1
	v_add_f32_e32 v1, v56, v1
	v_pk_mul_f32 v[58:59], v[42:43], v[42:43]
	v_add_f32_e32 v1, v57, v1
	v_add_f32_e32 v1, v58, v1
	v_pk_mul_f32 v[20:21], v[40:41], v[40:41]
	v_add_f32_e32 v1, v59, v1
	v_add_f32_e32 v1, v20, v1
	v_pk_mul_f32 v[52:53], v[38:39], v[38:39]
	v_add_f32_e32 v1, v21, v1
	v_add_f32_e32 v1, v52, v1
	v_pk_mul_f32 v[54:55], v[36:37], v[36:37]
	v_add_f32_e32 v1, v53, v1
	v_add_f32_e32 v1, v54, v1
	v_pk_mul_f32 v[56:57], v[34:35], v[34:35]
	v_add_f32_e32 v1, v55, v1
	v_add_f32_e32 v1, v56, v1
	v_pk_mul_f32 v[20:21], v[32:33], v[32:33]
	v_add_f32_e32 v1, v57, v1
	v_add_f32_e32 v1, v20, v1
	v_pk_mul_f32 v[52:53], v[30:31], v[30:31]
	v_add_f32_e32 v1, v21, v1
	v_add_f32_e32 v1, v52, v1
	v_pk_mul_f32 v[54:55], v[28:29], v[28:29]
	v_add_f32_e32 v1, v53, v1
	v_add_f32_e32 v1, v54, v1
	v_pk_mul_f32 v[56:57], v[26:27], v[26:27]
	v_add_f32_e32 v1, v55, v1
	v_add_f32_e32 v1, v56, v1
	v_pk_mul_f32 v[20:21], v[24:25], v[24:25]
	v_add_f32_e32 v1, v57, v1
	v_add_f32_e32 v1, v20, v1
	v_pk_mul_f32 v[52:53], v[22:23], v[22:23]
	v_add_f32_e32 v1, v21, v1
	v_add_f32_e32 v1, v52, v1
	v_pk_mul_f32 v[54:55], v[18:19], v[18:19]
	v_add_f32_e32 v1, v53, v1
	v_add_f32_e32 v1, v54, v1
	v_add_f32_e32 v1, v55, v1
	s_nop 1
	v_mov_b32_dpp v20, v1 quad_perm:[1,0,3,2] row_mask:0xf bank_mask:0xf
	v_add_f32_e32 v1, v1, v20
	s_nop 1
	v_mov_b32_dpp v20, v1 quad_perm:[2,3,0,1] row_mask:0xf bank_mask:0xf
	v_add_f32_e32 v1, v1, v20
	s_nop 1
	v_mov_b32_dpp v20, v1 row_half_mirror row_mask:0xf bank_mask:0xf
	v_add_f32_e32 v1, v1, v20
	s_nop 1
	v_mov_b32_dpp v20, v1 row_mirror row_mask:0xf bank_mask:0xf
	v_add_f32_e32 v1, v1, v20
	s_nop 1
	v_mov_b32_dpp v20, v1 row_bcast:15 row_mask:0xf bank_mask:0xf
	v_add_f32_e32 v1, v1, v20
	s_nop 1
	v_mov_b32_dpp v20, v1 row_bcast:31 row_mask:0xf bank_mask:0xf
	s_and_saveexec_b64 s[10:11], s[0:1]
	s_cbranch_execz .LBB112_3
; %bb.2:
	v_lshrrev_b32_e32 v21, 4, v0
	v_and_b32_e32 v21, 60, v21
	v_add_f32_e32 v1, v1, v20
	ds_write_b32 v21, v1 offset:16
.LBB112_3:
	s_or_b64 exec, exec, s[10:11]
	v_and_b32_e32 v1, 3, v0
	v_lshlrev_b32_e32 v52, 2, v1
	s_waitcnt lgkmcnt(0)
	s_barrier
	ds_read_b32 v1, v52 offset:16
	v_cvt_f32_i32_e32 v20, s9
	s_waitcnt lgkmcnt(0)
	v_mov_b32_dpp v21, v1 quad_perm:[1,0,3,2] row_mask:0xf bank_mask:0xf
	v_add_f32_e32 v1, v1, v21
	s_nop 1
	v_mov_b32_dpp v21, v1 quad_perm:[2,3,0,1] row_mask:0xf bank_mask:0xf
	v_add_f32_e32 v1, v1, v21
	v_div_scale_f32 v21, s[10:11], v20, v20, v1
	v_rcp_f32_e32 v53, v21
	v_div_scale_f32 v54, vcc, v1, v20, v1
	s_load_dwordx2 s[10:11], s[4:5], 0x4c
	s_load_dword s14, s[4:5], 0x54
	v_fma_f32 v55, -v21, v53, 1.0
	v_fmac_f32_e32 v53, v55, v53
	v_mul_f32_e32 v55, v54, v53
	v_fma_f32 v56, -v21, v55, v54
	v_fmac_f32_e32 v55, v56, v53
	v_fma_f32 v21, -v21, v55, v54
	v_div_fmas_f32 v21, v21, v53, v55
	v_div_fixup_f32 v1, v21, v20, v1
	v_cvt_f64_f32_e32 v[20:21], v1
	v_add_f64 v[20:21], v[20:21], s[2:3]
	v_cvt_f32_f64_e32 v1, v[20:21]
	s_mov_b32 s2, 0x800000
	v_mul_f32_e32 v20, 0x4b800000, v1
	v_cmp_gt_f32_e32 vcc, s2, v1
	v_cndmask_b32_e32 v1, v1, v20, vcc
	v_rsq_f32_e32 v20, v1
	v_lshlrev_b32_e32 v1, 5, v0
	s_waitcnt lgkmcnt(0)
	s_cmp_lg_u32 s11, 0
	v_mul_f32_e32 v21, 0x45800000, v20
	v_cndmask_b32_e32 v20, v20, v21, vcc
	v_mov_b32_e32 v21, v20
	;;#ASMSTART
	v_pk_mul_f32 v[50:51], v[50:51], v[20:21]
	;;#ASMEND
	;;#ASMSTART
	v_pk_mul_f32 v[48:49], v[48:49], v[20:21]
	;;#ASMEND
	;; [unrolled: 3-line block ×16, first 2 shown]
	s_waitcnt vmcnt(3)
	v_cvt_f32_u32_sdwa v21, v15 dst_sel:DWORD dst_unused:UNUSED_PAD src0_sel:WORD_1
	v_cvt_f32_u32_sdwa v20, v15 dst_sel:DWORD dst_unused:UNUSED_PAD src0_sel:WORD_0
	v_cvt_f32_u32_sdwa v19, v14 dst_sel:DWORD dst_unused:UNUSED_PAD src0_sel:WORD_1
	v_cvt_f32_u32_sdwa v18, v14 dst_sel:DWORD dst_unused:UNUSED_PAD src0_sel:WORD_0
	;; [unrolled: 2-line block ×4, first 2 shown]
	;;#ASMSTART
	v_pk_mul_f32 v[24:25], v[50:51], v[18:19]
	;;#ASMEND
	;;#ASMSTART
	v_pk_mul_f32 v[22:23], v[48:49], v[20:21]
	;;#ASMEND
	s_waitcnt vmcnt(2)
	v_cvt_f32_u32_sdwa v17, v10 dst_sel:DWORD dst_unused:UNUSED_PAD src0_sel:WORD_1
	v_cvt_f32_u32_sdwa v16, v10 dst_sel:DWORD dst_unused:UNUSED_PAD src0_sel:WORD_0
	v_cvt_f32_u32_sdwa v21, v11 dst_sel:DWORD dst_unused:UNUSED_PAD src0_sel:WORD_1
	v_cvt_f32_u32_sdwa v20, v11 dst_sel:DWORD dst_unused:UNUSED_PAD src0_sel:WORD_0
	;; [unrolled: 2-line block ×3, first 2 shown]
	;;#ASMSTART
	v_pk_mul_f32 v[18:19], v[46:47], v[14:15]
	;;#ASMEND
	;;#ASMSTART
	v_pk_mul_f32 v[14:15], v[44:45], v[26:27]
	;;#ASMEND
	v_cvt_f32_u32_sdwa v27, v13 dst_sel:DWORD dst_unused:UNUSED_PAD src0_sel:WORD_1
	v_cvt_f32_u32_sdwa v26, v13 dst_sel:DWORD dst_unused:UNUSED_PAD src0_sel:WORD_0
	;;#ASMSTART
	v_pk_mul_f32 v[32:33], v[42:43], v[16:17]
	;;#ASMEND
	;;#ASMSTART
	v_pk_mul_f32 v[30:31], v[40:41], v[20:21]
	;;#ASMEND
	;; [unrolled: 3-line block ×3, first 2 shown]
	s_waitcnt vmcnt(1)
	v_cvt_f32_u32_sdwa v11, v6 dst_sel:DWORD dst_unused:UNUSED_PAD src0_sel:WORD_1
	v_cvt_f32_u32_sdwa v10, v6 dst_sel:DWORD dst_unused:UNUSED_PAD src0_sel:WORD_0
	;;#ASMSTART
	v_pk_mul_f32 v[26:27], v[36:37], v[26:27]
	;;#ASMEND
	v_cvt_f32_u32_sdwa v13, v7 dst_sel:DWORD dst_unused:UNUSED_PAD src0_sel:WORD_1
	v_cvt_f32_u32_sdwa v12, v7 dst_sel:DWORD dst_unused:UNUSED_PAD src0_sel:WORD_0
	v_cvt_f32_u32_sdwa v7, v8 dst_sel:DWORD dst_unused:UNUSED_PAD src0_sel:WORD_1
	v_cvt_f32_u32_sdwa v6, v8 dst_sel:DWORD dst_unused:UNUSED_PAD src0_sel:WORD_0
	;; [unrolled: 2-line block ×3, first 2 shown]
	;;#ASMSTART
	v_pk_mul_f32 v[20:21], v[34:35], v[10:11]
	;;#ASMEND
	s_waitcnt vmcnt(0)
	v_cvt_f32_u32_sdwa v11, v2 dst_sel:DWORD dst_unused:UNUSED_PAD src0_sel:WORD_1
	v_cvt_f32_u32_sdwa v10, v2 dst_sel:DWORD dst_unused:UNUSED_PAD src0_sel:WORD_0
	v_cvt_f32_u32_sdwa v35, v3 dst_sel:DWORD dst_unused:UNUSED_PAD src0_sel:WORD_1
	v_cvt_f32_u32_sdwa v34, v3 dst_sel:DWORD dst_unused:UNUSED_PAD src0_sel:WORD_0
	;; [unrolled: 2-line block ×3, first 2 shown]
	v_cvt_f32_u32_sdwa v36, v5 dst_sel:DWORD dst_unused:UNUSED_PAD src0_sel:WORD_0
	;;#ASMSTART
	v_pk_mul_f32 v[12:13], v[54:55], v[12:13]
	;;#ASMEND
	;;#ASMSTART
	v_pk_mul_f32 v[8:9], v[56:57], v[6:7]
	;;#ASMEND
	;; [unrolled: 3-line block ×3, first 2 shown]
	v_cvt_f32_u32_sdwa v37, v5 dst_sel:DWORD dst_unused:UNUSED_PAD src0_sel:WORD_1
	;;#ASMSTART
	v_pk_mul_f32 v[16:17], v[60:61], v[10:11]
	;;#ASMEND
	;;#ASMSTART
	v_pk_mul_f32 v[10:11], v[62:63], v[34:35]
	;;#ASMEND
	;;#ASMSTART
	v_pk_mul_f32 v[4:5], v[64:65], v[2:3]
	;;#ASMEND
	;;#ASMSTART
	v_pk_mul_f32 v[2:3], v[66:67], v[36:37]
	;;#ASMEND
	v_and_b32_e32 v34, 0x7fffffff, v24
	v_mov_b32_e32 v36, 0x2edbe6ff
	v_and_b32_e32 v35, 0x7fffffff, v25
	;;#ASMSTART
	v_max3_f32 v34, v36, v34, v35

	;;#ASMEND
	v_and_b32_e32 v36, 0x7fffffff, v23
	v_and_b32_e32 v35, 0x7fffffff, v22
	;;#ASMSTART
	v_max3_f32 v34, v34, v35, v36

	;;#ASMEND
	v_and_b32_e32 v36, 0x7fffffff, v19
	;; [unrolled: 6-line block ×15, first 2 shown]
	v_and_b32_e32 v35, 0x7fffffff, v2
	;;#ASMSTART
	v_max3_f32 v36, v34, v35, v36

	;;#ASMEND
	s_cbranch_scc0 .LBB112_10
; %bb.4:
	s_ashr_i32 s15, s11, 31
	s_lshr_b32 s2, s15, 27
	s_add_i32 s2, s11, s2
	s_ashr_i32 s18, s2, 5
	s_cmp_lt_i32 s18, 16
	s_cbranch_scc1 .LBB112_11
; %bb.5:
	s_cmp_lt_i32 s18, 32
	s_cbranch_scc1 .LBB112_12
; %bb.6:
	;; [unrolled: 3-line block ×3, first 2 shown]
	s_cmp_eq_u32 s18, 64
	v_mov_b32_e32 v34, v36
	s_cbranch_scc0 .LBB112_9
; %bb.8:
	s_nop 0
	v_mov_b32_dpp v34, v36 quad_perm:[1,0,3,2] row_mask:0xf bank_mask:0xf
	v_cmp_gt_f32_e32 vcc, v36, v34
	v_cndmask_b32_e32 v34, v34, v36, vcc
	v_bfrev_b32_e32 v37, 0.5
	s_nop 0
	v_mov_b32_dpp v35, v34 quad_perm:[2,3,0,1] row_mask:0xf bank_mask:0xf
	v_cmp_gt_f32_e32 vcc, v34, v35
	v_cndmask_b32_e32 v34, v35, v34, vcc
	s_nop 1
	v_mov_b32_dpp v35, v34 row_ror:4 row_mask:0xf bank_mask:0xf
	v_cmp_gt_f32_e32 vcc, v34, v35
	v_cndmask_b32_e32 v34, v35, v34, vcc
	s_nop 1
	v_mov_b32_dpp v35, v34 row_ror:8 row_mask:0xf bank_mask:0xf
	v_cmp_gt_f32_e32 vcc, v34, v35
	v_cndmask_b32_e32 v34, v35, v34, vcc
	s_nop 1
	v_mov_b32_dpp v35, v34 row_bcast:15 row_mask:0xf bank_mask:0xf
	v_cmp_gt_f32_e32 vcc, v34, v35
	v_cndmask_b32_e32 v34, v35, v34, vcc
	s_nop 1
	v_mov_b32_dpp v35, v34 row_bcast:31 row_mask:0xf bank_mask:0xf
	v_cmp_gt_f32_e32 vcc, v34, v35
	v_cndmask_b32_e32 v34, v35, v34, vcc
	v_mbcnt_lo_u32_b32 v35, -1, 0
	v_mbcnt_hi_u32_b32 v35, -1, v35
	v_lshl_or_b32 v35, v35, 2, v37
	ds_bpermute_b32 v34, v35, v34
.LBB112_9:
	s_mov_b64 s[2:3], 0
	s_branch .LBB112_14
.LBB112_10:
	s_mov_b64 s[2:3], 0
                                        ; implicit-def: $vgpr37
                                        ; implicit-def: $vgpr34_vgpr35
	s_cbranch_execnz .LBB112_43
	s_branch .LBB112_46
.LBB112_11:
                                        ; implicit-def: $vgpr34
	s_branch .LBB112_21
.LBB112_12:
                                        ; implicit-def: $vgpr34
	s_branch .LBB112_18
.LBB112_13:
	s_mov_b64 s[2:3], -1
                                        ; implicit-def: $vgpr34
.LBB112_14:
	s_andn2_b64 vcc, exec, s[2:3]
	s_cbranch_vccnz .LBB112_17
; %bb.15:
	s_cmp_eq_u32 s18, 32
	s_waitcnt lgkmcnt(0)
	v_mov_b32_e32 v34, v36
	s_cbranch_scc0 .LBB112_17
; %bb.16:
	s_nop 0
	v_mov_b32_dpp v34, v36 quad_perm:[1,0,3,2] row_mask:0xf bank_mask:0xf
	v_cmp_gt_f32_e32 vcc, v36, v34
	v_cndmask_b32_e32 v34, v34, v36, vcc
	v_mov_b32_e32 v37, 0x7c
	s_nop 0
	v_mov_b32_dpp v35, v34 quad_perm:[2,3,0,1] row_mask:0xf bank_mask:0xf
	v_cmp_gt_f32_e32 vcc, v34, v35
	v_cndmask_b32_e32 v34, v35, v34, vcc
	s_nop 1
	v_mov_b32_dpp v35, v34 row_half_mirror row_mask:0xf bank_mask:0xf
	v_cmp_gt_f32_e32 vcc, v34, v35
	v_cndmask_b32_e32 v34, v35, v34, vcc
	s_nop 1
	v_mov_b32_dpp v35, v34 row_mirror row_mask:0xf bank_mask:0xf
	v_cmp_gt_f32_e32 vcc, v34, v35
	v_cndmask_b32_e32 v34, v35, v34, vcc
	s_nop 1
	v_mov_b32_dpp v35, v34 row_bcast:15 row_mask:0xa bank_mask:0xf
	v_cmp_gt_f32_e32 vcc, v34, v35
	v_cndmask_b32_e32 v34, v35, v34, vcc
	v_mbcnt_lo_u32_b32 v35, -1, 0
	v_mbcnt_hi_u32_b32 v35, -1, v35
	v_lshl_or_b32 v35, v35, 2, v37
	ds_bpermute_b32 v34, v35, v34
.LBB112_17:
	s_cbranch_execnz .LBB112_20
.LBB112_18:
	s_cmp_eq_u32 s18, 16
	s_waitcnt lgkmcnt(0)
	v_mov_b32_e32 v34, v36
	s_cbranch_scc0 .LBB112_20
; %bb.19:
	s_nop 0
	v_mov_b32_dpp v34, v36 quad_perm:[1,0,3,2] row_mask:0xf bank_mask:0xf
	v_cmp_gt_f32_e32 vcc, v36, v34
	v_cndmask_b32_e32 v34, v34, v36, vcc
	s_nop 1
	v_mov_b32_dpp v35, v34 quad_perm:[2,3,0,1] row_mask:0xf bank_mask:0xf
	v_cmp_gt_f32_e32 vcc, v34, v35
	v_cndmask_b32_e32 v34, v35, v34, vcc
	s_nop 1
	v_mov_b32_dpp v35, v34 row_half_mirror row_mask:0xf bank_mask:0xf
	v_cmp_gt_f32_e32 vcc, v34, v35
	v_cndmask_b32_e32 v34, v35, v34, vcc
	s_nop 1
	v_mov_b32_dpp v35, v34 row_mirror row_mask:0xf bank_mask:0xf
	v_cmp_gt_f32_e32 vcc, v34, v35
	v_cndmask_b32_e32 v34, v35, v34, vcc
.LBB112_20:
	s_cbranch_execnz .LBB112_33
.LBB112_21:
	s_cmp_lt_i32 s18, 4
	s_cbranch_scc1 .LBB112_25
; %bb.22:
	s_cmp_lt_i32 s18, 8
	s_cbranch_scc1 .LBB112_26
; %bb.23:
	s_cmp_eq_u32 s18, 8
	s_waitcnt lgkmcnt(0)
	v_mov_b32_e32 v34, v36
	s_cbranch_scc0 .LBB112_27
; %bb.24:
	s_nop 0
	v_mov_b32_dpp v34, v36 quad_perm:[1,0,3,2] row_mask:0xf bank_mask:0xf
	v_cmp_gt_f32_e32 vcc, v36, v34
	v_cndmask_b32_e32 v34, v34, v36, vcc
	s_nop 1
	v_mov_b32_dpp v35, v34 quad_perm:[2,3,0,1] row_mask:0xf bank_mask:0xf
	v_cmp_gt_f32_e32 vcc, v34, v35
	v_cndmask_b32_e32 v34, v35, v34, vcc
	s_nop 1
	v_mov_b32_dpp v35, v34 row_half_mirror row_mask:0xf bank_mask:0xf
	v_cmp_gt_f32_e32 vcc, v34, v35
	v_cndmask_b32_e32 v34, v35, v34, vcc
	s_cbranch_execz .LBB112_28
	s_branch .LBB112_30
.LBB112_25:
                                        ; implicit-def: $vgpr34
	s_branch .LBB112_31
.LBB112_26:
                                        ; implicit-def: $vgpr34
	s_branch .LBB112_28
.LBB112_27:
	s_cbranch_execnz .LBB112_30
.LBB112_28:
	s_cmp_eq_u32 s18, 4
	s_waitcnt lgkmcnt(0)
	v_mov_b32_e32 v34, v36
	s_cbranch_scc0 .LBB112_30
; %bb.29:
	s_nop 0
	v_mov_b32_dpp v34, v36 quad_perm:[1,0,3,2] row_mask:0xf bank_mask:0xf
	v_cmp_gt_f32_e32 vcc, v36, v34
	v_cndmask_b32_e32 v34, v34, v36, vcc
	s_nop 1
	v_mov_b32_dpp v35, v34 quad_perm:[2,3,0,1] row_mask:0xf bank_mask:0xf
	v_cmp_gt_f32_e32 vcc, v34, v35
	v_cndmask_b32_e32 v34, v35, v34, vcc
.LBB112_30:
	s_cbranch_execnz .LBB112_33
.LBB112_31:
	s_cmp_lg_u32 s18, 2
	s_waitcnt lgkmcnt(0)
	v_mov_b32_e32 v34, v36
	s_cbranch_scc1 .LBB112_33
; %bb.32:
	s_nop 0
	v_mov_b32_dpp v34, v36 quad_perm:[1,0,3,2] row_mask:0xf bank_mask:0xf
	v_cmp_gt_f32_e32 vcc, v36, v34
	v_cndmask_b32_e32 v34, v34, v36, vcc
.LBB112_33:
	v_cvt_f32_u32_e32 v35, s18
	s_waitcnt lgkmcnt(0)
	v_mul_f32_e32 v37, 0x3c010204, v34
	s_sub_i32 s2, 0, s18
	v_cmp_gt_u32_e32 vcc, s9, v1
	v_rcp_iflag_f32_e32 v35, v35
	s_mov_b64 s[16:17], 0
	v_mul_f32_e32 v34, 0x4f7ffffe, v35
	v_cvt_u32_f32_e32 v34, v34
	v_mul_lo_u32 v35, s2, v34
	v_mul_hi_u32 v35, v34, v35
	v_add_u32_e32 v34, v34, v35
	v_mul_hi_u32 v34, v0, v34
	v_mul_lo_u32 v35, v34, s18
	v_sub_u32_e32 v35, v0, v35
	v_add_u32_e32 v38, 1, v34
	v_cmp_le_u32_e64 s[2:3], s18, v35
	v_cndmask_b32_e64 v34, v34, v38, s[2:3]
	v_subrev_u32_e32 v38, s18, v35
	v_cndmask_b32_e64 v35, v35, v38, s[2:3]
	v_add_u32_e32 v38, 1, v34
	v_cmp_le_u32_e64 s[2:3], s18, v35
	v_cndmask_b32_e64 v38, v34, v38, s[2:3]
	v_mul_lo_u32 v34, v38, s18
	v_sub_u32_e32 v34, v0, v34
	v_cmp_eq_u32_e64 s[2:3], 0, v34
	s_and_b64 s[18:19], s[2:3], vcc
	s_mov_b64 s[2:3], 0
                                        ; implicit-def: $vgpr34_vgpr35
	s_and_saveexec_b64 s[20:21], s[18:19]
	s_xor_b64 s[18:19], exec, s[20:21]
	s_cbranch_execz .LBB112_42
; %bb.34:
	s_bitcmp0_b32 s14, 0
	s_cbranch_scc0 .LBB112_39
; %bb.35:
	s_ashr_i32 s2, s9, 31
	s_mul_hi_u32 s3, s9, s6
	s_mul_i32 s2, s2, s6
	s_add_i32 s21, s3, s2
	s_mul_i32 s20, s9, s6
	s_mov_b32 s14, s11
	s_or_b64 s[2:3], s[20:21], s[14:15]
	s_mov_b32 s2, 0
	s_cmp_lg_u64 s[2:3], 0
	s_cbranch_scc0 .LBB112_50
; %bb.36:
	s_add_u32 s2, s14, s15
	s_mov_b32 s24, s15
	s_mov_b32 s25, s15
	s_addc_u32 s3, s15, s15
	s_xor_b64 s[26:27], s[2:3], s[24:25]
	v_cvt_f32_u32_e32 v34, s26
	v_cvt_f32_u32_e32 v35, s27
	s_sub_u32 s2, 0, s26
	s_subb_u32 s3, 0, s27
	v_madmk_f32 v34, v35, 0x4f800000, v34
	v_rcp_f32_e32 v34, v34
	v_mul_f32_e32 v34, 0x5f7ffffc, v34
	v_mul_f32_e32 v35, 0x2f800000, v34
	v_trunc_f32_e32 v35, v35
	v_madmk_f32 v34, v35, 0xcf800000, v34
	v_cvt_u32_f32_e32 v35, v35
	v_cvt_u32_f32_e32 v34, v34
	v_readfirstlane_b32 s11, v35
	v_readfirstlane_b32 s15, v34
	s_mul_i32 s28, s2, s11
	s_mul_hi_u32 s30, s2, s15
	s_mul_i32 s29, s3, s15
	s_add_i32 s28, s30, s28
	s_add_i32 s28, s28, s29
	s_mul_i32 s31, s2, s15
	s_mul_hi_u32 s29, s15, s28
	s_mul_i32 s30, s15, s28
	s_mul_hi_u32 s15, s15, s31
	s_add_u32 s15, s15, s30
	s_addc_u32 s29, 0, s29
	s_mul_hi_u32 s33, s11, s31
	s_mul_i32 s31, s11, s31
	s_add_u32 s15, s15, s31
	s_mul_hi_u32 s30, s11, s28
	s_addc_u32 s15, s29, s33
	s_addc_u32 s29, s30, 0
	s_mul_i32 s28, s11, s28
	s_add_u32 s15, s15, s28
	s_addc_u32 s28, 0, s29
	v_add_co_u32_e32 v34, vcc, s15, v34
	s_cmp_lg_u64 vcc, 0
	s_addc_u32 s11, s11, s28
	v_readfirstlane_b32 s28, v34
	s_mul_i32 s15, s2, s11
	s_mul_hi_u32 s29, s2, s28
	s_add_i32 s15, s29, s15
	s_mul_i32 s3, s3, s28
	s_add_i32 s15, s15, s3
	s_mul_i32 s2, s2, s28
	s_mul_hi_u32 s29, s11, s2
	s_mul_i32 s30, s11, s2
	s_mul_i32 s33, s28, s15
	s_mul_hi_u32 s2, s28, s2
	s_mul_hi_u32 s31, s28, s15
	s_add_u32 s2, s2, s33
	s_addc_u32 s28, 0, s31
	s_add_u32 s2, s2, s30
	s_mul_hi_u32 s3, s11, s15
	s_addc_u32 s2, s28, s29
	s_addc_u32 s3, s3, 0
	s_mul_i32 s15, s11, s15
	s_add_u32 s2, s2, s15
	s_addc_u32 s3, 0, s3
	v_add_co_u32_e32 v34, vcc, s2, v34
	s_cmp_lg_u64 vcc, 0
	s_addc_u32 s11, s11, s3
	s_ashr_i32 s28, s21, 31
	s_add_u32 s2, s20, s28
	s_mov_b32 s29, s28
	s_addc_u32 s3, s21, s28
	s_xor_b64 s[30:31], s[2:3], s[28:29]
	v_readfirstlane_b32 s15, v34
	s_mul_i32 s3, s30, s11
	s_mul_hi_u32 s21, s30, s15
	s_mul_hi_u32 s2, s30, s11
	s_add_u32 s3, s21, s3
	s_addc_u32 s2, 0, s2
	s_mul_hi_u32 s33, s31, s15
	s_mul_i32 s15, s31, s15
	s_add_u32 s3, s3, s15
	s_mul_hi_u32 s21, s31, s11
	s_addc_u32 s2, s2, s33
	s_addc_u32 s3, s21, 0
	s_mul_i32 s11, s31, s11
	s_add_u32 s11, s2, s11
	s_addc_u32 s15, 0, s3
	s_mul_i32 s2, s26, s15
	s_mul_hi_u32 s3, s26, s11
	s_add_i32 s2, s3, s2
	s_mul_i32 s3, s27, s11
	s_add_i32 s21, s2, s3
	s_mul_i32 s3, s26, s11
	v_mov_b32_e32 v34, s3
	s_sub_i32 s2, s31, s21
	v_sub_co_u32_e32 v34, vcc, s30, v34
	s_cmp_lg_u64 vcc, 0
	s_subb_u32 s30, s2, s27
	v_subrev_co_u32_e64 v35, s[2:3], s26, v34
	s_cmp_lg_u64 s[2:3], 0
	s_subb_u32 s30, s30, 0
	s_cmp_ge_u32 s30, s27
	s_cselect_b32 s33, -1, 0
	v_cmp_le_u32_e64 s[2:3], s26, v35
	s_cmp_eq_u32 s30, s27
	v_cndmask_b32_e64 v35, 0, -1, s[2:3]
	v_mov_b32_e32 v39, s33
	s_cselect_b64 s[2:3], -1, 0
	v_cndmask_b32_e64 v35, v39, v35, s[2:3]
	s_add_u32 s2, s11, 1
	s_addc_u32 s30, s15, 0
	s_add_u32 s3, s11, 2
	s_addc_u32 s33, s15, 0
	v_mov_b32_e32 v39, s2
	v_mov_b32_e32 v40, s3
	v_cmp_ne_u32_e64 s[2:3], 0, v35
	v_cndmask_b32_e64 v35, v39, v40, s[2:3]
	v_mov_b32_e32 v39, s30
	v_mov_b32_e32 v40, s33
	s_cmp_lg_u64 vcc, 0
	v_cndmask_b32_e64 v39, v39, v40, s[2:3]
	s_subb_u32 s2, s31, s21
	s_cmp_ge_u32 s2, s27
	s_cselect_b32 s3, -1, 0
	v_cmp_le_u32_e32 vcc, s26, v34
	s_cmp_eq_u32 s2, s27
	v_cndmask_b32_e64 v34, 0, -1, vcc
	v_mov_b32_e32 v40, s3
	s_cselect_b64 vcc, -1, 0
	v_cndmask_b32_e32 v34, v40, v34, vcc
	v_mov_b32_e32 v40, s15
	v_cmp_ne_u32_e32 vcc, 0, v34
	v_cndmask_b32_e32 v34, v40, v39, vcc
	v_mov_b32_e32 v39, s11
	v_cndmask_b32_e32 v35, v39, v35, vcc
	s_xor_b64 s[2:3], s[28:29], s[24:25]
	v_xor_b32_e32 v35, s2, v35
	v_xor_b32_e32 v39, s3, v34
	v_mov_b32_e32 v40, s3
	v_subrev_co_u32_e32 v34, vcc, s2, v35
	v_subb_co_u32_e32 v35, vcc, v39, v40, vcc
	s_cbranch_execnz .LBB112_38
.LBB112_37:
	v_cvt_f32_u32_e32 v34, s14
	s_sub_i32 s2, 0, s14
	s_mov_b32 s3, 0
	v_rcp_iflag_f32_e32 v34, v34
	v_mul_f32_e32 v34, 0x4f7ffffe, v34
	v_cvt_u32_f32_e32 v34, v34
	v_readfirstlane_b32 s11, v34
	s_mul_i32 s2, s2, s11
	s_mul_hi_u32 s2, s11, s2
	s_add_i32 s11, s11, s2
	s_mul_hi_u32 s2, s20, s11
	s_mul_i32 s15, s2, s14
	s_sub_i32 s15, s20, s15
	s_add_i32 s11, s2, 1
	s_sub_i32 s20, s15, s14
	s_cmp_ge_u32 s15, s14
	s_cselect_b32 s2, s11, s2
	s_cselect_b32 s15, s20, s15
	s_add_i32 s11, s2, 1
	s_cmp_ge_u32 s15, s14
	s_cselect_b32 s2, s11, s2
	v_pk_mov_b32 v[34:35], s[2:3], s[2:3] op_sel:[0,1]
.LBB112_38:
	v_add_co_u32_e32 v34, vcc, v34, v38
	v_addc_co_u32_e32 v35, vcc, 0, v35, vcc
	s_branch .LBB112_41
.LBB112_39:
                                        ; implicit-def: $vgpr34_vgpr35
	s_cbranch_execz .LBB112_41
; %bb.40:
	v_mul_lo_u32 v34, v38, s8
	v_ashrrev_i32_e32 v35, 31, v34
	v_mov_b32_e32 v38, s7
	v_add_co_u32_e32 v34, vcc, s6, v34
	v_addc_co_u32_e32 v35, vcc, v35, v38, vcc
.LBB112_41:
	s_mov_b64 s[2:3], exec
.LBB112_42:
	s_or_b64 exec, exec, s[18:19]
	s_and_b64 vcc, exec, s[16:17]
	s_cbranch_vccz .LBB112_46
.LBB112_43:
	v_mov_b32_dpp v34, v36 quad_perm:[1,0,3,2] row_mask:0xf bank_mask:0xf
	v_cmp_gt_f32_e32 vcc, v36, v34
	v_cndmask_b32_e32 v34, v34, v36, vcc
	s_nop 1
	v_mov_b32_dpp v35, v34 quad_perm:[2,3,0,1] row_mask:0xf bank_mask:0xf
	v_cmp_gt_f32_e32 vcc, v34, v35
	v_cndmask_b32_e32 v34, v35, v34, vcc
	s_nop 1
	v_mov_b32_dpp v35, v34 row_half_mirror row_mask:0xf bank_mask:0xf
	v_cmp_gt_f32_e32 vcc, v34, v35
	v_cndmask_b32_e32 v34, v35, v34, vcc
	s_nop 1
	v_mov_b32_dpp v35, v34 row_mirror row_mask:0xf bank_mask:0xf
	v_cmp_gt_f32_e32 vcc, v34, v35
	v_cndmask_b32_e32 v34, v35, v34, vcc
	s_nop 1
	v_mov_b32_dpp v35, v34 row_bcast:15 row_mask:0xf bank_mask:0xf
	v_cmp_gt_f32_e32 vcc, v34, v35
	v_cndmask_b32_e32 v34, v35, v34, vcc
	s_nop 1
	v_mov_b32_dpp v35, v34 row_bcast:31 row_mask:0xf bank_mask:0xf
	s_and_saveexec_b64 s[2:3], s[0:1]
	s_cbranch_execz .LBB112_45
; %bb.44:
	v_lshrrev_b32_e32 v36, 4, v0
	v_cmp_gt_f32_e32 vcc, v34, v35
	v_and_b32_e32 v36, 60, v36
	v_cndmask_b32_e32 v34, v35, v34, vcc
	ds_write_b32 v36, v34
.LBB112_45:
	s_or_b64 exec, exec, s[2:3]
	s_waitcnt lgkmcnt(0)
	s_barrier
	ds_read_b32 v34, v52
	v_cmp_eq_u32_e64 s[2:3], 0, v0
	s_waitcnt lgkmcnt(0)
	v_mov_b32_dpp v35, v34 quad_perm:[1,0,3,2] row_mask:0xf bank_mask:0xf
	v_cmp_gt_f32_e32 vcc, v34, v35
	v_cndmask_b32_e32 v34, v35, v34, vcc
	s_nop 1
	v_mov_b32_dpp v35, v34 quad_perm:[2,3,0,1] row_mask:0xf bank_mask:0xf
	v_cmp_gt_f32_e32 vcc, v34, v35
	v_cndmask_b32_e32 v34, v35, v34, vcc
	v_mul_f32_e32 v37, 0x3c010204, v34
	v_pk_mov_b32 v[34:35], s[6:7], s[6:7] op_sel:[0,1]
.LBB112_46:
	s_and_saveexec_b64 s[0:1], s[2:3]
	s_cbranch_execz .LBB112_48
; %bb.47:
	v_lshlrev_b64 v[34:35], 2, v[34:35]
	v_mov_b32_e32 v0, s13
	v_add_co_u32_e32 v34, vcc, s12, v34
	v_addc_co_u32_e32 v35, vcc, v0, v35, vcc
	global_store_dword v[34:35], v37, off
.LBB112_48:
	s_or_b64 exec, exec, s[0:1]
	;;#ASMSTART
	v_rcp_f32 v34, v37
	;;#ASMEND
	v_mov_b32_e32 v35, v34
	;;#ASMSTART
	v_pk_mul_f32 v[24:25], v[24:25], v[34:35]
	;;#ASMEND
	;;#ASMSTART
	v_pk_mul_f32 v[22:23], v[22:23], v[34:35]
	;;#ASMEND
	;; [unrolled: 3-line block ×4, first 2 shown]
	v_cvt_i32_f32_e32 v0, v24
	v_cvt_i32_f32_sdwa v24, v25 dst_sel:BYTE_1 dst_unused:UNUSED_PAD src0_sel:DWORD
	v_cvt_i32_f32_e32 v25, v14
	v_cvt_i32_f32_sdwa v36, v15 dst_sel:BYTE_1 dst_unused:UNUSED_PAD src0_sel:DWORD
	;;#ASMSTART
	v_pk_mul_f32 v[14:15], v[32:33], v[34:35]
	;;#ASMEND
	s_add_i32 s2, s9, 3
	v_cvt_i32_f32_e32 v22, v22
	v_cvt_i32_f32_sdwa v23, v23 dst_sel:BYTE_1 dst_unused:UNUSED_PAD src0_sel:DWORD
	v_cvt_i32_f32_e32 v32, v14
	v_cvt_i32_f32_sdwa v33, v15 dst_sel:BYTE_1 dst_unused:UNUSED_PAD src0_sel:DWORD
	;;#ASMSTART
	v_pk_mul_f32 v[14:15], v[30:31], v[34:35]
	;;#ASMEND
	s_load_dwordx2 s[0:1], s[4:5], 0x0
	s_ashr_i32 s3, s2, 31
	v_cvt_i32_f32_e32 v18, v18
	v_cvt_i32_f32_sdwa v19, v19 dst_sel:BYTE_1 dst_unused:UNUSED_PAD src0_sel:DWORD
	v_cvt_i32_f32_e32 v30, v14
	v_cvt_i32_f32_sdwa v31, v15 dst_sel:BYTE_1 dst_unused:UNUSED_PAD src0_sel:DWORD
	;;#ASMSTART
	v_pk_mul_f32 v[14:15], v[28:29], v[34:35]
	;;#ASMEND
	s_lshr_b32 s3, s3, 30
	v_cvt_i32_f32_e32 v28, v14
	v_cvt_i32_f32_sdwa v29, v15 dst_sel:BYTE_1 dst_unused:UNUSED_PAD src0_sel:DWORD
	;;#ASMSTART
	v_pk_mul_f32 v[14:15], v[26:27], v[34:35]
	;;#ASMEND
	s_add_i32 s2, s2, s3
	s_ashr_i32 s3, s10, 31
	v_cvt_i32_f32_e32 v14, v14
	v_cvt_i32_f32_sdwa v15, v15 dst_sel:BYTE_1 dst_unused:UNUSED_PAD src0_sel:DWORD
	s_mul_hi_u32 s4, s10, s6
	s_mul_i32 s3, s3, s6
	v_or_b32_sdwa v0, v0, v24 dst_sel:DWORD dst_unused:UNUSED_PAD src0_sel:BYTE_0 src1_sel:DWORD
	v_or_b32_sdwa v22, v22, v23 dst_sel:WORD_1 dst_unused:UNUSED_PAD src0_sel:BYTE_0 src1_sel:DWORD
	s_and_b32 s2, s2, -4
	s_add_i32 s4, s4, s3
	s_mul_i32 s3, s10, s6
	v_or_b32_sdwa v22, v0, v22 dst_sel:DWORD dst_unused:UNUSED_PAD src0_sel:WORD_0 src1_sel:DWORD
	v_or_b32_sdwa v0, v18, v19 dst_sel:DWORD dst_unused:UNUSED_PAD src0_sel:BYTE_0 src1_sel:DWORD
	v_or_b32_sdwa v18, v25, v36 dst_sel:WORD_1 dst_unused:UNUSED_PAD src0_sel:BYTE_0 src1_sel:DWORD
	s_waitcnt lgkmcnt(0)
	s_add_u32 s0, s0, s3
	v_or_b32_sdwa v23, v0, v18 dst_sel:DWORD dst_unused:UNUSED_PAD src0_sel:WORD_0 src1_sel:DWORD
	v_or_b32_sdwa v0, v32, v33 dst_sel:DWORD dst_unused:UNUSED_PAD src0_sel:BYTE_0 src1_sel:DWORD
	v_or_b32_sdwa v18, v30, v31 dst_sel:WORD_1 dst_unused:UNUSED_PAD src0_sel:BYTE_0 src1_sel:DWORD
	s_addc_u32 s1, s1, s4
	v_or_b32_sdwa v24, v0, v18 dst_sel:DWORD dst_unused:UNUSED_PAD src0_sel:WORD_0 src1_sel:DWORD
	v_or_b32_sdwa v0, v28, v29 dst_sel:DWORD dst_unused:UNUSED_PAD src0_sel:BYTE_0 src1_sel:DWORD
	v_or_b32_sdwa v14, v14, v15 dst_sel:WORD_1 dst_unused:UNUSED_PAD src0_sel:BYTE_0 src1_sel:DWORD
	s_and_b32 s1, s1, 0xffff
	s_mov_b32 s3, 0x20000
	v_or_b32_sdwa v25, v0, v14 dst_sel:DWORD dst_unused:UNUSED_PAD src0_sel:WORD_0 src1_sel:DWORD
	buffer_store_dwordx4 v[22:25], v1, s[0:3], 0 offen
	;;#ASMSTART
	s_nop 0
	;;#ASMEND
	;;#ASMSTART
	v_pk_mul_f32 v[14:15], v[20:21], v[34:35]
	;;#ASMEND
	;;#ASMSTART
	v_pk_mul_f32 v[12:13], v[12:13], v[34:35]
	;; [unrolled: 3-line block ×4, first 2 shown]
	;;#ASMEND
	v_cvt_i32_f32_e32 v0, v14
	v_cvt_i32_f32_sdwa v14, v15 dst_sel:BYTE_1 dst_unused:UNUSED_PAD src0_sel:DWORD
	v_cvt_i32_f32_e32 v12, v12
	v_cvt_i32_f32_sdwa v13, v13 dst_sel:BYTE_1 dst_unused:UNUSED_PAD src0_sel:DWORD
	v_cvt_i32_f32_e32 v15, v6
	v_cvt_i32_f32_sdwa v18, v7 dst_sel:BYTE_1 dst_unused:UNUSED_PAD src0_sel:DWORD
	;;#ASMSTART
	v_pk_mul_f32 v[6:7], v[16:17], v[34:35]
	;;#ASMEND
	v_cvt_i32_f32_e32 v8, v8
	v_cvt_i32_f32_sdwa v9, v9 dst_sel:BYTE_1 dst_unused:UNUSED_PAD src0_sel:DWORD
	v_cvt_i32_f32_e32 v16, v6
	v_cvt_i32_f32_sdwa v17, v7 dst_sel:BYTE_1 dst_unused:UNUSED_PAD src0_sel:DWORD
	;;#ASMSTART
	v_pk_mul_f32 v[6:7], v[10:11], v[34:35]
	;;#ASMEND
	v_cvt_i32_f32_e32 v6, v6
	v_cvt_i32_f32_sdwa v7, v7 dst_sel:BYTE_1 dst_unused:UNUSED_PAD src0_sel:DWORD
	;;#ASMSTART
	v_pk_mul_f32 v[4:5], v[4:5], v[34:35]
	;;#ASMEND
	;; [unrolled: 5-line block ×3, first 2 shown]
	v_cvt_i32_f32_e32 v11, v2
	v_cvt_i32_f32_sdwa v19, v3 dst_sel:BYTE_1 dst_unused:UNUSED_PAD src0_sel:DWORD
	v_or_b32_sdwa v0, v0, v14 dst_sel:DWORD dst_unused:UNUSED_PAD src0_sel:BYTE_0 src1_sel:DWORD
	v_or_b32_sdwa v2, v12, v13 dst_sel:WORD_1 dst_unused:UNUSED_PAD src0_sel:BYTE_0 src1_sel:DWORD
	v_or_b32_sdwa v2, v0, v2 dst_sel:DWORD dst_unused:UNUSED_PAD src0_sel:WORD_0 src1_sel:DWORD
	v_or_b32_sdwa v0, v8, v9 dst_sel:DWORD dst_unused:UNUSED_PAD src0_sel:BYTE_0 src1_sel:DWORD
	v_or_b32_sdwa v3, v15, v18 dst_sel:WORD_1 dst_unused:UNUSED_PAD src0_sel:BYTE_0 src1_sel:DWORD
	v_or_b32_sdwa v3, v0, v3 dst_sel:DWORD dst_unused:UNUSED_PAD src0_sel:WORD_0 src1_sel:DWORD
	;; [unrolled: 3-line block ×4, first 2 shown]
	buffer_store_dwordx4 v[2:5], v1, s[0:3], 16 offen
	;;#ASMSTART
	s_nop 0
	;;#ASMEND
.LBB112_49:
	s_endpgm
.LBB112_50:
                                        ; implicit-def: $vgpr34_vgpr35
	s_branch .LBB112_37
	.section	.rodata,"a",@progbits
	.p2align	6, 0x0
	.amdhsa_kernel _ZN5aiter24add_rmsnorm_quant_kernelItaLi256ELi32ELb0ELb1ELb0ELi1EEEvPT0_PT_PfS4_S4_S4_diiiiiiib
		.amdhsa_group_segment_fixed_size 32
		.amdhsa_private_segment_fixed_size 0
		.amdhsa_kernarg_size 88
		.amdhsa_user_sgpr_count 6
		.amdhsa_user_sgpr_private_segment_buffer 1
		.amdhsa_user_sgpr_dispatch_ptr 0
		.amdhsa_user_sgpr_queue_ptr 0
		.amdhsa_user_sgpr_kernarg_segment_ptr 1
		.amdhsa_user_sgpr_dispatch_id 0
		.amdhsa_user_sgpr_flat_scratch_init 0
		.amdhsa_user_sgpr_kernarg_preload_length 0
		.amdhsa_user_sgpr_kernarg_preload_offset 0
		.amdhsa_user_sgpr_private_segment_size 0
		.amdhsa_uses_dynamic_stack 0
		.amdhsa_system_sgpr_private_segment_wavefront_offset 0
		.amdhsa_system_sgpr_workgroup_id_x 1
		.amdhsa_system_sgpr_workgroup_id_y 0
		.amdhsa_system_sgpr_workgroup_id_z 0
		.amdhsa_system_sgpr_workgroup_info 0
		.amdhsa_system_vgpr_workitem_id 0
		.amdhsa_next_free_vgpr 68
		.amdhsa_next_free_sgpr 34
		.amdhsa_accum_offset 68
		.amdhsa_reserve_vcc 1
		.amdhsa_reserve_flat_scratch 0
		.amdhsa_float_round_mode_32 0
		.amdhsa_float_round_mode_16_64 0
		.amdhsa_float_denorm_mode_32 3
		.amdhsa_float_denorm_mode_16_64 3
		.amdhsa_dx10_clamp 1
		.amdhsa_ieee_mode 1
		.amdhsa_fp16_overflow 0
		.amdhsa_tg_split 0
		.amdhsa_exception_fp_ieee_invalid_op 0
		.amdhsa_exception_fp_denorm_src 0
		.amdhsa_exception_fp_ieee_div_zero 0
		.amdhsa_exception_fp_ieee_overflow 0
		.amdhsa_exception_fp_ieee_underflow 0
		.amdhsa_exception_fp_ieee_inexact 0
		.amdhsa_exception_int_div_zero 0
	.end_amdhsa_kernel
	.section	.text._ZN5aiter24add_rmsnorm_quant_kernelItaLi256ELi32ELb0ELb1ELb0ELi1EEEvPT0_PT_PfS4_S4_S4_diiiiiiib,"axG",@progbits,_ZN5aiter24add_rmsnorm_quant_kernelItaLi256ELi32ELb0ELb1ELb0ELi1EEEvPT0_PT_PfS4_S4_S4_diiiiiiib,comdat
.Lfunc_end112:
	.size	_ZN5aiter24add_rmsnorm_quant_kernelItaLi256ELi32ELb0ELb1ELb0ELi1EEEvPT0_PT_PfS4_S4_S4_diiiiiiib, .Lfunc_end112-_ZN5aiter24add_rmsnorm_quant_kernelItaLi256ELi32ELb0ELb1ELb0ELi1EEEvPT0_PT_PfS4_S4_S4_diiiiiiib
                                        ; -- End function
	.section	.AMDGPU.csdata,"",@progbits
; Kernel info:
; codeLenInByte = 4624
; NumSgprs: 38
; NumVgprs: 68
; NumAgprs: 0
; TotalNumVgprs: 68
; ScratchSize: 0
; MemoryBound: 0
; FloatMode: 240
; IeeeMode: 1
; LDSByteSize: 32 bytes/workgroup (compile time only)
; SGPRBlocks: 4
; VGPRBlocks: 8
; NumSGPRsForWavesPerEU: 38
; NumVGPRsForWavesPerEU: 68
; AccumOffset: 68
; Occupancy: 7
; WaveLimiterHint : 0
; COMPUTE_PGM_RSRC2:SCRATCH_EN: 0
; COMPUTE_PGM_RSRC2:USER_SGPR: 6
; COMPUTE_PGM_RSRC2:TRAP_HANDLER: 0
; COMPUTE_PGM_RSRC2:TGID_X_EN: 1
; COMPUTE_PGM_RSRC2:TGID_Y_EN: 0
; COMPUTE_PGM_RSRC2:TGID_Z_EN: 0
; COMPUTE_PGM_RSRC2:TIDIG_COMP_CNT: 0
; COMPUTE_PGM_RSRC3_GFX90A:ACCUM_OFFSET: 16
; COMPUTE_PGM_RSRC3_GFX90A:TG_SPLIT: 0
	.section	.text._ZN5aiter24add_rmsnorm_quant_kernelIDF16_DF16_Li64ELi8ELb1ELb0ELb1ELi1EEEvPT0_PT_PfS4_S4_S4_diiiiiiib,"axG",@progbits,_ZN5aiter24add_rmsnorm_quant_kernelIDF16_DF16_Li64ELi8ELb1ELb0ELb1ELi1EEEvPT0_PT_PfS4_S4_S4_diiiiiiib,comdat
	.protected	_ZN5aiter24add_rmsnorm_quant_kernelIDF16_DF16_Li64ELi8ELb1ELb0ELb1ELi1EEEvPT0_PT_PfS4_S4_S4_diiiiiiib ; -- Begin function _ZN5aiter24add_rmsnorm_quant_kernelIDF16_DF16_Li64ELi8ELb1ELb0ELb1ELi1EEEvPT0_PT_PfS4_S4_S4_diiiiiiib
	.globl	_ZN5aiter24add_rmsnorm_quant_kernelIDF16_DF16_Li64ELi8ELb1ELb0ELb1ELi1EEEvPT0_PT_PfS4_S4_S4_diiiiiiib
	.p2align	8
	.type	_ZN5aiter24add_rmsnorm_quant_kernelIDF16_DF16_Li64ELi8ELb1ELb0ELb1ELi1EEEvPT0_PT_PfS4_S4_S4_diiiiiiib,@function
_ZN5aiter24add_rmsnorm_quant_kernelIDF16_DF16_Li64ELi8ELb1ELb0ELb1ELi1EEEvPT0_PT_PfS4_S4_S4_diiiiiiib: ; @_ZN5aiter24add_rmsnorm_quant_kernelIDF16_DF16_Li64ELi8ELb1ELb0ELb1ELi1EEEvPT0_PT_PfS4_S4_S4_diiiiiiib
; %bb.0:
	s_load_dwordx4 s[16:19], s[4:5], 0x38
	s_mov_b32 s7, 0
	s_waitcnt lgkmcnt(0)
	s_ashr_i32 s0, s16, 31
	v_mov_b32_e32 v2, s16
	v_mov_b32_e32 v3, s0
	v_cmp_ge_i64_e32 vcc, s[6:7], v[2:3]
	s_cbranch_vccnz .LBB113_2
; %bb.1:
	s_load_dwordx8 s[8:15], s[4:5], 0x18
	s_ashr_i32 s0, s18, 31
	s_mul_hi_u32 s1, s18, s6
	s_mul_i32 s0, s0, s6
	s_add_i32 s1, s1, s0
	s_mul_i32 s0, s18, s6
	s_lshl_b64 s[0:1], s[0:1], 1
	s_waitcnt lgkmcnt(0)
	s_add_u32 s0, s8, s0
	s_addc_u32 s1, s9, s1
	s_add_i32 s2, s17, 1
	s_lshr_b32 s3, s2, 31
	s_add_i32 s2, s2, s3
	s_lshl_b32 s2, s2, 1
	s_and_b32 s2, s2, -4
	s_and_b32 s1, s1, 0xffff
	s_mov_b32 s3, 0x20000
	v_lshlrev_b32_e32 v12, 4, v0
	buffer_load_dwordx4 v[8:11], v12, s[0:3], 0 offen glc slc
	s_ashr_i32 s0, s19, 31
	s_mul_hi_u32 s1, s19, s6
	s_mul_i32 s0, s0, s6
	s_add_i32 s1, s1, s0
	s_mul_i32 s0, s19, s6
	s_and_b32 s21, s13, 0xffff
	s_lshl_b64 s[0:1], s[0:1], 1
	s_add_u32 s0, s10, s0
	s_addc_u32 s1, s11, s1
	s_and_b32 s1, s1, 0xffff
	buffer_load_dwordx4 v[4:7], v12, s[0:3], 0 offen glc slc
	s_mov_b32 s20, s12
	s_mov_b32 s22, s2
	s_mov_b32 s23, s3
	buffer_load_dwordx4 v[0:3], v12, s[20:23], 0 offen
	v_mbcnt_lo_u32_b32 v13, -1, 0
	v_bfrev_b32_e32 v14, 0.5
	v_mbcnt_hi_u32_b32 v13, -1, v13
	v_lshl_or_b32 v13, v13, 2, v14
	s_load_dwordx2 s[0:1], s[4:5], 0x48
	s_load_dwordx4 s[8:11], s[4:5], 0x0
	v_cvt_f32_i32_e32 v26, s17
	s_mov_b32 s16, 0x800000
	s_waitcnt lgkmcnt(0)
	s_mul_hi_u32 s5, s1, s6
	s_mul_i32 s4, s1, s6
	s_ashr_i32 s1, s1, 31
	s_mul_i32 s1, s1, s6
	s_add_i32 s5, s5, s1
	s_lshl_b64 s[4:5], s[4:5], 1
	s_add_u32 s4, s8, s4
	s_mul_hi_u32 s7, s0, s6
	s_mul_i32 s12, s0, s6
	s_addc_u32 s5, s9, s5
	s_ashr_i32 s0, s0, 31
	s_mul_i32 s0, s0, s6
	s_add_i32 s13, s7, s0
	s_lshl_b64 s[0:1], s[12:13], 1
	s_add_u32 s0, s10, s0
	s_addc_u32 s1, s11, s1
	s_and_b32 s1, s1, 0xffff
	s_and_b32 s5, s5, 0xffff
	s_waitcnt vmcnt(2)
	v_cvt_f32_f16_e32 v14, v8
	v_cvt_f32_f16_sdwa v15, v8 dst_sel:DWORD dst_unused:UNUSED_PAD src0_sel:WORD_1
	v_cvt_f32_f16_e32 v8, v9
	v_cvt_f32_f16_sdwa v9, v9 dst_sel:DWORD dst_unused:UNUSED_PAD src0_sel:WORD_1
	;; [unrolled: 2-line block ×4, first 2 shown]
	s_waitcnt vmcnt(1)
	v_cvt_f32_f16_e32 v22, v4
	v_cvt_f32_f16_sdwa v23, v4 dst_sel:DWORD dst_unused:UNUSED_PAD src0_sel:WORD_1
	v_cvt_f32_f16_e32 v4, v5
	v_cvt_f32_f16_sdwa v5, v5 dst_sel:DWORD dst_unused:UNUSED_PAD src0_sel:WORD_1
	;; [unrolled: 2-line block ×4, first 2 shown]
	v_pk_add_f32 v[14:15], v[14:15], v[22:23]
	v_pk_add_f32 v[8:9], v[8:9], v[4:5]
	v_pk_mul_f32 v[4:5], v[14:15], v[14:15]
	v_pk_add_f32 v[10:11], v[10:11], v[6:7]
	v_pk_mul_f32 v[6:7], v[8:9], v[8:9]
	v_add_f32_e32 v4, v4, v5
	v_pk_add_f32 v[16:17], v[16:17], v[24:25]
	v_add_f32_e32 v4, v6, v4
	v_pk_mul_f32 v[22:23], v[16:17], v[16:17]
	v_add_f32_e32 v4, v7, v4
	v_add_f32_e32 v4, v22, v4
	v_pk_mul_f32 v[24:25], v[10:11], v[10:11]
	v_add_f32_e32 v4, v23, v4
	v_add_f32_e32 v4, v24, v4
	;; [unrolled: 1-line block ×3, first 2 shown]
	s_waitcnt vmcnt(0)
	v_cvt_f32_f16_e32 v20, v2
	v_cvt_f32_f16_sdwa v21, v2 dst_sel:DWORD dst_unused:UNUSED_PAD src0_sel:WORD_1
	v_mov_b32_dpp v5, v4 quad_perm:[1,0,3,2] row_mask:0xf bank_mask:0xf
	v_add_f32_e32 v4, v4, v5
	v_cvt_f16_f32_e32 v2, v15
	v_cvt_f16_f32_e32 v27, v14
	v_mov_b32_dpp v5, v4 quad_perm:[2,3,0,1] row_mask:0xf bank_mask:0xf
	v_add_f32_e32 v4, v4, v5
	v_cvt_f16_f32_e32 v28, v9
	v_cvt_f16_f32_e32 v29, v17
	v_mov_b32_dpp v5, v4 row_half_mirror row_mask:0xf bank_mask:0xf
	v_add_f32_e32 v4, v4, v5
	v_cvt_f16_f32_e32 v30, v16
	v_cvt_f16_f32_e32 v31, v11
	v_mov_b32_dpp v5, v4 row_mirror row_mask:0xf bank_mask:0xf
	v_add_f32_e32 v4, v4, v5
	v_cvt_f16_f32_e32 v32, v10
	v_pack_b32_f16 v6, v30, v29
	v_mov_b32_dpp v5, v4 row_bcast:15 row_mask:0xf bank_mask:0xf
	v_add_f32_e32 v4, v4, v5
	v_pack_b32_f16 v7, v32, v31
	v_cvt_f32_f16_e32 v18, v0
	v_mov_b32_dpp v5, v4 row_bcast:31 row_mask:0xf bank_mask:0xf
	v_add_f32_e32 v4, v4, v5
	ds_bpermute_b32 v4, v13, v4
	v_cvt_f16_f32_e32 v5, v8
	v_cvt_f32_f16_sdwa v19, v0 dst_sel:DWORD dst_unused:UNUSED_PAD src0_sel:WORD_1
	v_cvt_f32_f16_e32 v0, v1
	v_cvt_f32_f16_sdwa v1, v1 dst_sel:DWORD dst_unused:UNUSED_PAD src0_sel:WORD_1
	s_waitcnt lgkmcnt(0)
	v_div_scale_f32 v13, s[6:7], v26, v26, v4
	v_rcp_f32_e32 v22, v13
	v_div_scale_f32 v23, vcc, v4, v26, v4
	v_pack_b32_f16 v5, v5, v28
	v_fma_f32 v24, -v13, v22, 1.0
	v_fmac_f32_e32 v22, v24, v22
	v_mul_f32_e32 v24, v23, v22
	v_fma_f32 v25, -v13, v24, v23
	v_fmac_f32_e32 v24, v25, v22
	v_fma_f32 v13, -v13, v24, v23
	v_div_fmas_f32 v13, v13, v22, v24
	v_div_fixup_f32 v4, v13, v26, v4
	v_cvt_f64_f32_e32 v[22:23], v4
	v_add_f64 v[22:23], v[22:23], s[14:15]
	v_cvt_f32_f64_e32 v4, v[22:23]
	v_mul_f32_e32 v13, 0x4b800000, v4
	v_cmp_gt_f32_e32 vcc, s16, v4
	v_cndmask_b32_e32 v4, v4, v13, vcc
	v_rsq_f32_e32 v13, v4
	v_pack_b32_f16 v4, v27, v2
	buffer_store_dwordx4 v[4:7], v12, s[0:3], 0 offen glc slc
	;;#ASMSTART
	s_nop 0
	;;#ASMEND
	v_mul_f32_e32 v2, 0x45800000, v13
	v_cndmask_b32_e32 v4, v13, v2, vcc
	v_mov_b32_e32 v5, v4
	;;#ASMSTART
	v_pk_mul_f32 v[6:7], v[14:15], v[4:5]
	;;#ASMEND
	;;#ASMSTART
	v_pk_mul_f32 v[8:9], v[8:9], v[4:5]
	;;#ASMEND
	v_cvt_f32_f16_e32 v2, v3
	v_cvt_f32_f16_sdwa v3, v3 dst_sel:DWORD dst_unused:UNUSED_PAD src0_sel:WORD_1
	;;#ASMSTART
	v_pk_mul_f32 v[14:15], v[16:17], v[4:5]
	;;#ASMEND
	;;#ASMSTART
	v_pk_mul_f32 v[4:5], v[10:11], v[4:5]
	;;#ASMEND
	;; [unrolled: 3-line block ×6, first 2 shown]
	v_cvt_f16_f32_e32 v4, v6
	v_cvt_f16_f32_e32 v5, v7
	;; [unrolled: 1-line block ×8, first 2 shown]
	s_mov_b32 s6, s2
	s_mov_b32 s7, s3
	v_pack_b32_f16 v0, v4, v5
	v_pack_b32_f16 v1, v6, v1
	;; [unrolled: 1-line block ×4, first 2 shown]
	buffer_store_dwordx4 v[0:3], v12, s[4:7], 0 offen
	;;#ASMSTART
	s_nop 0
	;;#ASMEND
.LBB113_2:
	s_endpgm
	.section	.rodata,"a",@progbits
	.p2align	6, 0x0
	.amdhsa_kernel _ZN5aiter24add_rmsnorm_quant_kernelIDF16_DF16_Li64ELi8ELb1ELb0ELb1ELi1EEEvPT0_PT_PfS4_S4_S4_diiiiiiib
		.amdhsa_group_segment_fixed_size 0
		.amdhsa_private_segment_fixed_size 0
		.amdhsa_kernarg_size 88
		.amdhsa_user_sgpr_count 6
		.amdhsa_user_sgpr_private_segment_buffer 1
		.amdhsa_user_sgpr_dispatch_ptr 0
		.amdhsa_user_sgpr_queue_ptr 0
		.amdhsa_user_sgpr_kernarg_segment_ptr 1
		.amdhsa_user_sgpr_dispatch_id 0
		.amdhsa_user_sgpr_flat_scratch_init 0
		.amdhsa_user_sgpr_kernarg_preload_length 0
		.amdhsa_user_sgpr_kernarg_preload_offset 0
		.amdhsa_user_sgpr_private_segment_size 0
		.amdhsa_uses_dynamic_stack 0
		.amdhsa_system_sgpr_private_segment_wavefront_offset 0
		.amdhsa_system_sgpr_workgroup_id_x 1
		.amdhsa_system_sgpr_workgroup_id_y 0
		.amdhsa_system_sgpr_workgroup_id_z 0
		.amdhsa_system_sgpr_workgroup_info 0
		.amdhsa_system_vgpr_workitem_id 0
		.amdhsa_next_free_vgpr 33
		.amdhsa_next_free_sgpr 24
		.amdhsa_accum_offset 36
		.amdhsa_reserve_vcc 1
		.amdhsa_reserve_flat_scratch 0
		.amdhsa_float_round_mode_32 0
		.amdhsa_float_round_mode_16_64 0
		.amdhsa_float_denorm_mode_32 3
		.amdhsa_float_denorm_mode_16_64 3
		.amdhsa_dx10_clamp 1
		.amdhsa_ieee_mode 1
		.amdhsa_fp16_overflow 0
		.amdhsa_tg_split 0
		.amdhsa_exception_fp_ieee_invalid_op 0
		.amdhsa_exception_fp_denorm_src 0
		.amdhsa_exception_fp_ieee_div_zero 0
		.amdhsa_exception_fp_ieee_overflow 0
		.amdhsa_exception_fp_ieee_underflow 0
		.amdhsa_exception_fp_ieee_inexact 0
		.amdhsa_exception_int_div_zero 0
	.end_amdhsa_kernel
	.section	.text._ZN5aiter24add_rmsnorm_quant_kernelIDF16_DF16_Li64ELi8ELb1ELb0ELb1ELi1EEEvPT0_PT_PfS4_S4_S4_diiiiiiib,"axG",@progbits,_ZN5aiter24add_rmsnorm_quant_kernelIDF16_DF16_Li64ELi8ELb1ELb0ELb1ELi1EEEvPT0_PT_PfS4_S4_S4_diiiiiiib,comdat
.Lfunc_end113:
	.size	_ZN5aiter24add_rmsnorm_quant_kernelIDF16_DF16_Li64ELi8ELb1ELb0ELb1ELi1EEEvPT0_PT_PfS4_S4_S4_diiiiiiib, .Lfunc_end113-_ZN5aiter24add_rmsnorm_quant_kernelIDF16_DF16_Li64ELi8ELb1ELb0ELb1ELi1EEEvPT0_PT_PfS4_S4_S4_diiiiiiib
                                        ; -- End function
	.section	.AMDGPU.csdata,"",@progbits
; Kernel info:
; codeLenInByte = 1036
; NumSgprs: 28
; NumVgprs: 33
; NumAgprs: 0
; TotalNumVgprs: 33
; ScratchSize: 0
; MemoryBound: 0
; FloatMode: 240
; IeeeMode: 1
; LDSByteSize: 0 bytes/workgroup (compile time only)
; SGPRBlocks: 3
; VGPRBlocks: 4
; NumSGPRsForWavesPerEU: 28
; NumVGPRsForWavesPerEU: 33
; AccumOffset: 36
; Occupancy: 8
; WaveLimiterHint : 0
; COMPUTE_PGM_RSRC2:SCRATCH_EN: 0
; COMPUTE_PGM_RSRC2:USER_SGPR: 6
; COMPUTE_PGM_RSRC2:TRAP_HANDLER: 0
; COMPUTE_PGM_RSRC2:TGID_X_EN: 1
; COMPUTE_PGM_RSRC2:TGID_Y_EN: 0
; COMPUTE_PGM_RSRC2:TGID_Z_EN: 0
; COMPUTE_PGM_RSRC2:TIDIG_COMP_CNT: 0
; COMPUTE_PGM_RSRC3_GFX90A:ACCUM_OFFSET: 8
; COMPUTE_PGM_RSRC3_GFX90A:TG_SPLIT: 0
	.section	.text._ZN5aiter24add_rmsnorm_quant_kernelIttLi64ELi8ELb1ELb0ELb1ELi1EEEvPT0_PT_PfS4_S4_S4_diiiiiiib,"axG",@progbits,_ZN5aiter24add_rmsnorm_quant_kernelIttLi64ELi8ELb1ELb0ELb1ELi1EEEvPT0_PT_PfS4_S4_S4_diiiiiiib,comdat
	.protected	_ZN5aiter24add_rmsnorm_quant_kernelIttLi64ELi8ELb1ELb0ELb1ELi1EEEvPT0_PT_PfS4_S4_S4_diiiiiiib ; -- Begin function _ZN5aiter24add_rmsnorm_quant_kernelIttLi64ELi8ELb1ELb0ELb1ELi1EEEvPT0_PT_PfS4_S4_S4_diiiiiiib
	.globl	_ZN5aiter24add_rmsnorm_quant_kernelIttLi64ELi8ELb1ELb0ELb1ELi1EEEvPT0_PT_PfS4_S4_S4_diiiiiiib
	.p2align	8
	.type	_ZN5aiter24add_rmsnorm_quant_kernelIttLi64ELi8ELb1ELb0ELb1ELi1EEEvPT0_PT_PfS4_S4_S4_diiiiiiib,@function
_ZN5aiter24add_rmsnorm_quant_kernelIttLi64ELi8ELb1ELb0ELb1ELi1EEEvPT0_PT_PfS4_S4_S4_diiiiiiib: ; @_ZN5aiter24add_rmsnorm_quant_kernelIttLi64ELi8ELb1ELb0ELb1ELi1EEEvPT0_PT_PfS4_S4_S4_diiiiiiib
; %bb.0:
	s_load_dwordx4 s[16:19], s[4:5], 0x38
	s_mov_b32 s7, 0
	s_waitcnt lgkmcnt(0)
	s_ashr_i32 s0, s16, 31
	v_mov_b32_e32 v2, s16
	v_mov_b32_e32 v3, s0
	v_cmp_ge_i64_e32 vcc, s[6:7], v[2:3]
	s_cbranch_vccnz .LBB114_2
; %bb.1:
	s_load_dwordx8 s[8:15], s[4:5], 0x18
	s_ashr_i32 s0, s18, 31
	s_mul_hi_u32 s1, s18, s6
	s_mul_i32 s0, s0, s6
	s_add_i32 s1, s1, s0
	s_mul_i32 s0, s18, s6
	s_lshl_b64 s[0:1], s[0:1], 1
	s_waitcnt lgkmcnt(0)
	s_add_u32 s0, s8, s0
	s_addc_u32 s1, s9, s1
	s_add_i32 s2, s17, 1
	s_lshr_b32 s3, s2, 31
	s_add_i32 s2, s2, s3
	s_lshl_b32 s2, s2, 1
	s_and_b32 s2, s2, -4
	s_and_b32 s1, s1, 0xffff
	s_mov_b32 s3, 0x20000
	v_lshlrev_b32_e32 v12, 4, v0
	buffer_load_dwordx4 v[4:7], v12, s[0:3], 0 offen glc slc
	s_ashr_i32 s0, s19, 31
	s_mul_hi_u32 s1, s19, s6
	s_mul_i32 s0, s0, s6
	s_add_i32 s1, s1, s0
	s_mul_i32 s0, s19, s6
	s_and_b32 s21, s13, 0xffff
	s_lshl_b64 s[0:1], s[0:1], 1
	s_add_u32 s0, s10, s0
	s_addc_u32 s1, s11, s1
	s_mov_b32 s20, s12
	s_mov_b32 s22, s2
	;; [unrolled: 1-line block ×3, first 2 shown]
	s_and_b32 s1, s1, 0xffff
	buffer_load_dwordx4 v[0:3], v12, s[20:23], 0 offen
	buffer_load_dwordx4 v[8:11], v12, s[0:3], 0 offen glc slc
	v_mbcnt_lo_u32_b32 v13, -1, 0
	v_bfrev_b32_e32 v14, 0.5
	v_mbcnt_hi_u32_b32 v13, -1, v13
	v_lshl_or_b32 v13, v13, 2, v14
	s_load_dwordx2 s[0:1], s[4:5], 0x48
	s_load_dwordx4 s[8:11], s[4:5], 0x0
	v_cvt_f32_i32_e32 v30, s17
	s_mov_b32 s5, 0x800000
	s_mov_b32 s4, 0x7060302
	s_waitcnt lgkmcnt(0)
	s_mul_hi_u32 s7, s1, s6
	s_mul_i32 s12, s1, s6
	s_ashr_i32 s1, s1, 31
	s_mul_i32 s1, s1, s6
	s_add_i32 s13, s7, s1
	s_lshl_b64 s[12:13], s[12:13], 1
	s_add_u32 s16, s8, s12
	s_mul_hi_u32 s17, s0, s6
	s_mul_i32 s20, s0, s6
	s_addc_u32 s7, s9, s13
	s_ashr_i32 s0, s0, 31
	s_mul_i32 s0, s0, s6
	s_add_i32 s21, s17, s0
	s_lshl_b64 s[0:1], s[20:21], 1
	s_add_u32 s0, s10, s0
	s_addc_u32 s1, s11, s1
	s_and_b32 s17, s7, 0xffff
	s_and_b32 s1, s1, 0xffff
	s_mov_b32 s18, s2
	s_mov_b32 s19, s3
	s_waitcnt vmcnt(2)
	v_cvt_f32_u32_sdwa v15, v4 dst_sel:DWORD dst_unused:UNUSED_PAD src0_sel:WORD_1
	v_cvt_f32_u32_sdwa v14, v4 dst_sel:DWORD dst_unused:UNUSED_PAD src0_sel:WORD_0
	v_cvt_f32_u32_sdwa v17, v5 dst_sel:DWORD dst_unused:UNUSED_PAD src0_sel:WORD_1
	v_cvt_f32_u32_sdwa v16, v5 dst_sel:DWORD dst_unused:UNUSED_PAD src0_sel:WORD_0
	;; [unrolled: 2-line block ×4, first 2 shown]
	s_waitcnt vmcnt(1)
	v_cvt_f32_u32_sdwa v7, v0 dst_sel:DWORD dst_unused:UNUSED_PAD src0_sel:WORD_1
	v_cvt_f32_u32_sdwa v6, v0 dst_sel:DWORD dst_unused:UNUSED_PAD src0_sel:WORD_0
	v_cvt_f32_u32_sdwa v21, v1 dst_sel:DWORD dst_unused:UNUSED_PAD src0_sel:WORD_1
	v_cvt_f32_u32_sdwa v20, v1 dst_sel:DWORD dst_unused:UNUSED_PAD src0_sel:WORD_0
	s_waitcnt vmcnt(0)
	v_cvt_f32_u32_sdwa v1, v8 dst_sel:DWORD dst_unused:UNUSED_PAD src0_sel:WORD_1
	v_cvt_f32_u32_sdwa v0, v8 dst_sel:DWORD dst_unused:UNUSED_PAD src0_sel:WORD_0
	v_cvt_f32_u32_sdwa v27, v9 dst_sel:DWORD dst_unused:UNUSED_PAD src0_sel:WORD_1
	v_cvt_f32_u32_sdwa v26, v9 dst_sel:DWORD dst_unused:UNUSED_PAD src0_sel:WORD_0
	;; [unrolled: 2-line block ×4, first 2 shown]
	v_pk_add_f32 v[10:11], v[14:15], v[0:1]
	v_pk_add_f32 v[14:15], v[16:17], v[26:27]
	v_pk_mul_f32 v[0:1], v[10:11], v[10:11]
	v_pk_mul_f32 v[16:17], v[14:15], v[14:15]
	v_add_f32_e32 v0, v0, v1
	v_pk_add_f32 v[4:5], v[4:5], v[8:9]
	v_add_f32_e32 v0, v16, v0
	v_pk_add_f32 v[8:9], v[18:19], v[28:29]
	v_pk_mul_f32 v[18:19], v[4:5], v[4:5]
	v_add_f32_e32 v0, v17, v0
	v_add_f32_e32 v0, v18, v0
	v_pk_mul_f32 v[26:27], v[8:9], v[8:9]
	v_add_f32_e32 v0, v19, v0
	v_add_f32_e32 v0, v26, v0
	v_add_f32_e32 v0, v27, v0
	v_cvt_f32_u32_sdwa v23, v2 dst_sel:DWORD dst_unused:UNUSED_PAD src0_sel:WORD_1
	v_cvt_f32_u32_sdwa v22, v2 dst_sel:DWORD dst_unused:UNUSED_PAD src0_sel:WORD_0
	v_mov_b32_dpp v1, v0 quad_perm:[1,0,3,2] row_mask:0xf bank_mask:0xf
	v_add_f32_e32 v0, v0, v1
	v_cvt_f32_u32_sdwa v25, v3 dst_sel:DWORD dst_unused:UNUSED_PAD src0_sel:WORD_1
	v_cvt_f32_u32_sdwa v24, v3 dst_sel:DWORD dst_unused:UNUSED_PAD src0_sel:WORD_0
	v_mov_b32_dpp v1, v0 quad_perm:[2,3,0,1] row_mask:0xf bank_mask:0xf
	v_add_f32_e32 v0, v0, v1
	v_perm_b32 v3, v9, v8, s4
	v_perm_b32 v2, v5, v4, s4
	v_mov_b32_dpp v1, v0 row_half_mirror row_mask:0xf bank_mask:0xf
	v_add_f32_e32 v0, v0, v1
	s_nop 1
	v_mov_b32_dpp v1, v0 row_mirror row_mask:0xf bank_mask:0xf
	v_add_f32_e32 v0, v0, v1
	s_nop 1
	v_mov_b32_dpp v1, v0 row_bcast:15 row_mask:0xf bank_mask:0xf
	v_add_f32_e32 v0, v0, v1
	s_nop 1
	v_mov_b32_dpp v1, v0 row_bcast:31 row_mask:0xf bank_mask:0xf
	v_add_f32_e32 v0, v0, v1
	ds_bpermute_b32 v0, v13, v0
	v_perm_b32 v1, v15, v14, s4
	s_waitcnt lgkmcnt(0)
	v_div_scale_f32 v13, s[6:7], v30, v30, v0
	v_rcp_f32_e32 v16, v13
	v_div_scale_f32 v17, vcc, v0, v30, v0
	v_fma_f32 v18, -v13, v16, 1.0
	v_fmac_f32_e32 v16, v18, v16
	v_mul_f32_e32 v18, v17, v16
	v_fma_f32 v19, -v13, v18, v17
	v_fmac_f32_e32 v18, v19, v16
	v_fma_f32 v13, -v13, v18, v17
	v_div_fmas_f32 v13, v13, v16, v18
	v_div_fixup_f32 v0, v13, v30, v0
	v_cvt_f64_f32_e32 v[16:17], v0
	v_add_f64 v[16:17], v[16:17], s[14:15]
	v_cvt_f32_f64_e32 v0, v[16:17]
	v_mul_f32_e32 v13, 0x4b800000, v0
	v_cmp_gt_f32_e32 vcc, s5, v0
	v_cndmask_b32_e32 v0, v0, v13, vcc
	v_rsq_f32_e32 v13, v0
	v_perm_b32 v0, v11, v10, s4
	buffer_store_dwordx4 v[0:3], v12, s[0:3], 0 offen glc slc
	;;#ASMSTART
	s_nop 0
	;;#ASMEND
	s_nop 0
	v_mul_f32_e32 v0, 0x45800000, v13
	v_cndmask_b32_e32 v0, v13, v0, vcc
	v_mov_b32_e32 v1, v0
	;;#ASMSTART
	v_pk_mul_f32 v[2:3], v[10:11], v[0:1]
	;;#ASMEND
	;;#ASMSTART
	v_pk_mul_f32 v[10:11], v[14:15], v[0:1]
	;;#ASMEND
	;; [unrolled: 3-line block ×8, first 2 shown]
	v_perm_b32 v0, v3, v2, s4
	v_perm_b32 v1, v7, v6, s4
	;; [unrolled: 1-line block ×4, first 2 shown]
	buffer_store_dwordx4 v[0:3], v12, s[16:19], 0 offen
	;;#ASMSTART
	s_nop 0
	;;#ASMEND
.LBB114_2:
	s_endpgm
	.section	.rodata,"a",@progbits
	.p2align	6, 0x0
	.amdhsa_kernel _ZN5aiter24add_rmsnorm_quant_kernelIttLi64ELi8ELb1ELb0ELb1ELi1EEEvPT0_PT_PfS4_S4_S4_diiiiiiib
		.amdhsa_group_segment_fixed_size 0
		.amdhsa_private_segment_fixed_size 0
		.amdhsa_kernarg_size 88
		.amdhsa_user_sgpr_count 6
		.amdhsa_user_sgpr_private_segment_buffer 1
		.amdhsa_user_sgpr_dispatch_ptr 0
		.amdhsa_user_sgpr_queue_ptr 0
		.amdhsa_user_sgpr_kernarg_segment_ptr 1
		.amdhsa_user_sgpr_dispatch_id 0
		.amdhsa_user_sgpr_flat_scratch_init 0
		.amdhsa_user_sgpr_kernarg_preload_length 0
		.amdhsa_user_sgpr_kernarg_preload_offset 0
		.amdhsa_user_sgpr_private_segment_size 0
		.amdhsa_uses_dynamic_stack 0
		.amdhsa_system_sgpr_private_segment_wavefront_offset 0
		.amdhsa_system_sgpr_workgroup_id_x 1
		.amdhsa_system_sgpr_workgroup_id_y 0
		.amdhsa_system_sgpr_workgroup_id_z 0
		.amdhsa_system_sgpr_workgroup_info 0
		.amdhsa_system_vgpr_workitem_id 0
		.amdhsa_next_free_vgpr 31
		.amdhsa_next_free_sgpr 24
		.amdhsa_accum_offset 32
		.amdhsa_reserve_vcc 1
		.amdhsa_reserve_flat_scratch 0
		.amdhsa_float_round_mode_32 0
		.amdhsa_float_round_mode_16_64 0
		.amdhsa_float_denorm_mode_32 3
		.amdhsa_float_denorm_mode_16_64 3
		.amdhsa_dx10_clamp 1
		.amdhsa_ieee_mode 1
		.amdhsa_fp16_overflow 0
		.amdhsa_tg_split 0
		.amdhsa_exception_fp_ieee_invalid_op 0
		.amdhsa_exception_fp_denorm_src 0
		.amdhsa_exception_fp_ieee_div_zero 0
		.amdhsa_exception_fp_ieee_overflow 0
		.amdhsa_exception_fp_ieee_underflow 0
		.amdhsa_exception_fp_ieee_inexact 0
		.amdhsa_exception_int_div_zero 0
	.end_amdhsa_kernel
	.section	.text._ZN5aiter24add_rmsnorm_quant_kernelIttLi64ELi8ELb1ELb0ELb1ELi1EEEvPT0_PT_PfS4_S4_S4_diiiiiiib,"axG",@progbits,_ZN5aiter24add_rmsnorm_quant_kernelIttLi64ELi8ELb1ELb0ELb1ELi1EEEvPT0_PT_PfS4_S4_S4_diiiiiiib,comdat
.Lfunc_end114:
	.size	_ZN5aiter24add_rmsnorm_quant_kernelIttLi64ELi8ELb1ELb0ELb1ELi1EEEvPT0_PT_PfS4_S4_S4_diiiiiiib, .Lfunc_end114-_ZN5aiter24add_rmsnorm_quant_kernelIttLi64ELi8ELb1ELb0ELb1ELi1EEEvPT0_PT_PfS4_S4_S4_diiiiiiib
                                        ; -- End function
	.section	.AMDGPU.csdata,"",@progbits
; Kernel info:
; codeLenInByte = 1044
; NumSgprs: 28
; NumVgprs: 31
; NumAgprs: 0
; TotalNumVgprs: 31
; ScratchSize: 0
; MemoryBound: 0
; FloatMode: 240
; IeeeMode: 1
; LDSByteSize: 0 bytes/workgroup (compile time only)
; SGPRBlocks: 3
; VGPRBlocks: 3
; NumSGPRsForWavesPerEU: 28
; NumVGPRsForWavesPerEU: 31
; AccumOffset: 32
; Occupancy: 8
; WaveLimiterHint : 0
; COMPUTE_PGM_RSRC2:SCRATCH_EN: 0
; COMPUTE_PGM_RSRC2:USER_SGPR: 6
; COMPUTE_PGM_RSRC2:TRAP_HANDLER: 0
; COMPUTE_PGM_RSRC2:TGID_X_EN: 1
; COMPUTE_PGM_RSRC2:TGID_Y_EN: 0
; COMPUTE_PGM_RSRC2:TGID_Z_EN: 0
; COMPUTE_PGM_RSRC2:TIDIG_COMP_CNT: 0
; COMPUTE_PGM_RSRC3_GFX90A:ACCUM_OFFSET: 7
; COMPUTE_PGM_RSRC3_GFX90A:TG_SPLIT: 0
	.section	.text._ZN5aiter24add_rmsnorm_quant_kernelIDF16_DF16_Li64ELi8ELb1ELb0ELb0ELi1EEEvPT0_PT_PfS4_S4_S4_diiiiiiib,"axG",@progbits,_ZN5aiter24add_rmsnorm_quant_kernelIDF16_DF16_Li64ELi8ELb1ELb0ELb0ELi1EEEvPT0_PT_PfS4_S4_S4_diiiiiiib,comdat
	.protected	_ZN5aiter24add_rmsnorm_quant_kernelIDF16_DF16_Li64ELi8ELb1ELb0ELb0ELi1EEEvPT0_PT_PfS4_S4_S4_diiiiiiib ; -- Begin function _ZN5aiter24add_rmsnorm_quant_kernelIDF16_DF16_Li64ELi8ELb1ELb0ELb0ELi1EEEvPT0_PT_PfS4_S4_S4_diiiiiiib
	.globl	_ZN5aiter24add_rmsnorm_quant_kernelIDF16_DF16_Li64ELi8ELb1ELb0ELb0ELi1EEEvPT0_PT_PfS4_S4_S4_diiiiiiib
	.p2align	8
	.type	_ZN5aiter24add_rmsnorm_quant_kernelIDF16_DF16_Li64ELi8ELb1ELb0ELb0ELi1EEEvPT0_PT_PfS4_S4_S4_diiiiiiib,@function
_ZN5aiter24add_rmsnorm_quant_kernelIDF16_DF16_Li64ELi8ELb1ELb0ELb0ELi1EEEvPT0_PT_PfS4_S4_S4_diiiiiiib: ; @_ZN5aiter24add_rmsnorm_quant_kernelIDF16_DF16_Li64ELi8ELb1ELb0ELb0ELi1EEEvPT0_PT_PfS4_S4_S4_diiiiiiib
; %bb.0:
	s_load_dwordx4 s[16:19], s[4:5], 0x38
	s_mov_b32 s7, 0
	s_waitcnt lgkmcnt(0)
	s_ashr_i32 s0, s16, 31
	v_mov_b32_e32 v2, s16
	v_mov_b32_e32 v3, s0
	v_cmp_ge_i64_e32 vcc, s[6:7], v[2:3]
	s_cbranch_vccnz .LBB115_2
; %bb.1:
	s_load_dwordx8 s[8:15], s[4:5], 0x18
	s_ashr_i32 s0, s18, 31
	s_mul_hi_u32 s1, s18, s6
	s_mul_i32 s0, s0, s6
	s_add_i32 s1, s1, s0
	s_mul_i32 s0, s18, s6
	s_lshl_b64 s[0:1], s[0:1], 1
	s_waitcnt lgkmcnt(0)
	s_add_u32 s0, s8, s0
	s_addc_u32 s1, s9, s1
	s_add_i32 s2, s17, 1
	s_lshr_b32 s3, s2, 31
	s_add_i32 s2, s2, s3
	s_lshl_b32 s2, s2, 1
	s_and_b32 s2, s2, -4
	s_and_b32 s1, s1, 0xffff
	s_mov_b32 s3, 0x20000
	v_lshlrev_b32_e32 v12, 4, v0
	buffer_load_dwordx4 v[8:11], v12, s[0:3], 0 offen glc slc
	s_ashr_i32 s0, s19, 31
	s_mul_hi_u32 s1, s19, s6
	s_mul_i32 s0, s0, s6
	s_add_i32 s1, s1, s0
	s_mul_i32 s0, s19, s6
	s_and_b32 s21, s13, 0xffff
	s_lshl_b64 s[0:1], s[0:1], 1
	s_add_u32 s0, s10, s0
	s_addc_u32 s1, s11, s1
	s_and_b32 s1, s1, 0xffff
	buffer_load_dwordx4 v[4:7], v12, s[0:3], 0 offen glc slc
	s_mov_b32 s20, s12
	s_mov_b32 s22, s2
	;; [unrolled: 1-line block ×3, first 2 shown]
	buffer_load_dwordx4 v[0:3], v12, s[20:23], 0 offen
	v_mbcnt_lo_u32_b32 v13, -1, 0
	v_bfrev_b32_e32 v14, 0.5
	v_mbcnt_hi_u32_b32 v13, -1, v13
	v_lshl_or_b32 v13, v13, 2, v14
	s_load_dwordx2 s[0:1], s[4:5], 0x48
	s_load_dwordx4 s[8:11], s[4:5], 0x0
	v_cvt_f32_i32_e32 v26, s17
	s_mov_b32 s16, 0x800000
	s_waitcnt lgkmcnt(0)
	s_mul_hi_u32 s5, s1, s6
	s_mul_i32 s4, s1, s6
	s_ashr_i32 s1, s1, 31
	s_mul_i32 s1, s1, s6
	s_add_i32 s5, s5, s1
	s_lshl_b64 s[4:5], s[4:5], 1
	s_add_u32 s4, s8, s4
	s_mul_hi_u32 s7, s0, s6
	s_mul_i32 s12, s0, s6
	s_addc_u32 s5, s9, s5
	s_ashr_i32 s0, s0, 31
	s_mul_i32 s0, s0, s6
	s_add_i32 s13, s7, s0
	s_lshl_b64 s[0:1], s[12:13], 1
	s_add_u32 s0, s10, s0
	s_addc_u32 s1, s11, s1
	s_and_b32 s1, s1, 0xffff
	s_and_b32 s5, s5, 0xffff
	s_waitcnt vmcnt(2)
	v_cvt_f32_f16_e32 v14, v8
	v_cvt_f32_f16_sdwa v15, v8 dst_sel:DWORD dst_unused:UNUSED_PAD src0_sel:WORD_1
	v_cvt_f32_f16_e32 v8, v9
	v_cvt_f32_f16_sdwa v9, v9 dst_sel:DWORD dst_unused:UNUSED_PAD src0_sel:WORD_1
	;; [unrolled: 2-line block ×4, first 2 shown]
	s_waitcnt vmcnt(1)
	v_cvt_f32_f16_e32 v22, v4
	v_cvt_f32_f16_sdwa v23, v4 dst_sel:DWORD dst_unused:UNUSED_PAD src0_sel:WORD_1
	v_cvt_f32_f16_e32 v4, v5
	v_cvt_f32_f16_sdwa v5, v5 dst_sel:DWORD dst_unused:UNUSED_PAD src0_sel:WORD_1
	;; [unrolled: 2-line block ×4, first 2 shown]
	v_pk_add_f32 v[14:15], v[14:15], v[22:23]
	v_pk_add_f32 v[8:9], v[8:9], v[4:5]
	v_pk_mul_f32 v[4:5], v[14:15], v[14:15]
	v_pk_add_f32 v[10:11], v[10:11], v[6:7]
	v_pk_mul_f32 v[6:7], v[8:9], v[8:9]
	v_add_f32_e32 v4, v4, v5
	v_pk_add_f32 v[16:17], v[16:17], v[24:25]
	v_add_f32_e32 v4, v6, v4
	v_pk_mul_f32 v[22:23], v[16:17], v[16:17]
	v_add_f32_e32 v4, v7, v4
	v_add_f32_e32 v4, v22, v4
	v_pk_mul_f32 v[24:25], v[10:11], v[10:11]
	v_add_f32_e32 v4, v23, v4
	v_add_f32_e32 v4, v24, v4
	;; [unrolled: 1-line block ×3, first 2 shown]
	s_waitcnt vmcnt(0)
	v_cvt_f32_f16_e32 v20, v2
	v_cvt_f32_f16_sdwa v21, v2 dst_sel:DWORD dst_unused:UNUSED_PAD src0_sel:WORD_1
	v_mov_b32_dpp v5, v4 quad_perm:[1,0,3,2] row_mask:0xf bank_mask:0xf
	v_add_f32_e32 v4, v4, v5
	v_cvt_f16_f32_e32 v2, v15
	v_cvt_f16_f32_e32 v27, v14
	v_mov_b32_dpp v5, v4 quad_perm:[2,3,0,1] row_mask:0xf bank_mask:0xf
	v_add_f32_e32 v4, v4, v5
	v_cvt_f16_f32_e32 v28, v9
	v_cvt_f16_f32_e32 v29, v17
	v_mov_b32_dpp v5, v4 row_half_mirror row_mask:0xf bank_mask:0xf
	v_add_f32_e32 v4, v4, v5
	v_cvt_f16_f32_e32 v30, v16
	v_cvt_f16_f32_e32 v31, v11
	v_mov_b32_dpp v5, v4 row_mirror row_mask:0xf bank_mask:0xf
	v_add_f32_e32 v4, v4, v5
	v_cvt_f16_f32_e32 v32, v10
	v_pack_b32_f16 v6, v30, v29
	v_mov_b32_dpp v5, v4 row_bcast:15 row_mask:0xf bank_mask:0xf
	v_add_f32_e32 v4, v4, v5
	v_pack_b32_f16 v7, v32, v31
	v_cvt_f32_f16_e32 v18, v0
	v_mov_b32_dpp v5, v4 row_bcast:31 row_mask:0xf bank_mask:0xf
	v_add_f32_e32 v4, v4, v5
	ds_bpermute_b32 v4, v13, v4
	v_cvt_f16_f32_e32 v5, v8
	v_cvt_f32_f16_sdwa v19, v0 dst_sel:DWORD dst_unused:UNUSED_PAD src0_sel:WORD_1
	v_cvt_f32_f16_e32 v0, v1
	v_cvt_f32_f16_sdwa v1, v1 dst_sel:DWORD dst_unused:UNUSED_PAD src0_sel:WORD_1
	s_waitcnt lgkmcnt(0)
	v_div_scale_f32 v13, s[6:7], v26, v26, v4
	v_rcp_f32_e32 v22, v13
	v_div_scale_f32 v23, vcc, v4, v26, v4
	v_pack_b32_f16 v5, v5, v28
	v_fma_f32 v24, -v13, v22, 1.0
	v_fmac_f32_e32 v22, v24, v22
	v_mul_f32_e32 v24, v23, v22
	v_fma_f32 v25, -v13, v24, v23
	v_fmac_f32_e32 v24, v25, v22
	v_fma_f32 v13, -v13, v24, v23
	v_div_fmas_f32 v13, v13, v22, v24
	v_div_fixup_f32 v4, v13, v26, v4
	v_cvt_f64_f32_e32 v[22:23], v4
	v_add_f64 v[22:23], v[22:23], s[14:15]
	v_cvt_f32_f64_e32 v4, v[22:23]
	v_mul_f32_e32 v13, 0x4b800000, v4
	v_cmp_gt_f32_e32 vcc, s16, v4
	v_cndmask_b32_e32 v4, v4, v13, vcc
	v_rsq_f32_e32 v13, v4
	v_pack_b32_f16 v4, v27, v2
	buffer_store_dwordx4 v[4:7], v12, s[0:3], 0 offen glc slc
	;;#ASMSTART
	s_nop 0
	;;#ASMEND
	v_mul_f32_e32 v2, 0x45800000, v13
	v_cndmask_b32_e32 v4, v13, v2, vcc
	v_mov_b32_e32 v5, v4
	;;#ASMSTART
	v_pk_mul_f32 v[6:7], v[14:15], v[4:5]
	;;#ASMEND
	;;#ASMSTART
	v_pk_mul_f32 v[8:9], v[8:9], v[4:5]
	;;#ASMEND
	v_cvt_f32_f16_e32 v2, v3
	v_cvt_f32_f16_sdwa v3, v3 dst_sel:DWORD dst_unused:UNUSED_PAD src0_sel:WORD_1
	;;#ASMSTART
	v_pk_mul_f32 v[14:15], v[16:17], v[4:5]
	;;#ASMEND
	;;#ASMSTART
	v_pk_mul_f32 v[4:5], v[10:11], v[4:5]
	;;#ASMEND
	;; [unrolled: 3-line block ×6, first 2 shown]
	v_cvt_f16_f32_e32 v4, v6
	v_cvt_f16_f32_e32 v5, v7
	;; [unrolled: 1-line block ×8, first 2 shown]
	s_mov_b32 s6, s2
	s_mov_b32 s7, s3
	v_pack_b32_f16 v0, v4, v5
	v_pack_b32_f16 v1, v6, v1
	;; [unrolled: 1-line block ×4, first 2 shown]
	buffer_store_dwordx4 v[0:3], v12, s[4:7], 0 offen
	;;#ASMSTART
	s_nop 0
	;;#ASMEND
.LBB115_2:
	s_endpgm
	.section	.rodata,"a",@progbits
	.p2align	6, 0x0
	.amdhsa_kernel _ZN5aiter24add_rmsnorm_quant_kernelIDF16_DF16_Li64ELi8ELb1ELb0ELb0ELi1EEEvPT0_PT_PfS4_S4_S4_diiiiiiib
		.amdhsa_group_segment_fixed_size 0
		.amdhsa_private_segment_fixed_size 0
		.amdhsa_kernarg_size 88
		.amdhsa_user_sgpr_count 6
		.amdhsa_user_sgpr_private_segment_buffer 1
		.amdhsa_user_sgpr_dispatch_ptr 0
		.amdhsa_user_sgpr_queue_ptr 0
		.amdhsa_user_sgpr_kernarg_segment_ptr 1
		.amdhsa_user_sgpr_dispatch_id 0
		.amdhsa_user_sgpr_flat_scratch_init 0
		.amdhsa_user_sgpr_kernarg_preload_length 0
		.amdhsa_user_sgpr_kernarg_preload_offset 0
		.amdhsa_user_sgpr_private_segment_size 0
		.amdhsa_uses_dynamic_stack 0
		.amdhsa_system_sgpr_private_segment_wavefront_offset 0
		.amdhsa_system_sgpr_workgroup_id_x 1
		.amdhsa_system_sgpr_workgroup_id_y 0
		.amdhsa_system_sgpr_workgroup_id_z 0
		.amdhsa_system_sgpr_workgroup_info 0
		.amdhsa_system_vgpr_workitem_id 0
		.amdhsa_next_free_vgpr 33
		.amdhsa_next_free_sgpr 24
		.amdhsa_accum_offset 36
		.amdhsa_reserve_vcc 1
		.amdhsa_reserve_flat_scratch 0
		.amdhsa_float_round_mode_32 0
		.amdhsa_float_round_mode_16_64 0
		.amdhsa_float_denorm_mode_32 3
		.amdhsa_float_denorm_mode_16_64 3
		.amdhsa_dx10_clamp 1
		.amdhsa_ieee_mode 1
		.amdhsa_fp16_overflow 0
		.amdhsa_tg_split 0
		.amdhsa_exception_fp_ieee_invalid_op 0
		.amdhsa_exception_fp_denorm_src 0
		.amdhsa_exception_fp_ieee_div_zero 0
		.amdhsa_exception_fp_ieee_overflow 0
		.amdhsa_exception_fp_ieee_underflow 0
		.amdhsa_exception_fp_ieee_inexact 0
		.amdhsa_exception_int_div_zero 0
	.end_amdhsa_kernel
	.section	.text._ZN5aiter24add_rmsnorm_quant_kernelIDF16_DF16_Li64ELi8ELb1ELb0ELb0ELi1EEEvPT0_PT_PfS4_S4_S4_diiiiiiib,"axG",@progbits,_ZN5aiter24add_rmsnorm_quant_kernelIDF16_DF16_Li64ELi8ELb1ELb0ELb0ELi1EEEvPT0_PT_PfS4_S4_S4_diiiiiiib,comdat
.Lfunc_end115:
	.size	_ZN5aiter24add_rmsnorm_quant_kernelIDF16_DF16_Li64ELi8ELb1ELb0ELb0ELi1EEEvPT0_PT_PfS4_S4_S4_diiiiiiib, .Lfunc_end115-_ZN5aiter24add_rmsnorm_quant_kernelIDF16_DF16_Li64ELi8ELb1ELb0ELb0ELi1EEEvPT0_PT_PfS4_S4_S4_diiiiiiib
                                        ; -- End function
	.section	.AMDGPU.csdata,"",@progbits
; Kernel info:
; codeLenInByte = 1036
; NumSgprs: 28
; NumVgprs: 33
; NumAgprs: 0
; TotalNumVgprs: 33
; ScratchSize: 0
; MemoryBound: 0
; FloatMode: 240
; IeeeMode: 1
; LDSByteSize: 0 bytes/workgroup (compile time only)
; SGPRBlocks: 3
; VGPRBlocks: 4
; NumSGPRsForWavesPerEU: 28
; NumVGPRsForWavesPerEU: 33
; AccumOffset: 36
; Occupancy: 8
; WaveLimiterHint : 0
; COMPUTE_PGM_RSRC2:SCRATCH_EN: 0
; COMPUTE_PGM_RSRC2:USER_SGPR: 6
; COMPUTE_PGM_RSRC2:TRAP_HANDLER: 0
; COMPUTE_PGM_RSRC2:TGID_X_EN: 1
; COMPUTE_PGM_RSRC2:TGID_Y_EN: 0
; COMPUTE_PGM_RSRC2:TGID_Z_EN: 0
; COMPUTE_PGM_RSRC2:TIDIG_COMP_CNT: 0
; COMPUTE_PGM_RSRC3_GFX90A:ACCUM_OFFSET: 8
; COMPUTE_PGM_RSRC3_GFX90A:TG_SPLIT: 0
	.section	.text._ZN5aiter24add_rmsnorm_quant_kernelIttLi64ELi8ELb1ELb0ELb0ELi1EEEvPT0_PT_PfS4_S4_S4_diiiiiiib,"axG",@progbits,_ZN5aiter24add_rmsnorm_quant_kernelIttLi64ELi8ELb1ELb0ELb0ELi1EEEvPT0_PT_PfS4_S4_S4_diiiiiiib,comdat
	.protected	_ZN5aiter24add_rmsnorm_quant_kernelIttLi64ELi8ELb1ELb0ELb0ELi1EEEvPT0_PT_PfS4_S4_S4_diiiiiiib ; -- Begin function _ZN5aiter24add_rmsnorm_quant_kernelIttLi64ELi8ELb1ELb0ELb0ELi1EEEvPT0_PT_PfS4_S4_S4_diiiiiiib
	.globl	_ZN5aiter24add_rmsnorm_quant_kernelIttLi64ELi8ELb1ELb0ELb0ELi1EEEvPT0_PT_PfS4_S4_S4_diiiiiiib
	.p2align	8
	.type	_ZN5aiter24add_rmsnorm_quant_kernelIttLi64ELi8ELb1ELb0ELb0ELi1EEEvPT0_PT_PfS4_S4_S4_diiiiiiib,@function
_ZN5aiter24add_rmsnorm_quant_kernelIttLi64ELi8ELb1ELb0ELb0ELi1EEEvPT0_PT_PfS4_S4_S4_diiiiiiib: ; @_ZN5aiter24add_rmsnorm_quant_kernelIttLi64ELi8ELb1ELb0ELb0ELi1EEEvPT0_PT_PfS4_S4_S4_diiiiiiib
; %bb.0:
	s_load_dwordx4 s[16:19], s[4:5], 0x38
	s_mov_b32 s7, 0
	s_waitcnt lgkmcnt(0)
	s_ashr_i32 s0, s16, 31
	v_mov_b32_e32 v2, s16
	v_mov_b32_e32 v3, s0
	v_cmp_ge_i64_e32 vcc, s[6:7], v[2:3]
	s_cbranch_vccnz .LBB116_2
; %bb.1:
	s_load_dwordx8 s[8:15], s[4:5], 0x18
	s_ashr_i32 s0, s18, 31
	s_mul_hi_u32 s1, s18, s6
	s_mul_i32 s0, s0, s6
	s_add_i32 s1, s1, s0
	s_mul_i32 s0, s18, s6
	s_lshl_b64 s[0:1], s[0:1], 1
	s_waitcnt lgkmcnt(0)
	s_add_u32 s0, s8, s0
	s_addc_u32 s1, s9, s1
	s_add_i32 s2, s17, 1
	s_lshr_b32 s3, s2, 31
	s_add_i32 s2, s2, s3
	s_lshl_b32 s2, s2, 1
	s_and_b32 s2, s2, -4
	s_and_b32 s1, s1, 0xffff
	s_mov_b32 s3, 0x20000
	v_lshlrev_b32_e32 v12, 4, v0
	buffer_load_dwordx4 v[4:7], v12, s[0:3], 0 offen glc slc
	s_ashr_i32 s0, s19, 31
	s_mul_hi_u32 s1, s19, s6
	s_mul_i32 s0, s0, s6
	s_add_i32 s1, s1, s0
	s_mul_i32 s0, s19, s6
	s_and_b32 s21, s13, 0xffff
	s_lshl_b64 s[0:1], s[0:1], 1
	s_add_u32 s0, s10, s0
	s_addc_u32 s1, s11, s1
	s_mov_b32 s20, s12
	s_mov_b32 s22, s2
	;; [unrolled: 1-line block ×3, first 2 shown]
	s_and_b32 s1, s1, 0xffff
	buffer_load_dwordx4 v[0:3], v12, s[20:23], 0 offen
	buffer_load_dwordx4 v[8:11], v12, s[0:3], 0 offen glc slc
	v_mbcnt_lo_u32_b32 v13, -1, 0
	v_bfrev_b32_e32 v14, 0.5
	v_mbcnt_hi_u32_b32 v13, -1, v13
	v_lshl_or_b32 v13, v13, 2, v14
	s_load_dwordx2 s[0:1], s[4:5], 0x48
	s_load_dwordx4 s[8:11], s[4:5], 0x0
	v_cvt_f32_i32_e32 v30, s17
	s_mov_b32 s5, 0x800000
	s_mov_b32 s4, 0x7060302
	s_waitcnt lgkmcnt(0)
	s_mul_hi_u32 s7, s1, s6
	s_mul_i32 s12, s1, s6
	s_ashr_i32 s1, s1, 31
	s_mul_i32 s1, s1, s6
	s_add_i32 s13, s7, s1
	s_lshl_b64 s[12:13], s[12:13], 1
	s_add_u32 s16, s8, s12
	s_mul_hi_u32 s17, s0, s6
	s_mul_i32 s20, s0, s6
	s_addc_u32 s7, s9, s13
	s_ashr_i32 s0, s0, 31
	s_mul_i32 s0, s0, s6
	s_add_i32 s21, s17, s0
	s_lshl_b64 s[0:1], s[20:21], 1
	s_add_u32 s0, s10, s0
	s_addc_u32 s1, s11, s1
	s_and_b32 s17, s7, 0xffff
	s_and_b32 s1, s1, 0xffff
	s_mov_b32 s18, s2
	s_mov_b32 s19, s3
	s_waitcnt vmcnt(2)
	v_cvt_f32_u32_sdwa v15, v4 dst_sel:DWORD dst_unused:UNUSED_PAD src0_sel:WORD_1
	v_cvt_f32_u32_sdwa v14, v4 dst_sel:DWORD dst_unused:UNUSED_PAD src0_sel:WORD_0
	v_cvt_f32_u32_sdwa v17, v5 dst_sel:DWORD dst_unused:UNUSED_PAD src0_sel:WORD_1
	v_cvt_f32_u32_sdwa v16, v5 dst_sel:DWORD dst_unused:UNUSED_PAD src0_sel:WORD_0
	;; [unrolled: 2-line block ×4, first 2 shown]
	s_waitcnt vmcnt(1)
	v_cvt_f32_u32_sdwa v7, v0 dst_sel:DWORD dst_unused:UNUSED_PAD src0_sel:WORD_1
	v_cvt_f32_u32_sdwa v6, v0 dst_sel:DWORD dst_unused:UNUSED_PAD src0_sel:WORD_0
	v_cvt_f32_u32_sdwa v21, v1 dst_sel:DWORD dst_unused:UNUSED_PAD src0_sel:WORD_1
	v_cvt_f32_u32_sdwa v20, v1 dst_sel:DWORD dst_unused:UNUSED_PAD src0_sel:WORD_0
	s_waitcnt vmcnt(0)
	v_cvt_f32_u32_sdwa v1, v8 dst_sel:DWORD dst_unused:UNUSED_PAD src0_sel:WORD_1
	v_cvt_f32_u32_sdwa v0, v8 dst_sel:DWORD dst_unused:UNUSED_PAD src0_sel:WORD_0
	v_cvt_f32_u32_sdwa v27, v9 dst_sel:DWORD dst_unused:UNUSED_PAD src0_sel:WORD_1
	v_cvt_f32_u32_sdwa v26, v9 dst_sel:DWORD dst_unused:UNUSED_PAD src0_sel:WORD_0
	;; [unrolled: 2-line block ×4, first 2 shown]
	v_pk_add_f32 v[10:11], v[14:15], v[0:1]
	v_pk_add_f32 v[14:15], v[16:17], v[26:27]
	v_pk_mul_f32 v[0:1], v[10:11], v[10:11]
	v_pk_mul_f32 v[16:17], v[14:15], v[14:15]
	v_add_f32_e32 v0, v0, v1
	v_pk_add_f32 v[4:5], v[4:5], v[8:9]
	v_add_f32_e32 v0, v16, v0
	v_pk_add_f32 v[8:9], v[18:19], v[28:29]
	v_pk_mul_f32 v[18:19], v[4:5], v[4:5]
	v_add_f32_e32 v0, v17, v0
	v_add_f32_e32 v0, v18, v0
	v_pk_mul_f32 v[26:27], v[8:9], v[8:9]
	v_add_f32_e32 v0, v19, v0
	v_add_f32_e32 v0, v26, v0
	;; [unrolled: 1-line block ×3, first 2 shown]
	v_cvt_f32_u32_sdwa v23, v2 dst_sel:DWORD dst_unused:UNUSED_PAD src0_sel:WORD_1
	v_cvt_f32_u32_sdwa v22, v2 dst_sel:DWORD dst_unused:UNUSED_PAD src0_sel:WORD_0
	v_mov_b32_dpp v1, v0 quad_perm:[1,0,3,2] row_mask:0xf bank_mask:0xf
	v_add_f32_e32 v0, v0, v1
	v_cvt_f32_u32_sdwa v25, v3 dst_sel:DWORD dst_unused:UNUSED_PAD src0_sel:WORD_1
	v_cvt_f32_u32_sdwa v24, v3 dst_sel:DWORD dst_unused:UNUSED_PAD src0_sel:WORD_0
	v_mov_b32_dpp v1, v0 quad_perm:[2,3,0,1] row_mask:0xf bank_mask:0xf
	v_add_f32_e32 v0, v0, v1
	v_perm_b32 v3, v9, v8, s4
	v_perm_b32 v2, v5, v4, s4
	v_mov_b32_dpp v1, v0 row_half_mirror row_mask:0xf bank_mask:0xf
	v_add_f32_e32 v0, v0, v1
	s_nop 1
	v_mov_b32_dpp v1, v0 row_mirror row_mask:0xf bank_mask:0xf
	v_add_f32_e32 v0, v0, v1
	s_nop 1
	v_mov_b32_dpp v1, v0 row_bcast:15 row_mask:0xf bank_mask:0xf
	v_add_f32_e32 v0, v0, v1
	s_nop 1
	v_mov_b32_dpp v1, v0 row_bcast:31 row_mask:0xf bank_mask:0xf
	v_add_f32_e32 v0, v0, v1
	ds_bpermute_b32 v0, v13, v0
	v_perm_b32 v1, v15, v14, s4
	s_waitcnt lgkmcnt(0)
	v_div_scale_f32 v13, s[6:7], v30, v30, v0
	v_rcp_f32_e32 v16, v13
	v_div_scale_f32 v17, vcc, v0, v30, v0
	v_fma_f32 v18, -v13, v16, 1.0
	v_fmac_f32_e32 v16, v18, v16
	v_mul_f32_e32 v18, v17, v16
	v_fma_f32 v19, -v13, v18, v17
	v_fmac_f32_e32 v18, v19, v16
	v_fma_f32 v13, -v13, v18, v17
	v_div_fmas_f32 v13, v13, v16, v18
	v_div_fixup_f32 v0, v13, v30, v0
	v_cvt_f64_f32_e32 v[16:17], v0
	v_add_f64 v[16:17], v[16:17], s[14:15]
	v_cvt_f32_f64_e32 v0, v[16:17]
	v_mul_f32_e32 v13, 0x4b800000, v0
	v_cmp_gt_f32_e32 vcc, s5, v0
	v_cndmask_b32_e32 v0, v0, v13, vcc
	v_rsq_f32_e32 v13, v0
	v_perm_b32 v0, v11, v10, s4
	buffer_store_dwordx4 v[0:3], v12, s[0:3], 0 offen glc slc
	;;#ASMSTART
	s_nop 0
	;;#ASMEND
	s_nop 0
	v_mul_f32_e32 v0, 0x45800000, v13
	v_cndmask_b32_e32 v0, v13, v0, vcc
	v_mov_b32_e32 v1, v0
	;;#ASMSTART
	v_pk_mul_f32 v[2:3], v[10:11], v[0:1]
	;;#ASMEND
	;;#ASMSTART
	v_pk_mul_f32 v[10:11], v[14:15], v[0:1]
	;;#ASMEND
	;; [unrolled: 3-line block ×8, first 2 shown]
	v_perm_b32 v0, v3, v2, s4
	v_perm_b32 v1, v7, v6, s4
	;; [unrolled: 1-line block ×4, first 2 shown]
	buffer_store_dwordx4 v[0:3], v12, s[16:19], 0 offen
	;;#ASMSTART
	s_nop 0
	;;#ASMEND
.LBB116_2:
	s_endpgm
	.section	.rodata,"a",@progbits
	.p2align	6, 0x0
	.amdhsa_kernel _ZN5aiter24add_rmsnorm_quant_kernelIttLi64ELi8ELb1ELb0ELb0ELi1EEEvPT0_PT_PfS4_S4_S4_diiiiiiib
		.amdhsa_group_segment_fixed_size 0
		.amdhsa_private_segment_fixed_size 0
		.amdhsa_kernarg_size 88
		.amdhsa_user_sgpr_count 6
		.amdhsa_user_sgpr_private_segment_buffer 1
		.amdhsa_user_sgpr_dispatch_ptr 0
		.amdhsa_user_sgpr_queue_ptr 0
		.amdhsa_user_sgpr_kernarg_segment_ptr 1
		.amdhsa_user_sgpr_dispatch_id 0
		.amdhsa_user_sgpr_flat_scratch_init 0
		.amdhsa_user_sgpr_kernarg_preload_length 0
		.amdhsa_user_sgpr_kernarg_preload_offset 0
		.amdhsa_user_sgpr_private_segment_size 0
		.amdhsa_uses_dynamic_stack 0
		.amdhsa_system_sgpr_private_segment_wavefront_offset 0
		.amdhsa_system_sgpr_workgroup_id_x 1
		.amdhsa_system_sgpr_workgroup_id_y 0
		.amdhsa_system_sgpr_workgroup_id_z 0
		.amdhsa_system_sgpr_workgroup_info 0
		.amdhsa_system_vgpr_workitem_id 0
		.amdhsa_next_free_vgpr 31
		.amdhsa_next_free_sgpr 24
		.amdhsa_accum_offset 32
		.amdhsa_reserve_vcc 1
		.amdhsa_reserve_flat_scratch 0
		.amdhsa_float_round_mode_32 0
		.amdhsa_float_round_mode_16_64 0
		.amdhsa_float_denorm_mode_32 3
		.amdhsa_float_denorm_mode_16_64 3
		.amdhsa_dx10_clamp 1
		.amdhsa_ieee_mode 1
		.amdhsa_fp16_overflow 0
		.amdhsa_tg_split 0
		.amdhsa_exception_fp_ieee_invalid_op 0
		.amdhsa_exception_fp_denorm_src 0
		.amdhsa_exception_fp_ieee_div_zero 0
		.amdhsa_exception_fp_ieee_overflow 0
		.amdhsa_exception_fp_ieee_underflow 0
		.amdhsa_exception_fp_ieee_inexact 0
		.amdhsa_exception_int_div_zero 0
	.end_amdhsa_kernel
	.section	.text._ZN5aiter24add_rmsnorm_quant_kernelIttLi64ELi8ELb1ELb0ELb0ELi1EEEvPT0_PT_PfS4_S4_S4_diiiiiiib,"axG",@progbits,_ZN5aiter24add_rmsnorm_quant_kernelIttLi64ELi8ELb1ELb0ELb0ELi1EEEvPT0_PT_PfS4_S4_S4_diiiiiiib,comdat
.Lfunc_end116:
	.size	_ZN5aiter24add_rmsnorm_quant_kernelIttLi64ELi8ELb1ELb0ELb0ELi1EEEvPT0_PT_PfS4_S4_S4_diiiiiiib, .Lfunc_end116-_ZN5aiter24add_rmsnorm_quant_kernelIttLi64ELi8ELb1ELb0ELb0ELi1EEEvPT0_PT_PfS4_S4_S4_diiiiiiib
                                        ; -- End function
	.section	.AMDGPU.csdata,"",@progbits
; Kernel info:
; codeLenInByte = 1044
; NumSgprs: 28
; NumVgprs: 31
; NumAgprs: 0
; TotalNumVgprs: 31
; ScratchSize: 0
; MemoryBound: 0
; FloatMode: 240
; IeeeMode: 1
; LDSByteSize: 0 bytes/workgroup (compile time only)
; SGPRBlocks: 3
; VGPRBlocks: 3
; NumSGPRsForWavesPerEU: 28
; NumVGPRsForWavesPerEU: 31
; AccumOffset: 32
; Occupancy: 8
; WaveLimiterHint : 0
; COMPUTE_PGM_RSRC2:SCRATCH_EN: 0
; COMPUTE_PGM_RSRC2:USER_SGPR: 6
; COMPUTE_PGM_RSRC2:TRAP_HANDLER: 0
; COMPUTE_PGM_RSRC2:TGID_X_EN: 1
; COMPUTE_PGM_RSRC2:TGID_Y_EN: 0
; COMPUTE_PGM_RSRC2:TGID_Z_EN: 0
; COMPUTE_PGM_RSRC2:TIDIG_COMP_CNT: 0
; COMPUTE_PGM_RSRC3_GFX90A:ACCUM_OFFSET: 7
; COMPUTE_PGM_RSRC3_GFX90A:TG_SPLIT: 0
	.section	.text._ZN5aiter24add_rmsnorm_quant_kernelIDF16_DF16_Li128ELi8ELb1ELb0ELb1ELi1EEEvPT0_PT_PfS4_S4_S4_diiiiiiib,"axG",@progbits,_ZN5aiter24add_rmsnorm_quant_kernelIDF16_DF16_Li128ELi8ELb1ELb0ELb1ELi1EEEvPT0_PT_PfS4_S4_S4_diiiiiiib,comdat
	.protected	_ZN5aiter24add_rmsnorm_quant_kernelIDF16_DF16_Li128ELi8ELb1ELb0ELb1ELi1EEEvPT0_PT_PfS4_S4_S4_diiiiiiib ; -- Begin function _ZN5aiter24add_rmsnorm_quant_kernelIDF16_DF16_Li128ELi8ELb1ELb0ELb1ELi1EEEvPT0_PT_PfS4_S4_S4_diiiiiiib
	.globl	_ZN5aiter24add_rmsnorm_quant_kernelIDF16_DF16_Li128ELi8ELb1ELb0ELb1ELi1EEEvPT0_PT_PfS4_S4_S4_diiiiiiib
	.p2align	8
	.type	_ZN5aiter24add_rmsnorm_quant_kernelIDF16_DF16_Li128ELi8ELb1ELb0ELb1ELi1EEEvPT0_PT_PfS4_S4_S4_diiiiiiib,@function
_ZN5aiter24add_rmsnorm_quant_kernelIDF16_DF16_Li128ELi8ELb1ELb0ELb1ELi1EEEvPT0_PT_PfS4_S4_S4_diiiiiiib: ; @_ZN5aiter24add_rmsnorm_quant_kernelIDF16_DF16_Li128ELi8ELb1ELb0ELb1ELi1EEEvPT0_PT_PfS4_S4_S4_diiiiiiib
; %bb.0:
	s_load_dwordx4 s[16:19], s[4:5], 0x38
	s_mov_b32 s7, 0
	s_waitcnt lgkmcnt(0)
	s_ashr_i32 s0, s16, 31
	v_mov_b32_e32 v2, s16
	v_mov_b32_e32 v3, s0
	v_cmp_ge_i64_e32 vcc, s[6:7], v[2:3]
	s_cbranch_vccnz .LBB117_4
; %bb.1:
	s_load_dwordx8 s[8:15], s[4:5], 0x18
	s_ashr_i32 s0, s18, 31
	s_mul_hi_u32 s1, s18, s6
	s_mul_i32 s0, s0, s6
	s_add_i32 s1, s1, s0
	s_mul_i32 s0, s18, s6
	s_lshl_b64 s[0:1], s[0:1], 1
	s_waitcnt lgkmcnt(0)
	s_add_u32 s0, s8, s0
	s_addc_u32 s1, s9, s1
	s_add_i32 s2, s17, 1
	s_lshr_b32 s3, s2, 31
	s_add_i32 s2, s2, s3
	s_lshl_b32 s2, s2, 1
	s_and_b32 s2, s2, -4
	s_and_b32 s1, s1, 0xffff
	s_mov_b32 s3, 0x20000
	v_lshlrev_b32_e32 v1, 4, v0
	buffer_load_dwordx4 v[6:9], v1, s[0:3], 0 offen glc slc
	s_ashr_i32 s0, s19, 31
	s_mul_hi_u32 s1, s19, s6
	s_mul_i32 s0, s0, s6
	s_add_i32 s1, s1, s0
	s_mul_i32 s0, s19, s6
	s_and_b32 s9, s13, 0xffff
	s_lshl_b64 s[0:1], s[0:1], 1
	s_add_u32 s0, s10, s0
	s_addc_u32 s1, s11, s1
	s_and_b32 s1, s1, 0xffff
	buffer_load_dwordx4 v[10:13], v1, s[0:3], 0 offen glc slc
	s_mov_b32 s11, s3
	s_mov_b32 s8, s12
	s_mov_b32 s10, s2
	buffer_load_dwordx4 v[2:5], v1, s[8:11], 0 offen
	s_load_dwordx2 s[12:13], s[4:5], 0x48
	s_load_dwordx4 s[8:11], s[4:5], 0x0
	v_and_b32_e32 v24, 63, v0
	v_cmp_eq_u32_e32 vcc, 63, v24
	s_waitcnt lgkmcnt(0)
	s_ashr_i32 s4, s12, 31
	s_mul_hi_u32 s1, s12, s6
	s_mul_i32 s4, s4, s6
	s_mul_i32 s0, s12, s6
	s_add_i32 s1, s1, s4
	s_lshl_b64 s[0:1], s[0:1], 1
	s_add_u32 s0, s10, s0
	s_addc_u32 s1, s11, s1
	s_and_b32 s1, s1, 0xffff
	s_waitcnt vmcnt(2)
	v_cvt_f32_f16_e32 v14, v6
	v_cvt_f32_f16_sdwa v15, v6 dst_sel:DWORD dst_unused:UNUSED_PAD src0_sel:WORD_1
	v_cvt_f32_f16_e32 v6, v7
	v_cvt_f32_f16_sdwa v7, v7 dst_sel:DWORD dst_unused:UNUSED_PAD src0_sel:WORD_1
	;; [unrolled: 2-line block ×4, first 2 shown]
	s_waitcnt vmcnt(1)
	v_cvt_f32_f16_e32 v8, v10
	v_cvt_f32_f16_sdwa v9, v10 dst_sel:DWORD dst_unused:UNUSED_PAD src0_sel:WORD_1
	v_cvt_f32_f16_e32 v10, v11
	v_cvt_f32_f16_sdwa v11, v11 dst_sel:DWORD dst_unused:UNUSED_PAD src0_sel:WORD_1
	;; [unrolled: 2-line block ×4, first 2 shown]
	v_pk_add_f32 v[12:13], v[14:15], v[8:9]
	v_pk_add_f32 v[10:11], v[6:7], v[10:11]
	;; [unrolled: 1-line block ×4, first 2 shown]
	v_cvt_f16_f32_e32 v22, v13
	v_cvt_f16_f32_e32 v23, v12
	;; [unrolled: 1-line block ×8, first 2 shown]
	v_pk_mul_f32 v[14:15], v[12:13], v[12:13]
	v_pk_mul_f32 v[16:17], v[10:11], v[10:11]
	v_add_f32_e32 v14, v14, v15
	v_add_f32_e32 v14, v16, v14
	v_pk_mul_f32 v[18:19], v[8:9], v[8:9]
	v_add_f32_e32 v31, v17, v14
	v_pack_b32_f16 v17, v30, v29
	v_pack_b32_f16 v16, v28, v27
	v_pack_b32_f16 v15, v26, v25
	v_pack_b32_f16 v14, v23, v22
	v_add_f32_e32 v18, v18, v31
	v_pk_mul_f32 v[20:21], v[6:7], v[6:7]
	buffer_store_dwordx4 v[14:17], v1, s[0:3], 0 offen glc slc
	;;#ASMSTART
	s_nop 0
	;;#ASMEND
	s_nop 0
	v_add_f32_e32 v14, v19, v18
	v_add_f32_e32 v14, v20, v14
	;; [unrolled: 1-line block ×3, first 2 shown]
	s_nop 1
	v_mov_b32_dpp v15, v14 quad_perm:[1,0,3,2] row_mask:0xf bank_mask:0xf
	v_add_f32_e32 v14, v14, v15
	s_nop 1
	v_mov_b32_dpp v15, v14 quad_perm:[2,3,0,1] row_mask:0xf bank_mask:0xf
	v_add_f32_e32 v14, v14, v15
	s_nop 1
	v_mov_b32_dpp v15, v14 row_half_mirror row_mask:0xf bank_mask:0xf
	v_add_f32_e32 v14, v14, v15
	s_nop 1
	v_mov_b32_dpp v15, v14 row_mirror row_mask:0xf bank_mask:0xf
	v_add_f32_e32 v14, v14, v15
	s_nop 1
	v_mov_b32_dpp v15, v14 row_bcast:15 row_mask:0xf bank_mask:0xf
	v_add_f32_e32 v14, v14, v15
	s_nop 1
	v_mov_b32_dpp v15, v14 row_bcast:31 row_mask:0xf bank_mask:0xf
	s_and_saveexec_b64 s[0:1], vcc
	s_cbranch_execz .LBB117_3
; %bb.2:
	v_lshrrev_b32_e32 v16, 4, v0
	v_and_b32_e32 v16, 60, v16
	v_add_f32_e32 v14, v14, v15
	ds_write_b32 v16, v14
.LBB117_3:
	s_or_b64 exec, exec, s[0:1]
	v_and_b32_e32 v0, 1, v0
	v_lshlrev_b32_e32 v0, 2, v0
	s_waitcnt lgkmcnt(0)
	s_barrier
	ds_read_b32 v0, v0
	v_cvt_f32_i32_e32 v14, s17
	s_ashr_i32 s4, s13, 31
	s_mul_hi_u32 s5, s13, s6
	s_mul_i32 s4, s4, s6
	s_waitcnt lgkmcnt(0)
	v_mov_b32_dpp v15, v0 quad_perm:[1,0,3,2] row_mask:0xf bank_mask:0xf
	v_add_f32_e32 v0, v0, v15
	v_div_scale_f32 v15, s[0:1], v14, v14, v0
	v_rcp_f32_e32 v16, v15
	s_add_i32 s1, s5, s4
	s_mov_b32 s4, 0x800000
	s_mul_i32 s0, s13, s6
	v_fma_f32 v17, -v15, v16, 1.0
	v_fmac_f32_e32 v16, v17, v16
	v_div_scale_f32 v17, vcc, v0, v14, v0
	v_mul_f32_e32 v18, v17, v16
	v_fma_f32 v19, -v15, v18, v17
	v_fmac_f32_e32 v18, v19, v16
	v_fma_f32 v15, -v15, v18, v17
	v_div_fmas_f32 v15, v15, v16, v18
	v_div_fixup_f32 v0, v15, v14, v0
	v_cvt_f64_f32_e32 v[14:15], v0
	v_add_f64 v[14:15], v[14:15], s[14:15]
	v_cvt_f32_f64_e32 v0, v[14:15]
	v_mul_f32_e32 v14, 0x4b800000, v0
	v_cmp_gt_f32_e32 vcc, s4, v0
	v_cndmask_b32_e32 v0, v0, v14, vcc
	v_rsq_f32_e32 v0, v0
	s_waitcnt vmcnt(1)
	v_cvt_f32_f16_sdwa v17, v3 dst_sel:DWORD dst_unused:UNUSED_PAD src0_sel:WORD_1
	v_cvt_f32_f16_e32 v16, v3
	v_cvt_f32_f16_sdwa v3, v4 dst_sel:DWORD dst_unused:UNUSED_PAD src0_sel:WORD_1
	v_mul_f32_e32 v14, 0x45800000, v0
	v_cndmask_b32_e32 v14, v0, v14, vcc
	v_mov_b32_e32 v15, v14
	;;#ASMSTART
	v_pk_mul_f32 v[12:13], v[12:13], v[14:15]
	;;#ASMEND
	;;#ASMSTART
	v_pk_mul_f32 v[10:11], v[10:11], v[14:15]
	;;#ASMEND
	;; [unrolled: 3-line block ×4, first 2 shown]
	v_cvt_f32_f16_sdwa v15, v2 dst_sel:DWORD dst_unused:UNUSED_PAD src0_sel:WORD_1
	v_cvt_f32_f16_e32 v14, v2
	v_cvt_f32_f16_e32 v2, v4
	v_cvt_f32_f16_sdwa v19, v5 dst_sel:DWORD dst_unused:UNUSED_PAD src0_sel:WORD_1
	v_cvt_f32_f16_e32 v18, v5
	;;#ASMSTART
	v_pk_mul_f32 v[4:5], v[12:13], v[14:15]
	;;#ASMEND
	;;#ASMSTART
	v_pk_mul_f32 v[10:11], v[10:11], v[16:17]
	;;#ASMEND
	;; [unrolled: 3-line block ×4, first 2 shown]
	v_cvt_f16_f32_e32 v0, v4
	v_cvt_f16_f32_e32 v4, v5
	;; [unrolled: 1-line block ×8, first 2 shown]
	s_lshl_b64 s[0:1], s[0:1], 1
	s_add_u32 s0, s8, s0
	s_addc_u32 s1, s9, s1
	s_and_b32 s1, s1, 0xffff
	v_pack_b32_f16 v2, v0, v4
	v_pack_b32_f16 v3, v5, v8
	;; [unrolled: 1-line block ×4, first 2 shown]
	buffer_store_dwordx4 v[2:5], v1, s[0:3], 0 offen
	;;#ASMSTART
	s_nop 0
	;;#ASMEND
.LBB117_4:
	s_endpgm
	.section	.rodata,"a",@progbits
	.p2align	6, 0x0
	.amdhsa_kernel _ZN5aiter24add_rmsnorm_quant_kernelIDF16_DF16_Li128ELi8ELb1ELb0ELb1ELi1EEEvPT0_PT_PfS4_S4_S4_diiiiiiib
		.amdhsa_group_segment_fixed_size 8
		.amdhsa_private_segment_fixed_size 0
		.amdhsa_kernarg_size 88
		.amdhsa_user_sgpr_count 6
		.amdhsa_user_sgpr_private_segment_buffer 1
		.amdhsa_user_sgpr_dispatch_ptr 0
		.amdhsa_user_sgpr_queue_ptr 0
		.amdhsa_user_sgpr_kernarg_segment_ptr 1
		.amdhsa_user_sgpr_dispatch_id 0
		.amdhsa_user_sgpr_flat_scratch_init 0
		.amdhsa_user_sgpr_kernarg_preload_length 0
		.amdhsa_user_sgpr_kernarg_preload_offset 0
		.amdhsa_user_sgpr_private_segment_size 0
		.amdhsa_uses_dynamic_stack 0
		.amdhsa_system_sgpr_private_segment_wavefront_offset 0
		.amdhsa_system_sgpr_workgroup_id_x 1
		.amdhsa_system_sgpr_workgroup_id_y 0
		.amdhsa_system_sgpr_workgroup_id_z 0
		.amdhsa_system_sgpr_workgroup_info 0
		.amdhsa_system_vgpr_workitem_id 0
		.amdhsa_next_free_vgpr 32
		.amdhsa_next_free_sgpr 20
		.amdhsa_accum_offset 32
		.amdhsa_reserve_vcc 1
		.amdhsa_reserve_flat_scratch 0
		.amdhsa_float_round_mode_32 0
		.amdhsa_float_round_mode_16_64 0
		.amdhsa_float_denorm_mode_32 3
		.amdhsa_float_denorm_mode_16_64 3
		.amdhsa_dx10_clamp 1
		.amdhsa_ieee_mode 1
		.amdhsa_fp16_overflow 0
		.amdhsa_tg_split 0
		.amdhsa_exception_fp_ieee_invalid_op 0
		.amdhsa_exception_fp_denorm_src 0
		.amdhsa_exception_fp_ieee_div_zero 0
		.amdhsa_exception_fp_ieee_overflow 0
		.amdhsa_exception_fp_ieee_underflow 0
		.amdhsa_exception_fp_ieee_inexact 0
		.amdhsa_exception_int_div_zero 0
	.end_amdhsa_kernel
	.section	.text._ZN5aiter24add_rmsnorm_quant_kernelIDF16_DF16_Li128ELi8ELb1ELb0ELb1ELi1EEEvPT0_PT_PfS4_S4_S4_diiiiiiib,"axG",@progbits,_ZN5aiter24add_rmsnorm_quant_kernelIDF16_DF16_Li128ELi8ELb1ELb0ELb1ELi1EEEvPT0_PT_PfS4_S4_S4_diiiiiiib,comdat
.Lfunc_end117:
	.size	_ZN5aiter24add_rmsnorm_quant_kernelIDF16_DF16_Li128ELi8ELb1ELb0ELb1ELi1EEEvPT0_PT_PfS4_S4_S4_diiiiiiib, .Lfunc_end117-_ZN5aiter24add_rmsnorm_quant_kernelIDF16_DF16_Li128ELi8ELb1ELb0ELb1ELi1EEEvPT0_PT_PfS4_S4_S4_diiiiiiib
                                        ; -- End function
	.section	.AMDGPU.csdata,"",@progbits
; Kernel info:
; codeLenInByte = 1092
; NumSgprs: 24
; NumVgprs: 32
; NumAgprs: 0
; TotalNumVgprs: 32
; ScratchSize: 0
; MemoryBound: 0
; FloatMode: 240
; IeeeMode: 1
; LDSByteSize: 8 bytes/workgroup (compile time only)
; SGPRBlocks: 2
; VGPRBlocks: 3
; NumSGPRsForWavesPerEU: 24
; NumVGPRsForWavesPerEU: 32
; AccumOffset: 32
; Occupancy: 8
; WaveLimiterHint : 0
; COMPUTE_PGM_RSRC2:SCRATCH_EN: 0
; COMPUTE_PGM_RSRC2:USER_SGPR: 6
; COMPUTE_PGM_RSRC2:TRAP_HANDLER: 0
; COMPUTE_PGM_RSRC2:TGID_X_EN: 1
; COMPUTE_PGM_RSRC2:TGID_Y_EN: 0
; COMPUTE_PGM_RSRC2:TGID_Z_EN: 0
; COMPUTE_PGM_RSRC2:TIDIG_COMP_CNT: 0
; COMPUTE_PGM_RSRC3_GFX90A:ACCUM_OFFSET: 7
; COMPUTE_PGM_RSRC3_GFX90A:TG_SPLIT: 0
	.section	.text._ZN5aiter24add_rmsnorm_quant_kernelIttLi128ELi8ELb1ELb0ELb1ELi1EEEvPT0_PT_PfS4_S4_S4_diiiiiiib,"axG",@progbits,_ZN5aiter24add_rmsnorm_quant_kernelIttLi128ELi8ELb1ELb0ELb1ELi1EEEvPT0_PT_PfS4_S4_S4_diiiiiiib,comdat
	.protected	_ZN5aiter24add_rmsnorm_quant_kernelIttLi128ELi8ELb1ELb0ELb1ELi1EEEvPT0_PT_PfS4_S4_S4_diiiiiiib ; -- Begin function _ZN5aiter24add_rmsnorm_quant_kernelIttLi128ELi8ELb1ELb0ELb1ELi1EEEvPT0_PT_PfS4_S4_S4_diiiiiiib
	.globl	_ZN5aiter24add_rmsnorm_quant_kernelIttLi128ELi8ELb1ELb0ELb1ELi1EEEvPT0_PT_PfS4_S4_S4_diiiiiiib
	.p2align	8
	.type	_ZN5aiter24add_rmsnorm_quant_kernelIttLi128ELi8ELb1ELb0ELb1ELi1EEEvPT0_PT_PfS4_S4_S4_diiiiiiib,@function
_ZN5aiter24add_rmsnorm_quant_kernelIttLi128ELi8ELb1ELb0ELb1ELi1EEEvPT0_PT_PfS4_S4_S4_diiiiiiib: ; @_ZN5aiter24add_rmsnorm_quant_kernelIttLi128ELi8ELb1ELb0ELb1ELi1EEEvPT0_PT_PfS4_S4_S4_diiiiiiib
; %bb.0:
	s_load_dwordx4 s[16:19], s[4:5], 0x38
	s_mov_b32 s7, 0
	s_waitcnt lgkmcnt(0)
	s_ashr_i32 s0, s16, 31
	v_mov_b32_e32 v2, s16
	v_mov_b32_e32 v3, s0
	v_cmp_ge_i64_e32 vcc, s[6:7], v[2:3]
	s_cbranch_vccnz .LBB118_4
; %bb.1:
	s_load_dwordx8 s[8:15], s[4:5], 0x18
	s_ashr_i32 s0, s18, 31
	s_mul_hi_u32 s1, s18, s6
	s_mul_i32 s0, s0, s6
	s_add_i32 s1, s1, s0
	s_mul_i32 s0, s18, s6
	s_lshl_b64 s[0:1], s[0:1], 1
	s_waitcnt lgkmcnt(0)
	s_add_u32 s0, s8, s0
	s_addc_u32 s1, s9, s1
	s_add_i32 s2, s17, 1
	s_lshr_b32 s3, s2, 31
	s_add_i32 s2, s2, s3
	s_lshl_b32 s2, s2, 1
	s_and_b32 s2, s2, -4
	s_and_b32 s1, s1, 0xffff
	s_mov_b32 s3, 0x20000
	v_lshlrev_b32_e32 v1, 4, v0
	buffer_load_dwordx4 v[6:9], v1, s[0:3], 0 offen glc slc
	s_ashr_i32 s0, s19, 31
	s_mul_hi_u32 s1, s19, s6
	s_mul_i32 s0, s0, s6
	s_add_i32 s1, s1, s0
	s_mul_i32 s0, s19, s6
	s_and_b32 s9, s13, 0xffff
	s_lshl_b64 s[0:1], s[0:1], 1
	s_add_u32 s0, s10, s0
	s_addc_u32 s1, s11, s1
	s_and_b32 s1, s1, 0xffff
	buffer_load_dwordx4 v[10:13], v1, s[0:3], 0 offen glc slc
	s_mov_b32 s11, s3
	s_mov_b32 s8, s12
	;; [unrolled: 1-line block ×3, first 2 shown]
	buffer_load_dwordx4 v[2:5], v1, s[8:11], 0 offen
	s_load_dwordx2 s[12:13], s[4:5], 0x48
	s_load_dwordx4 s[8:11], s[4:5], 0x0
	s_mov_b32 s4, 0x7060302
	v_and_b32_e32 v26, 63, v0
	v_cmp_eq_u32_e32 vcc, 63, v26
	s_waitcnt lgkmcnt(0)
	s_ashr_i32 s5, s12, 31
	s_mul_hi_u32 s1, s12, s6
	s_mul_i32 s5, s5, s6
	s_mul_i32 s0, s12, s6
	s_add_i32 s1, s1, s5
	s_lshl_b64 s[0:1], s[0:1], 1
	s_add_u32 s0, s10, s0
	s_addc_u32 s1, s11, s1
	s_and_b32 s1, s1, 0xffff
	s_waitcnt vmcnt(2)
	v_cvt_f32_u32_sdwa v15, v6 dst_sel:DWORD dst_unused:UNUSED_PAD src0_sel:WORD_1
	v_cvt_f32_u32_sdwa v14, v6 dst_sel:DWORD dst_unused:UNUSED_PAD src0_sel:WORD_0
	v_cvt_f32_u32_sdwa v17, v7 dst_sel:DWORD dst_unused:UNUSED_PAD src0_sel:WORD_1
	v_cvt_f32_u32_sdwa v16, v7 dst_sel:DWORD dst_unused:UNUSED_PAD src0_sel:WORD_0
	;; [unrolled: 2-line block ×4, first 2 shown]
	s_waitcnt vmcnt(1)
	v_cvt_f32_u32_sdwa v9, v10 dst_sel:DWORD dst_unused:UNUSED_PAD src0_sel:WORD_1
	v_cvt_f32_u32_sdwa v8, v10 dst_sel:DWORD dst_unused:UNUSED_PAD src0_sel:WORD_0
	v_cvt_f32_u32_sdwa v21, v11 dst_sel:DWORD dst_unused:UNUSED_PAD src0_sel:WORD_1
	v_cvt_f32_u32_sdwa v20, v11 dst_sel:DWORD dst_unused:UNUSED_PAD src0_sel:WORD_0
	;; [unrolled: 2-line block ×4, first 2 shown]
	v_pk_add_f32 v[12:13], v[14:15], v[8:9]
	v_pk_add_f32 v[10:11], v[16:17], v[20:21]
	;; [unrolled: 1-line block ×4, first 2 shown]
	v_perm_b32 v17, v7, v6, s4
	v_perm_b32 v16, v9, v8, s4
	;; [unrolled: 1-line block ×4, first 2 shown]
	v_pk_mul_f32 v[18:19], v[12:13], v[12:13]
	v_pk_mul_f32 v[20:21], v[10:11], v[10:11]
	buffer_store_dwordx4 v[14:17], v1, s[0:3], 0 offen glc slc
	v_pk_mul_f32 v[22:23], v[8:9], v[8:9]
	v_add_f32_e32 v14, v18, v19
	v_add_f32_e32 v14, v20, v14
	;; [unrolled: 1-line block ×4, first 2 shown]
	v_pk_mul_f32 v[24:25], v[6:7], v[6:7]
	v_add_f32_e32 v14, v23, v14
	v_add_f32_e32 v14, v24, v14
	v_add_f32_e32 v14, v25, v14
	;;#ASMSTART
	s_nop 0
	;;#ASMEND
	s_nop 1
	v_mov_b32_dpp v15, v14 quad_perm:[1,0,3,2] row_mask:0xf bank_mask:0xf
	v_add_f32_e32 v14, v14, v15
	s_nop 1
	v_mov_b32_dpp v15, v14 quad_perm:[2,3,0,1] row_mask:0xf bank_mask:0xf
	v_add_f32_e32 v14, v14, v15
	s_nop 1
	v_mov_b32_dpp v15, v14 row_half_mirror row_mask:0xf bank_mask:0xf
	v_add_f32_e32 v14, v14, v15
	s_nop 1
	v_mov_b32_dpp v15, v14 row_mirror row_mask:0xf bank_mask:0xf
	v_add_f32_e32 v14, v14, v15
	s_nop 1
	v_mov_b32_dpp v15, v14 row_bcast:15 row_mask:0xf bank_mask:0xf
	v_add_f32_e32 v14, v14, v15
	s_nop 1
	v_mov_b32_dpp v15, v14 row_bcast:31 row_mask:0xf bank_mask:0xf
	s_and_saveexec_b64 s[0:1], vcc
	s_cbranch_execz .LBB118_3
; %bb.2:
	v_lshrrev_b32_e32 v16, 4, v0
	v_and_b32_e32 v16, 60, v16
	v_add_f32_e32 v14, v14, v15
	ds_write_b32 v16, v14
.LBB118_3:
	s_or_b64 exec, exec, s[0:1]
	v_and_b32_e32 v0, 1, v0
	v_lshlrev_b32_e32 v0, 2, v0
	s_waitcnt lgkmcnt(0)
	s_barrier
	ds_read_b32 v0, v0
	v_cvt_f32_i32_e32 v14, s17
	s_ashr_i32 s5, s13, 31
	s_mul_hi_u32 s7, s13, s6
	s_mul_i32 s5, s5, s6
	s_waitcnt lgkmcnt(0)
	v_mov_b32_dpp v15, v0 quad_perm:[1,0,3,2] row_mask:0xf bank_mask:0xf
	v_add_f32_e32 v0, v0, v15
	v_div_scale_f32 v15, s[0:1], v14, v14, v0
	v_rcp_f32_e32 v16, v15
	s_add_i32 s1, s7, s5
	s_mov_b32 s5, 0x800000
	s_mul_i32 s0, s13, s6
	v_fma_f32 v17, -v15, v16, 1.0
	v_fmac_f32_e32 v16, v17, v16
	v_div_scale_f32 v17, vcc, v0, v14, v0
	v_mul_f32_e32 v18, v17, v16
	v_fma_f32 v19, -v15, v18, v17
	v_fmac_f32_e32 v18, v19, v16
	v_fma_f32 v15, -v15, v18, v17
	v_div_fmas_f32 v15, v15, v16, v18
	v_div_fixup_f32 v0, v15, v14, v0
	v_cvt_f64_f32_e32 v[14:15], v0
	v_add_f64 v[14:15], v[14:15], s[14:15]
	v_cvt_f32_f64_e32 v0, v[14:15]
	v_mul_f32_e32 v14, 0x4b800000, v0
	v_cmp_gt_f32_e32 vcc, s5, v0
	v_cndmask_b32_e32 v0, v0, v14, vcc
	v_rsq_f32_e32 v0, v0
	s_lshl_b64 s[0:1], s[0:1], 1
	s_add_u32 s0, s8, s0
	s_addc_u32 s1, s9, s1
	v_mul_f32_e32 v14, 0x45800000, v0
	v_cndmask_b32_e32 v14, v0, v14, vcc
	v_mov_b32_e32 v15, v14
	;;#ASMSTART
	v_pk_mul_f32 v[12:13], v[12:13], v[14:15]
	;;#ASMEND
	;;#ASMSTART
	v_pk_mul_f32 v[10:11], v[10:11], v[14:15]
	;;#ASMEND
	;; [unrolled: 3-line block ×4, first 2 shown]
	s_waitcnt vmcnt(1)
	v_cvt_f32_u32_sdwa v15, v2 dst_sel:DWORD dst_unused:UNUSED_PAD src0_sel:WORD_1
	v_cvt_f32_u32_sdwa v14, v2 dst_sel:DWORD dst_unused:UNUSED_PAD src0_sel:WORD_0
	v_cvt_f32_u32_sdwa v17, v3 dst_sel:DWORD dst_unused:UNUSED_PAD src0_sel:WORD_1
	v_cvt_f32_u32_sdwa v16, v3 dst_sel:DWORD dst_unused:UNUSED_PAD src0_sel:WORD_0
	;; [unrolled: 2-line block ×4, first 2 shown]
	;;#ASMSTART
	v_pk_mul_f32 v[4:5], v[12:13], v[14:15]
	;;#ASMEND
	;;#ASMSTART
	v_pk_mul_f32 v[10:11], v[10:11], v[16:17]
	;;#ASMEND
	;; [unrolled: 3-line block ×4, first 2 shown]
	s_and_b32 s1, s1, 0xffff
	v_perm_b32 v2, v5, v4, s4
	v_perm_b32 v3, v11, v10, s4
	;; [unrolled: 1-line block ×4, first 2 shown]
	buffer_store_dwordx4 v[2:5], v1, s[0:3], 0 offen
	;;#ASMSTART
	s_nop 0
	;;#ASMEND
.LBB118_4:
	s_endpgm
	.section	.rodata,"a",@progbits
	.p2align	6, 0x0
	.amdhsa_kernel _ZN5aiter24add_rmsnorm_quant_kernelIttLi128ELi8ELb1ELb0ELb1ELi1EEEvPT0_PT_PfS4_S4_S4_diiiiiiib
		.amdhsa_group_segment_fixed_size 8
		.amdhsa_private_segment_fixed_size 0
		.amdhsa_kernarg_size 88
		.amdhsa_user_sgpr_count 6
		.amdhsa_user_sgpr_private_segment_buffer 1
		.amdhsa_user_sgpr_dispatch_ptr 0
		.amdhsa_user_sgpr_queue_ptr 0
		.amdhsa_user_sgpr_kernarg_segment_ptr 1
		.amdhsa_user_sgpr_dispatch_id 0
		.amdhsa_user_sgpr_flat_scratch_init 0
		.amdhsa_user_sgpr_kernarg_preload_length 0
		.amdhsa_user_sgpr_kernarg_preload_offset 0
		.amdhsa_user_sgpr_private_segment_size 0
		.amdhsa_uses_dynamic_stack 0
		.amdhsa_system_sgpr_private_segment_wavefront_offset 0
		.amdhsa_system_sgpr_workgroup_id_x 1
		.amdhsa_system_sgpr_workgroup_id_y 0
		.amdhsa_system_sgpr_workgroup_id_z 0
		.amdhsa_system_sgpr_workgroup_info 0
		.amdhsa_system_vgpr_workitem_id 0
		.amdhsa_next_free_vgpr 27
		.amdhsa_next_free_sgpr 20
		.amdhsa_accum_offset 28
		.amdhsa_reserve_vcc 1
		.amdhsa_reserve_flat_scratch 0
		.amdhsa_float_round_mode_32 0
		.amdhsa_float_round_mode_16_64 0
		.amdhsa_float_denorm_mode_32 3
		.amdhsa_float_denorm_mode_16_64 3
		.amdhsa_dx10_clamp 1
		.amdhsa_ieee_mode 1
		.amdhsa_fp16_overflow 0
		.amdhsa_tg_split 0
		.amdhsa_exception_fp_ieee_invalid_op 0
		.amdhsa_exception_fp_denorm_src 0
		.amdhsa_exception_fp_ieee_div_zero 0
		.amdhsa_exception_fp_ieee_overflow 0
		.amdhsa_exception_fp_ieee_underflow 0
		.amdhsa_exception_fp_ieee_inexact 0
		.amdhsa_exception_int_div_zero 0
	.end_amdhsa_kernel
	.section	.text._ZN5aiter24add_rmsnorm_quant_kernelIttLi128ELi8ELb1ELb0ELb1ELi1EEEvPT0_PT_PfS4_S4_S4_diiiiiiib,"axG",@progbits,_ZN5aiter24add_rmsnorm_quant_kernelIttLi128ELi8ELb1ELb0ELb1ELi1EEEvPT0_PT_PfS4_S4_S4_diiiiiiib,comdat
.Lfunc_end118:
	.size	_ZN5aiter24add_rmsnorm_quant_kernelIttLi128ELi8ELb1ELb0ELb1ELi1EEEvPT0_PT_PfS4_S4_S4_diiiiiiib, .Lfunc_end118-_ZN5aiter24add_rmsnorm_quant_kernelIttLi128ELi8ELb1ELb0ELb1ELi1EEEvPT0_PT_PfS4_S4_S4_diiiiiiib
                                        ; -- End function
	.section	.AMDGPU.csdata,"",@progbits
; Kernel info:
; codeLenInByte = 1080
; NumSgprs: 24
; NumVgprs: 27
; NumAgprs: 0
; TotalNumVgprs: 27
; ScratchSize: 0
; MemoryBound: 0
; FloatMode: 240
; IeeeMode: 1
; LDSByteSize: 8 bytes/workgroup (compile time only)
; SGPRBlocks: 2
; VGPRBlocks: 3
; NumSGPRsForWavesPerEU: 24
; NumVGPRsForWavesPerEU: 27
; AccumOffset: 28
; Occupancy: 8
; WaveLimiterHint : 0
; COMPUTE_PGM_RSRC2:SCRATCH_EN: 0
; COMPUTE_PGM_RSRC2:USER_SGPR: 6
; COMPUTE_PGM_RSRC2:TRAP_HANDLER: 0
; COMPUTE_PGM_RSRC2:TGID_X_EN: 1
; COMPUTE_PGM_RSRC2:TGID_Y_EN: 0
; COMPUTE_PGM_RSRC2:TGID_Z_EN: 0
; COMPUTE_PGM_RSRC2:TIDIG_COMP_CNT: 0
; COMPUTE_PGM_RSRC3_GFX90A:ACCUM_OFFSET: 6
; COMPUTE_PGM_RSRC3_GFX90A:TG_SPLIT: 0
	.section	.text._ZN5aiter24add_rmsnorm_quant_kernelIDF16_DF16_Li128ELi8ELb1ELb0ELb0ELi1EEEvPT0_PT_PfS4_S4_S4_diiiiiiib,"axG",@progbits,_ZN5aiter24add_rmsnorm_quant_kernelIDF16_DF16_Li128ELi8ELb1ELb0ELb0ELi1EEEvPT0_PT_PfS4_S4_S4_diiiiiiib,comdat
	.protected	_ZN5aiter24add_rmsnorm_quant_kernelIDF16_DF16_Li128ELi8ELb1ELb0ELb0ELi1EEEvPT0_PT_PfS4_S4_S4_diiiiiiib ; -- Begin function _ZN5aiter24add_rmsnorm_quant_kernelIDF16_DF16_Li128ELi8ELb1ELb0ELb0ELi1EEEvPT0_PT_PfS4_S4_S4_diiiiiiib
	.globl	_ZN5aiter24add_rmsnorm_quant_kernelIDF16_DF16_Li128ELi8ELb1ELb0ELb0ELi1EEEvPT0_PT_PfS4_S4_S4_diiiiiiib
	.p2align	8
	.type	_ZN5aiter24add_rmsnorm_quant_kernelIDF16_DF16_Li128ELi8ELb1ELb0ELb0ELi1EEEvPT0_PT_PfS4_S4_S4_diiiiiiib,@function
_ZN5aiter24add_rmsnorm_quant_kernelIDF16_DF16_Li128ELi8ELb1ELb0ELb0ELi1EEEvPT0_PT_PfS4_S4_S4_diiiiiiib: ; @_ZN5aiter24add_rmsnorm_quant_kernelIDF16_DF16_Li128ELi8ELb1ELb0ELb0ELi1EEEvPT0_PT_PfS4_S4_S4_diiiiiiib
; %bb.0:
	s_load_dwordx4 s[16:19], s[4:5], 0x38
	s_mov_b32 s7, 0
	s_waitcnt lgkmcnt(0)
	s_ashr_i32 s0, s16, 31
	v_mov_b32_e32 v2, s16
	v_mov_b32_e32 v3, s0
	v_cmp_ge_i64_e32 vcc, s[6:7], v[2:3]
	s_cbranch_vccnz .LBB119_4
; %bb.1:
	s_load_dwordx8 s[8:15], s[4:5], 0x18
	s_ashr_i32 s0, s18, 31
	s_mul_hi_u32 s1, s18, s6
	s_mul_i32 s0, s0, s6
	s_add_i32 s1, s1, s0
	s_mul_i32 s0, s18, s6
	s_lshl_b64 s[0:1], s[0:1], 1
	s_waitcnt lgkmcnt(0)
	s_add_u32 s0, s8, s0
	s_addc_u32 s1, s9, s1
	s_add_i32 s2, s17, 1
	s_lshr_b32 s3, s2, 31
	s_add_i32 s2, s2, s3
	s_lshl_b32 s2, s2, 1
	s_and_b32 s2, s2, -4
	s_and_b32 s1, s1, 0xffff
	s_mov_b32 s3, 0x20000
	v_lshlrev_b32_e32 v1, 4, v0
	buffer_load_dwordx4 v[6:9], v1, s[0:3], 0 offen glc slc
	s_ashr_i32 s0, s19, 31
	s_mul_hi_u32 s1, s19, s6
	s_mul_i32 s0, s0, s6
	s_add_i32 s1, s1, s0
	s_mul_i32 s0, s19, s6
	s_and_b32 s9, s13, 0xffff
	s_lshl_b64 s[0:1], s[0:1], 1
	s_add_u32 s0, s10, s0
	s_addc_u32 s1, s11, s1
	s_and_b32 s1, s1, 0xffff
	buffer_load_dwordx4 v[10:13], v1, s[0:3], 0 offen glc slc
	s_mov_b32 s11, s3
	s_mov_b32 s8, s12
	;; [unrolled: 1-line block ×3, first 2 shown]
	buffer_load_dwordx4 v[2:5], v1, s[8:11], 0 offen
	s_load_dwordx2 s[12:13], s[4:5], 0x48
	s_load_dwordx4 s[8:11], s[4:5], 0x0
	v_and_b32_e32 v24, 63, v0
	v_cmp_eq_u32_e32 vcc, 63, v24
	s_waitcnt lgkmcnt(0)
	s_ashr_i32 s4, s12, 31
	s_mul_hi_u32 s1, s12, s6
	s_mul_i32 s4, s4, s6
	s_mul_i32 s0, s12, s6
	s_add_i32 s1, s1, s4
	s_lshl_b64 s[0:1], s[0:1], 1
	s_add_u32 s0, s10, s0
	s_addc_u32 s1, s11, s1
	s_and_b32 s1, s1, 0xffff
	s_waitcnt vmcnt(2)
	v_cvt_f32_f16_e32 v14, v6
	v_cvt_f32_f16_sdwa v15, v6 dst_sel:DWORD dst_unused:UNUSED_PAD src0_sel:WORD_1
	v_cvt_f32_f16_e32 v6, v7
	v_cvt_f32_f16_sdwa v7, v7 dst_sel:DWORD dst_unused:UNUSED_PAD src0_sel:WORD_1
	;; [unrolled: 2-line block ×4, first 2 shown]
	s_waitcnt vmcnt(1)
	v_cvt_f32_f16_e32 v8, v10
	v_cvt_f32_f16_sdwa v9, v10 dst_sel:DWORD dst_unused:UNUSED_PAD src0_sel:WORD_1
	v_cvt_f32_f16_e32 v10, v11
	v_cvt_f32_f16_sdwa v11, v11 dst_sel:DWORD dst_unused:UNUSED_PAD src0_sel:WORD_1
	v_cvt_f32_f16_e32 v20, v12
	v_cvt_f32_f16_sdwa v21, v12 dst_sel:DWORD dst_unused:UNUSED_PAD src0_sel:WORD_1
	v_cvt_f32_f16_e32 v22, v13
	v_cvt_f32_f16_sdwa v23, v13 dst_sel:DWORD dst_unused:UNUSED_PAD src0_sel:WORD_1
	v_pk_add_f32 v[12:13], v[14:15], v[8:9]
	v_pk_add_f32 v[10:11], v[6:7], v[10:11]
	;; [unrolled: 1-line block ×4, first 2 shown]
	v_cvt_f16_f32_e32 v22, v13
	v_cvt_f16_f32_e32 v23, v12
	;; [unrolled: 1-line block ×8, first 2 shown]
	v_pk_mul_f32 v[14:15], v[12:13], v[12:13]
	v_pk_mul_f32 v[16:17], v[10:11], v[10:11]
	v_add_f32_e32 v14, v14, v15
	v_add_f32_e32 v14, v16, v14
	v_pk_mul_f32 v[18:19], v[8:9], v[8:9]
	v_add_f32_e32 v31, v17, v14
	v_pack_b32_f16 v17, v30, v29
	v_pack_b32_f16 v16, v28, v27
	;; [unrolled: 1-line block ×4, first 2 shown]
	v_add_f32_e32 v18, v18, v31
	v_pk_mul_f32 v[20:21], v[6:7], v[6:7]
	buffer_store_dwordx4 v[14:17], v1, s[0:3], 0 offen glc slc
	;;#ASMSTART
	s_nop 0
	;;#ASMEND
	s_nop 0
	v_add_f32_e32 v14, v19, v18
	v_add_f32_e32 v14, v20, v14
	;; [unrolled: 1-line block ×3, first 2 shown]
	s_nop 1
	v_mov_b32_dpp v15, v14 quad_perm:[1,0,3,2] row_mask:0xf bank_mask:0xf
	v_add_f32_e32 v14, v14, v15
	s_nop 1
	v_mov_b32_dpp v15, v14 quad_perm:[2,3,0,1] row_mask:0xf bank_mask:0xf
	v_add_f32_e32 v14, v14, v15
	s_nop 1
	v_mov_b32_dpp v15, v14 row_half_mirror row_mask:0xf bank_mask:0xf
	v_add_f32_e32 v14, v14, v15
	s_nop 1
	v_mov_b32_dpp v15, v14 row_mirror row_mask:0xf bank_mask:0xf
	v_add_f32_e32 v14, v14, v15
	s_nop 1
	v_mov_b32_dpp v15, v14 row_bcast:15 row_mask:0xf bank_mask:0xf
	v_add_f32_e32 v14, v14, v15
	s_nop 1
	v_mov_b32_dpp v15, v14 row_bcast:31 row_mask:0xf bank_mask:0xf
	s_and_saveexec_b64 s[0:1], vcc
	s_cbranch_execz .LBB119_3
; %bb.2:
	v_lshrrev_b32_e32 v16, 4, v0
	v_and_b32_e32 v16, 60, v16
	v_add_f32_e32 v14, v14, v15
	ds_write_b32 v16, v14
.LBB119_3:
	s_or_b64 exec, exec, s[0:1]
	v_and_b32_e32 v0, 1, v0
	v_lshlrev_b32_e32 v0, 2, v0
	s_waitcnt lgkmcnt(0)
	s_barrier
	ds_read_b32 v0, v0
	v_cvt_f32_i32_e32 v14, s17
	s_ashr_i32 s4, s13, 31
	s_mul_hi_u32 s5, s13, s6
	s_mul_i32 s4, s4, s6
	s_waitcnt lgkmcnt(0)
	v_mov_b32_dpp v15, v0 quad_perm:[1,0,3,2] row_mask:0xf bank_mask:0xf
	v_add_f32_e32 v0, v0, v15
	v_div_scale_f32 v15, s[0:1], v14, v14, v0
	v_rcp_f32_e32 v16, v15
	s_add_i32 s1, s5, s4
	s_mov_b32 s4, 0x800000
	s_mul_i32 s0, s13, s6
	v_fma_f32 v17, -v15, v16, 1.0
	v_fmac_f32_e32 v16, v17, v16
	v_div_scale_f32 v17, vcc, v0, v14, v0
	v_mul_f32_e32 v18, v17, v16
	v_fma_f32 v19, -v15, v18, v17
	v_fmac_f32_e32 v18, v19, v16
	v_fma_f32 v15, -v15, v18, v17
	v_div_fmas_f32 v15, v15, v16, v18
	v_div_fixup_f32 v0, v15, v14, v0
	v_cvt_f64_f32_e32 v[14:15], v0
	v_add_f64 v[14:15], v[14:15], s[14:15]
	v_cvt_f32_f64_e32 v0, v[14:15]
	v_mul_f32_e32 v14, 0x4b800000, v0
	v_cmp_gt_f32_e32 vcc, s4, v0
	v_cndmask_b32_e32 v0, v0, v14, vcc
	v_rsq_f32_e32 v0, v0
	s_waitcnt vmcnt(1)
	v_cvt_f32_f16_sdwa v17, v3 dst_sel:DWORD dst_unused:UNUSED_PAD src0_sel:WORD_1
	v_cvt_f32_f16_e32 v16, v3
	v_cvt_f32_f16_sdwa v3, v4 dst_sel:DWORD dst_unused:UNUSED_PAD src0_sel:WORD_1
	v_mul_f32_e32 v14, 0x45800000, v0
	v_cndmask_b32_e32 v14, v0, v14, vcc
	v_mov_b32_e32 v15, v14
	;;#ASMSTART
	v_pk_mul_f32 v[12:13], v[12:13], v[14:15]
	;;#ASMEND
	;;#ASMSTART
	v_pk_mul_f32 v[10:11], v[10:11], v[14:15]
	;;#ASMEND
	;; [unrolled: 3-line block ×4, first 2 shown]
	v_cvt_f32_f16_sdwa v15, v2 dst_sel:DWORD dst_unused:UNUSED_PAD src0_sel:WORD_1
	v_cvt_f32_f16_e32 v14, v2
	v_cvt_f32_f16_e32 v2, v4
	v_cvt_f32_f16_sdwa v19, v5 dst_sel:DWORD dst_unused:UNUSED_PAD src0_sel:WORD_1
	v_cvt_f32_f16_e32 v18, v5
	;;#ASMSTART
	v_pk_mul_f32 v[4:5], v[12:13], v[14:15]
	;;#ASMEND
	;;#ASMSTART
	v_pk_mul_f32 v[10:11], v[10:11], v[16:17]
	;;#ASMEND
	;;#ASMSTART
	v_pk_mul_f32 v[2:3], v[8:9], v[2:3]
	;;#ASMEND
	;;#ASMSTART
	v_pk_mul_f32 v[6:7], v[6:7], v[18:19]
	;;#ASMEND
	v_cvt_f16_f32_e32 v0, v4
	v_cvt_f16_f32_e32 v4, v5
	;; [unrolled: 1-line block ×8, first 2 shown]
	s_lshl_b64 s[0:1], s[0:1], 1
	s_add_u32 s0, s8, s0
	s_addc_u32 s1, s9, s1
	s_and_b32 s1, s1, 0xffff
	v_pack_b32_f16 v2, v0, v4
	v_pack_b32_f16 v3, v5, v8
	;; [unrolled: 1-line block ×4, first 2 shown]
	buffer_store_dwordx4 v[2:5], v1, s[0:3], 0 offen
	;;#ASMSTART
	s_nop 0
	;;#ASMEND
.LBB119_4:
	s_endpgm
	.section	.rodata,"a",@progbits
	.p2align	6, 0x0
	.amdhsa_kernel _ZN5aiter24add_rmsnorm_quant_kernelIDF16_DF16_Li128ELi8ELb1ELb0ELb0ELi1EEEvPT0_PT_PfS4_S4_S4_diiiiiiib
		.amdhsa_group_segment_fixed_size 8
		.amdhsa_private_segment_fixed_size 0
		.amdhsa_kernarg_size 88
		.amdhsa_user_sgpr_count 6
		.amdhsa_user_sgpr_private_segment_buffer 1
		.amdhsa_user_sgpr_dispatch_ptr 0
		.amdhsa_user_sgpr_queue_ptr 0
		.amdhsa_user_sgpr_kernarg_segment_ptr 1
		.amdhsa_user_sgpr_dispatch_id 0
		.amdhsa_user_sgpr_flat_scratch_init 0
		.amdhsa_user_sgpr_kernarg_preload_length 0
		.amdhsa_user_sgpr_kernarg_preload_offset 0
		.amdhsa_user_sgpr_private_segment_size 0
		.amdhsa_uses_dynamic_stack 0
		.amdhsa_system_sgpr_private_segment_wavefront_offset 0
		.amdhsa_system_sgpr_workgroup_id_x 1
		.amdhsa_system_sgpr_workgroup_id_y 0
		.amdhsa_system_sgpr_workgroup_id_z 0
		.amdhsa_system_sgpr_workgroup_info 0
		.amdhsa_system_vgpr_workitem_id 0
		.amdhsa_next_free_vgpr 32
		.amdhsa_next_free_sgpr 20
		.amdhsa_accum_offset 32
		.amdhsa_reserve_vcc 1
		.amdhsa_reserve_flat_scratch 0
		.amdhsa_float_round_mode_32 0
		.amdhsa_float_round_mode_16_64 0
		.amdhsa_float_denorm_mode_32 3
		.amdhsa_float_denorm_mode_16_64 3
		.amdhsa_dx10_clamp 1
		.amdhsa_ieee_mode 1
		.amdhsa_fp16_overflow 0
		.amdhsa_tg_split 0
		.amdhsa_exception_fp_ieee_invalid_op 0
		.amdhsa_exception_fp_denorm_src 0
		.amdhsa_exception_fp_ieee_div_zero 0
		.amdhsa_exception_fp_ieee_overflow 0
		.amdhsa_exception_fp_ieee_underflow 0
		.amdhsa_exception_fp_ieee_inexact 0
		.amdhsa_exception_int_div_zero 0
	.end_amdhsa_kernel
	.section	.text._ZN5aiter24add_rmsnorm_quant_kernelIDF16_DF16_Li128ELi8ELb1ELb0ELb0ELi1EEEvPT0_PT_PfS4_S4_S4_diiiiiiib,"axG",@progbits,_ZN5aiter24add_rmsnorm_quant_kernelIDF16_DF16_Li128ELi8ELb1ELb0ELb0ELi1EEEvPT0_PT_PfS4_S4_S4_diiiiiiib,comdat
.Lfunc_end119:
	.size	_ZN5aiter24add_rmsnorm_quant_kernelIDF16_DF16_Li128ELi8ELb1ELb0ELb0ELi1EEEvPT0_PT_PfS4_S4_S4_diiiiiiib, .Lfunc_end119-_ZN5aiter24add_rmsnorm_quant_kernelIDF16_DF16_Li128ELi8ELb1ELb0ELb0ELi1EEEvPT0_PT_PfS4_S4_S4_diiiiiiib
                                        ; -- End function
	.section	.AMDGPU.csdata,"",@progbits
; Kernel info:
; codeLenInByte = 1092
; NumSgprs: 24
; NumVgprs: 32
; NumAgprs: 0
; TotalNumVgprs: 32
; ScratchSize: 0
; MemoryBound: 0
; FloatMode: 240
; IeeeMode: 1
; LDSByteSize: 8 bytes/workgroup (compile time only)
; SGPRBlocks: 2
; VGPRBlocks: 3
; NumSGPRsForWavesPerEU: 24
; NumVGPRsForWavesPerEU: 32
; AccumOffset: 32
; Occupancy: 8
; WaveLimiterHint : 0
; COMPUTE_PGM_RSRC2:SCRATCH_EN: 0
; COMPUTE_PGM_RSRC2:USER_SGPR: 6
; COMPUTE_PGM_RSRC2:TRAP_HANDLER: 0
; COMPUTE_PGM_RSRC2:TGID_X_EN: 1
; COMPUTE_PGM_RSRC2:TGID_Y_EN: 0
; COMPUTE_PGM_RSRC2:TGID_Z_EN: 0
; COMPUTE_PGM_RSRC2:TIDIG_COMP_CNT: 0
; COMPUTE_PGM_RSRC3_GFX90A:ACCUM_OFFSET: 7
; COMPUTE_PGM_RSRC3_GFX90A:TG_SPLIT: 0
	.section	.text._ZN5aiter24add_rmsnorm_quant_kernelIttLi128ELi8ELb1ELb0ELb0ELi1EEEvPT0_PT_PfS4_S4_S4_diiiiiiib,"axG",@progbits,_ZN5aiter24add_rmsnorm_quant_kernelIttLi128ELi8ELb1ELb0ELb0ELi1EEEvPT0_PT_PfS4_S4_S4_diiiiiiib,comdat
	.protected	_ZN5aiter24add_rmsnorm_quant_kernelIttLi128ELi8ELb1ELb0ELb0ELi1EEEvPT0_PT_PfS4_S4_S4_diiiiiiib ; -- Begin function _ZN5aiter24add_rmsnorm_quant_kernelIttLi128ELi8ELb1ELb0ELb0ELi1EEEvPT0_PT_PfS4_S4_S4_diiiiiiib
	.globl	_ZN5aiter24add_rmsnorm_quant_kernelIttLi128ELi8ELb1ELb0ELb0ELi1EEEvPT0_PT_PfS4_S4_S4_diiiiiiib
	.p2align	8
	.type	_ZN5aiter24add_rmsnorm_quant_kernelIttLi128ELi8ELb1ELb0ELb0ELi1EEEvPT0_PT_PfS4_S4_S4_diiiiiiib,@function
_ZN5aiter24add_rmsnorm_quant_kernelIttLi128ELi8ELb1ELb0ELb0ELi1EEEvPT0_PT_PfS4_S4_S4_diiiiiiib: ; @_ZN5aiter24add_rmsnorm_quant_kernelIttLi128ELi8ELb1ELb0ELb0ELi1EEEvPT0_PT_PfS4_S4_S4_diiiiiiib
; %bb.0:
	s_load_dwordx4 s[16:19], s[4:5], 0x38
	s_mov_b32 s7, 0
	s_waitcnt lgkmcnt(0)
	s_ashr_i32 s0, s16, 31
	v_mov_b32_e32 v2, s16
	v_mov_b32_e32 v3, s0
	v_cmp_ge_i64_e32 vcc, s[6:7], v[2:3]
	s_cbranch_vccnz .LBB120_4
; %bb.1:
	s_load_dwordx8 s[8:15], s[4:5], 0x18
	s_ashr_i32 s0, s18, 31
	s_mul_hi_u32 s1, s18, s6
	s_mul_i32 s0, s0, s6
	s_add_i32 s1, s1, s0
	s_mul_i32 s0, s18, s6
	s_lshl_b64 s[0:1], s[0:1], 1
	s_waitcnt lgkmcnt(0)
	s_add_u32 s0, s8, s0
	s_addc_u32 s1, s9, s1
	s_add_i32 s2, s17, 1
	s_lshr_b32 s3, s2, 31
	s_add_i32 s2, s2, s3
	s_lshl_b32 s2, s2, 1
	s_and_b32 s2, s2, -4
	s_and_b32 s1, s1, 0xffff
	s_mov_b32 s3, 0x20000
	v_lshlrev_b32_e32 v1, 4, v0
	buffer_load_dwordx4 v[6:9], v1, s[0:3], 0 offen glc slc
	s_ashr_i32 s0, s19, 31
	s_mul_hi_u32 s1, s19, s6
	s_mul_i32 s0, s0, s6
	s_add_i32 s1, s1, s0
	s_mul_i32 s0, s19, s6
	s_and_b32 s9, s13, 0xffff
	s_lshl_b64 s[0:1], s[0:1], 1
	s_add_u32 s0, s10, s0
	s_addc_u32 s1, s11, s1
	s_and_b32 s1, s1, 0xffff
	buffer_load_dwordx4 v[10:13], v1, s[0:3], 0 offen glc slc
	s_mov_b32 s11, s3
	s_mov_b32 s8, s12
	;; [unrolled: 1-line block ×3, first 2 shown]
	buffer_load_dwordx4 v[2:5], v1, s[8:11], 0 offen
	s_load_dwordx2 s[12:13], s[4:5], 0x48
	s_load_dwordx4 s[8:11], s[4:5], 0x0
	s_mov_b32 s4, 0x7060302
	v_and_b32_e32 v26, 63, v0
	v_cmp_eq_u32_e32 vcc, 63, v26
	s_waitcnt lgkmcnt(0)
	s_ashr_i32 s5, s12, 31
	s_mul_hi_u32 s1, s12, s6
	s_mul_i32 s5, s5, s6
	s_mul_i32 s0, s12, s6
	s_add_i32 s1, s1, s5
	s_lshl_b64 s[0:1], s[0:1], 1
	s_add_u32 s0, s10, s0
	s_addc_u32 s1, s11, s1
	s_and_b32 s1, s1, 0xffff
	s_waitcnt vmcnt(2)
	v_cvt_f32_u32_sdwa v15, v6 dst_sel:DWORD dst_unused:UNUSED_PAD src0_sel:WORD_1
	v_cvt_f32_u32_sdwa v14, v6 dst_sel:DWORD dst_unused:UNUSED_PAD src0_sel:WORD_0
	v_cvt_f32_u32_sdwa v17, v7 dst_sel:DWORD dst_unused:UNUSED_PAD src0_sel:WORD_1
	v_cvt_f32_u32_sdwa v16, v7 dst_sel:DWORD dst_unused:UNUSED_PAD src0_sel:WORD_0
	;; [unrolled: 2-line block ×4, first 2 shown]
	s_waitcnt vmcnt(1)
	v_cvt_f32_u32_sdwa v9, v10 dst_sel:DWORD dst_unused:UNUSED_PAD src0_sel:WORD_1
	v_cvt_f32_u32_sdwa v8, v10 dst_sel:DWORD dst_unused:UNUSED_PAD src0_sel:WORD_0
	v_cvt_f32_u32_sdwa v21, v11 dst_sel:DWORD dst_unused:UNUSED_PAD src0_sel:WORD_1
	v_cvt_f32_u32_sdwa v20, v11 dst_sel:DWORD dst_unused:UNUSED_PAD src0_sel:WORD_0
	;; [unrolled: 2-line block ×4, first 2 shown]
	v_pk_add_f32 v[12:13], v[14:15], v[8:9]
	v_pk_add_f32 v[10:11], v[16:17], v[20:21]
	;; [unrolled: 1-line block ×4, first 2 shown]
	v_perm_b32 v17, v7, v6, s4
	v_perm_b32 v16, v9, v8, s4
	;; [unrolled: 1-line block ×4, first 2 shown]
	v_pk_mul_f32 v[18:19], v[12:13], v[12:13]
	v_pk_mul_f32 v[20:21], v[10:11], v[10:11]
	buffer_store_dwordx4 v[14:17], v1, s[0:3], 0 offen glc slc
	v_pk_mul_f32 v[22:23], v[8:9], v[8:9]
	v_add_f32_e32 v14, v18, v19
	v_add_f32_e32 v14, v20, v14
	;; [unrolled: 1-line block ×4, first 2 shown]
	v_pk_mul_f32 v[24:25], v[6:7], v[6:7]
	v_add_f32_e32 v14, v23, v14
	v_add_f32_e32 v14, v24, v14
	v_add_f32_e32 v14, v25, v14
	;;#ASMSTART
	s_nop 0
	;;#ASMEND
	s_nop 1
	v_mov_b32_dpp v15, v14 quad_perm:[1,0,3,2] row_mask:0xf bank_mask:0xf
	v_add_f32_e32 v14, v14, v15
	s_nop 1
	v_mov_b32_dpp v15, v14 quad_perm:[2,3,0,1] row_mask:0xf bank_mask:0xf
	v_add_f32_e32 v14, v14, v15
	s_nop 1
	v_mov_b32_dpp v15, v14 row_half_mirror row_mask:0xf bank_mask:0xf
	v_add_f32_e32 v14, v14, v15
	s_nop 1
	v_mov_b32_dpp v15, v14 row_mirror row_mask:0xf bank_mask:0xf
	v_add_f32_e32 v14, v14, v15
	s_nop 1
	v_mov_b32_dpp v15, v14 row_bcast:15 row_mask:0xf bank_mask:0xf
	v_add_f32_e32 v14, v14, v15
	s_nop 1
	v_mov_b32_dpp v15, v14 row_bcast:31 row_mask:0xf bank_mask:0xf
	s_and_saveexec_b64 s[0:1], vcc
	s_cbranch_execz .LBB120_3
; %bb.2:
	v_lshrrev_b32_e32 v16, 4, v0
	v_and_b32_e32 v16, 60, v16
	v_add_f32_e32 v14, v14, v15
	ds_write_b32 v16, v14
.LBB120_3:
	s_or_b64 exec, exec, s[0:1]
	v_and_b32_e32 v0, 1, v0
	v_lshlrev_b32_e32 v0, 2, v0
	s_waitcnt lgkmcnt(0)
	s_barrier
	ds_read_b32 v0, v0
	v_cvt_f32_i32_e32 v14, s17
	s_ashr_i32 s5, s13, 31
	s_mul_hi_u32 s7, s13, s6
	s_mul_i32 s5, s5, s6
	s_waitcnt lgkmcnt(0)
	v_mov_b32_dpp v15, v0 quad_perm:[1,0,3,2] row_mask:0xf bank_mask:0xf
	v_add_f32_e32 v0, v0, v15
	v_div_scale_f32 v15, s[0:1], v14, v14, v0
	v_rcp_f32_e32 v16, v15
	s_add_i32 s1, s7, s5
	s_mov_b32 s5, 0x800000
	s_mul_i32 s0, s13, s6
	v_fma_f32 v17, -v15, v16, 1.0
	v_fmac_f32_e32 v16, v17, v16
	v_div_scale_f32 v17, vcc, v0, v14, v0
	v_mul_f32_e32 v18, v17, v16
	v_fma_f32 v19, -v15, v18, v17
	v_fmac_f32_e32 v18, v19, v16
	v_fma_f32 v15, -v15, v18, v17
	v_div_fmas_f32 v15, v15, v16, v18
	v_div_fixup_f32 v0, v15, v14, v0
	v_cvt_f64_f32_e32 v[14:15], v0
	v_add_f64 v[14:15], v[14:15], s[14:15]
	v_cvt_f32_f64_e32 v0, v[14:15]
	v_mul_f32_e32 v14, 0x4b800000, v0
	v_cmp_gt_f32_e32 vcc, s5, v0
	v_cndmask_b32_e32 v0, v0, v14, vcc
	v_rsq_f32_e32 v0, v0
	s_lshl_b64 s[0:1], s[0:1], 1
	s_add_u32 s0, s8, s0
	s_addc_u32 s1, s9, s1
	v_mul_f32_e32 v14, 0x45800000, v0
	v_cndmask_b32_e32 v14, v0, v14, vcc
	v_mov_b32_e32 v15, v14
	;;#ASMSTART
	v_pk_mul_f32 v[12:13], v[12:13], v[14:15]
	;;#ASMEND
	;;#ASMSTART
	v_pk_mul_f32 v[10:11], v[10:11], v[14:15]
	;;#ASMEND
	;; [unrolled: 3-line block ×4, first 2 shown]
	s_waitcnt vmcnt(1)
	v_cvt_f32_u32_sdwa v15, v2 dst_sel:DWORD dst_unused:UNUSED_PAD src0_sel:WORD_1
	v_cvt_f32_u32_sdwa v14, v2 dst_sel:DWORD dst_unused:UNUSED_PAD src0_sel:WORD_0
	v_cvt_f32_u32_sdwa v17, v3 dst_sel:DWORD dst_unused:UNUSED_PAD src0_sel:WORD_1
	v_cvt_f32_u32_sdwa v16, v3 dst_sel:DWORD dst_unused:UNUSED_PAD src0_sel:WORD_0
	;; [unrolled: 2-line block ×4, first 2 shown]
	;;#ASMSTART
	v_pk_mul_f32 v[4:5], v[12:13], v[14:15]
	;;#ASMEND
	;;#ASMSTART
	v_pk_mul_f32 v[10:11], v[10:11], v[16:17]
	;;#ASMEND
	;; [unrolled: 3-line block ×4, first 2 shown]
	s_and_b32 s1, s1, 0xffff
	v_perm_b32 v2, v5, v4, s4
	v_perm_b32 v3, v11, v10, s4
	;; [unrolled: 1-line block ×4, first 2 shown]
	buffer_store_dwordx4 v[2:5], v1, s[0:3], 0 offen
	;;#ASMSTART
	s_nop 0
	;;#ASMEND
.LBB120_4:
	s_endpgm
	.section	.rodata,"a",@progbits
	.p2align	6, 0x0
	.amdhsa_kernel _ZN5aiter24add_rmsnorm_quant_kernelIttLi128ELi8ELb1ELb0ELb0ELi1EEEvPT0_PT_PfS4_S4_S4_diiiiiiib
		.amdhsa_group_segment_fixed_size 8
		.amdhsa_private_segment_fixed_size 0
		.amdhsa_kernarg_size 88
		.amdhsa_user_sgpr_count 6
		.amdhsa_user_sgpr_private_segment_buffer 1
		.amdhsa_user_sgpr_dispatch_ptr 0
		.amdhsa_user_sgpr_queue_ptr 0
		.amdhsa_user_sgpr_kernarg_segment_ptr 1
		.amdhsa_user_sgpr_dispatch_id 0
		.amdhsa_user_sgpr_flat_scratch_init 0
		.amdhsa_user_sgpr_kernarg_preload_length 0
		.amdhsa_user_sgpr_kernarg_preload_offset 0
		.amdhsa_user_sgpr_private_segment_size 0
		.amdhsa_uses_dynamic_stack 0
		.amdhsa_system_sgpr_private_segment_wavefront_offset 0
		.amdhsa_system_sgpr_workgroup_id_x 1
		.amdhsa_system_sgpr_workgroup_id_y 0
		.amdhsa_system_sgpr_workgroup_id_z 0
		.amdhsa_system_sgpr_workgroup_info 0
		.amdhsa_system_vgpr_workitem_id 0
		.amdhsa_next_free_vgpr 27
		.amdhsa_next_free_sgpr 20
		.amdhsa_accum_offset 28
		.amdhsa_reserve_vcc 1
		.amdhsa_reserve_flat_scratch 0
		.amdhsa_float_round_mode_32 0
		.amdhsa_float_round_mode_16_64 0
		.amdhsa_float_denorm_mode_32 3
		.amdhsa_float_denorm_mode_16_64 3
		.amdhsa_dx10_clamp 1
		.amdhsa_ieee_mode 1
		.amdhsa_fp16_overflow 0
		.amdhsa_tg_split 0
		.amdhsa_exception_fp_ieee_invalid_op 0
		.amdhsa_exception_fp_denorm_src 0
		.amdhsa_exception_fp_ieee_div_zero 0
		.amdhsa_exception_fp_ieee_overflow 0
		.amdhsa_exception_fp_ieee_underflow 0
		.amdhsa_exception_fp_ieee_inexact 0
		.amdhsa_exception_int_div_zero 0
	.end_amdhsa_kernel
	.section	.text._ZN5aiter24add_rmsnorm_quant_kernelIttLi128ELi8ELb1ELb0ELb0ELi1EEEvPT0_PT_PfS4_S4_S4_diiiiiiib,"axG",@progbits,_ZN5aiter24add_rmsnorm_quant_kernelIttLi128ELi8ELb1ELb0ELb0ELi1EEEvPT0_PT_PfS4_S4_S4_diiiiiiib,comdat
.Lfunc_end120:
	.size	_ZN5aiter24add_rmsnorm_quant_kernelIttLi128ELi8ELb1ELb0ELb0ELi1EEEvPT0_PT_PfS4_S4_S4_diiiiiiib, .Lfunc_end120-_ZN5aiter24add_rmsnorm_quant_kernelIttLi128ELi8ELb1ELb0ELb0ELi1EEEvPT0_PT_PfS4_S4_S4_diiiiiiib
                                        ; -- End function
	.section	.AMDGPU.csdata,"",@progbits
; Kernel info:
; codeLenInByte = 1080
; NumSgprs: 24
; NumVgprs: 27
; NumAgprs: 0
; TotalNumVgprs: 27
; ScratchSize: 0
; MemoryBound: 0
; FloatMode: 240
; IeeeMode: 1
; LDSByteSize: 8 bytes/workgroup (compile time only)
; SGPRBlocks: 2
; VGPRBlocks: 3
; NumSGPRsForWavesPerEU: 24
; NumVGPRsForWavesPerEU: 27
; AccumOffset: 28
; Occupancy: 8
; WaveLimiterHint : 0
; COMPUTE_PGM_RSRC2:SCRATCH_EN: 0
; COMPUTE_PGM_RSRC2:USER_SGPR: 6
; COMPUTE_PGM_RSRC2:TRAP_HANDLER: 0
; COMPUTE_PGM_RSRC2:TGID_X_EN: 1
; COMPUTE_PGM_RSRC2:TGID_Y_EN: 0
; COMPUTE_PGM_RSRC2:TGID_Z_EN: 0
; COMPUTE_PGM_RSRC2:TIDIG_COMP_CNT: 0
; COMPUTE_PGM_RSRC3_GFX90A:ACCUM_OFFSET: 6
; COMPUTE_PGM_RSRC3_GFX90A:TG_SPLIT: 0
	.section	.text._ZN5aiter24add_rmsnorm_quant_kernelIDF16_DF16_Li256ELi8ELb1ELb0ELb1ELi1EEEvPT0_PT_PfS4_S4_S4_diiiiiiib,"axG",@progbits,_ZN5aiter24add_rmsnorm_quant_kernelIDF16_DF16_Li256ELi8ELb1ELb0ELb1ELi1EEEvPT0_PT_PfS4_S4_S4_diiiiiiib,comdat
	.protected	_ZN5aiter24add_rmsnorm_quant_kernelIDF16_DF16_Li256ELi8ELb1ELb0ELb1ELi1EEEvPT0_PT_PfS4_S4_S4_diiiiiiib ; -- Begin function _ZN5aiter24add_rmsnorm_quant_kernelIDF16_DF16_Li256ELi8ELb1ELb0ELb1ELi1EEEvPT0_PT_PfS4_S4_S4_diiiiiiib
	.globl	_ZN5aiter24add_rmsnorm_quant_kernelIDF16_DF16_Li256ELi8ELb1ELb0ELb1ELi1EEEvPT0_PT_PfS4_S4_S4_diiiiiiib
	.p2align	8
	.type	_ZN5aiter24add_rmsnorm_quant_kernelIDF16_DF16_Li256ELi8ELb1ELb0ELb1ELi1EEEvPT0_PT_PfS4_S4_S4_diiiiiiib,@function
_ZN5aiter24add_rmsnorm_quant_kernelIDF16_DF16_Li256ELi8ELb1ELb0ELb1ELi1EEEvPT0_PT_PfS4_S4_S4_diiiiiiib: ; @_ZN5aiter24add_rmsnorm_quant_kernelIDF16_DF16_Li256ELi8ELb1ELb0ELb1ELi1EEEvPT0_PT_PfS4_S4_S4_diiiiiiib
; %bb.0:
	s_load_dwordx4 s[16:19], s[4:5], 0x38
	s_mov_b32 s7, 0
	s_waitcnt lgkmcnt(0)
	s_ashr_i32 s0, s16, 31
	v_mov_b32_e32 v2, s16
	v_mov_b32_e32 v3, s0
	v_cmp_ge_i64_e32 vcc, s[6:7], v[2:3]
	s_cbranch_vccnz .LBB121_4
; %bb.1:
	s_load_dwordx8 s[8:15], s[4:5], 0x18
	s_ashr_i32 s0, s18, 31
	s_mul_hi_u32 s1, s18, s6
	s_mul_i32 s0, s0, s6
	s_add_i32 s1, s1, s0
	s_mul_i32 s0, s18, s6
	s_lshl_b64 s[0:1], s[0:1], 1
	s_waitcnt lgkmcnt(0)
	s_add_u32 s0, s8, s0
	s_addc_u32 s1, s9, s1
	s_add_i32 s2, s17, 1
	s_lshr_b32 s3, s2, 31
	s_add_i32 s2, s2, s3
	s_lshl_b32 s2, s2, 1
	s_and_b32 s2, s2, -4
	s_and_b32 s1, s1, 0xffff
	s_mov_b32 s3, 0x20000
	v_lshlrev_b32_e32 v1, 4, v0
	buffer_load_dwordx4 v[6:9], v1, s[0:3], 0 offen glc slc
	s_ashr_i32 s0, s19, 31
	s_mul_hi_u32 s1, s19, s6
	s_mul_i32 s0, s0, s6
	s_add_i32 s1, s1, s0
	s_mul_i32 s0, s19, s6
	s_and_b32 s9, s13, 0xffff
	s_lshl_b64 s[0:1], s[0:1], 1
	s_add_u32 s0, s10, s0
	s_addc_u32 s1, s11, s1
	s_and_b32 s1, s1, 0xffff
	buffer_load_dwordx4 v[10:13], v1, s[0:3], 0 offen glc slc
	s_mov_b32 s11, s3
	s_mov_b32 s8, s12
	s_mov_b32 s10, s2
	buffer_load_dwordx4 v[2:5], v1, s[8:11], 0 offen
	s_load_dwordx2 s[12:13], s[4:5], 0x48
	s_load_dwordx4 s[8:11], s[4:5], 0x0
	v_and_b32_e32 v24, 63, v0
	v_cmp_eq_u32_e32 vcc, 63, v24
	s_waitcnt lgkmcnt(0)
	s_ashr_i32 s4, s12, 31
	s_mul_hi_u32 s1, s12, s6
	s_mul_i32 s4, s4, s6
	s_mul_i32 s0, s12, s6
	s_add_i32 s1, s1, s4
	s_lshl_b64 s[0:1], s[0:1], 1
	s_add_u32 s0, s10, s0
	s_addc_u32 s1, s11, s1
	s_and_b32 s1, s1, 0xffff
	s_waitcnt vmcnt(2)
	v_cvt_f32_f16_e32 v14, v6
	v_cvt_f32_f16_sdwa v15, v6 dst_sel:DWORD dst_unused:UNUSED_PAD src0_sel:WORD_1
	v_cvt_f32_f16_e32 v6, v7
	v_cvt_f32_f16_sdwa v7, v7 dst_sel:DWORD dst_unused:UNUSED_PAD src0_sel:WORD_1
	;; [unrolled: 2-line block ×4, first 2 shown]
	s_waitcnt vmcnt(1)
	v_cvt_f32_f16_e32 v8, v10
	v_cvt_f32_f16_sdwa v9, v10 dst_sel:DWORD dst_unused:UNUSED_PAD src0_sel:WORD_1
	v_cvt_f32_f16_e32 v10, v11
	v_cvt_f32_f16_sdwa v11, v11 dst_sel:DWORD dst_unused:UNUSED_PAD src0_sel:WORD_1
	;; [unrolled: 2-line block ×4, first 2 shown]
	v_pk_add_f32 v[12:13], v[14:15], v[8:9]
	v_pk_add_f32 v[10:11], v[6:7], v[10:11]
	;; [unrolled: 1-line block ×4, first 2 shown]
	v_cvt_f16_f32_e32 v22, v13
	v_cvt_f16_f32_e32 v23, v12
	;; [unrolled: 1-line block ×8, first 2 shown]
	v_pk_mul_f32 v[14:15], v[12:13], v[12:13]
	v_pk_mul_f32 v[16:17], v[10:11], v[10:11]
	v_add_f32_e32 v14, v14, v15
	v_add_f32_e32 v14, v16, v14
	v_pk_mul_f32 v[18:19], v[8:9], v[8:9]
	v_add_f32_e32 v31, v17, v14
	v_pack_b32_f16 v17, v30, v29
	v_pack_b32_f16 v16, v28, v27
	;; [unrolled: 1-line block ×4, first 2 shown]
	v_add_f32_e32 v18, v18, v31
	v_pk_mul_f32 v[20:21], v[6:7], v[6:7]
	buffer_store_dwordx4 v[14:17], v1, s[0:3], 0 offen glc slc
	;;#ASMSTART
	s_nop 0
	;;#ASMEND
	s_nop 0
	v_add_f32_e32 v14, v19, v18
	v_add_f32_e32 v14, v20, v14
	;; [unrolled: 1-line block ×3, first 2 shown]
	s_nop 1
	v_mov_b32_dpp v15, v14 quad_perm:[1,0,3,2] row_mask:0xf bank_mask:0xf
	v_add_f32_e32 v14, v14, v15
	s_nop 1
	v_mov_b32_dpp v15, v14 quad_perm:[2,3,0,1] row_mask:0xf bank_mask:0xf
	v_add_f32_e32 v14, v14, v15
	s_nop 1
	v_mov_b32_dpp v15, v14 row_half_mirror row_mask:0xf bank_mask:0xf
	v_add_f32_e32 v14, v14, v15
	s_nop 1
	v_mov_b32_dpp v15, v14 row_mirror row_mask:0xf bank_mask:0xf
	v_add_f32_e32 v14, v14, v15
	s_nop 1
	v_mov_b32_dpp v15, v14 row_bcast:15 row_mask:0xf bank_mask:0xf
	v_add_f32_e32 v14, v14, v15
	s_nop 1
	v_mov_b32_dpp v15, v14 row_bcast:31 row_mask:0xf bank_mask:0xf
	s_and_saveexec_b64 s[0:1], vcc
	s_cbranch_execz .LBB121_3
; %bb.2:
	v_lshrrev_b32_e32 v16, 4, v0
	v_and_b32_e32 v16, 60, v16
	v_add_f32_e32 v14, v14, v15
	ds_write_b32 v16, v14
.LBB121_3:
	s_or_b64 exec, exec, s[0:1]
	v_and_b32_e32 v0, 3, v0
	v_lshlrev_b32_e32 v0, 2, v0
	s_waitcnt lgkmcnt(0)
	s_barrier
	ds_read_b32 v0, v0
	s_ashr_i32 s4, s13, 31
	s_mul_hi_u32 s5, s13, s6
	s_mul_i32 s4, s4, s6
	s_waitcnt lgkmcnt(0)
	v_mov_b32_dpp v14, v0 quad_perm:[1,0,3,2] row_mask:0xf bank_mask:0xf
	v_add_f32_e32 v0, v0, v14
	v_cvt_f32_i32_e32 v14, s17
	s_nop 0
	v_mov_b32_dpp v15, v0 quad_perm:[2,3,0,1] row_mask:0xf bank_mask:0xf
	v_add_f32_e32 v0, v0, v15
	v_div_scale_f32 v15, s[0:1], v14, v14, v0
	v_rcp_f32_e32 v16, v15
	s_add_i32 s1, s5, s4
	s_mov_b32 s4, 0x800000
	s_mul_i32 s0, s13, s6
	v_fma_f32 v17, -v15, v16, 1.0
	v_fmac_f32_e32 v16, v17, v16
	v_div_scale_f32 v17, vcc, v0, v14, v0
	v_mul_f32_e32 v18, v17, v16
	v_fma_f32 v19, -v15, v18, v17
	v_fmac_f32_e32 v18, v19, v16
	v_fma_f32 v15, -v15, v18, v17
	v_div_fmas_f32 v15, v15, v16, v18
	v_div_fixup_f32 v0, v15, v14, v0
	v_cvt_f64_f32_e32 v[14:15], v0
	v_add_f64 v[14:15], v[14:15], s[14:15]
	v_cvt_f32_f64_e32 v0, v[14:15]
	v_mul_f32_e32 v14, 0x4b800000, v0
	v_cmp_gt_f32_e32 vcc, s4, v0
	v_cndmask_b32_e32 v0, v0, v14, vcc
	v_rsq_f32_e32 v0, v0
	s_waitcnt vmcnt(1)
	v_cvt_f32_f16_sdwa v17, v3 dst_sel:DWORD dst_unused:UNUSED_PAD src0_sel:WORD_1
	v_cvt_f32_f16_e32 v16, v3
	v_cvt_f32_f16_sdwa v3, v4 dst_sel:DWORD dst_unused:UNUSED_PAD src0_sel:WORD_1
	v_mul_f32_e32 v14, 0x45800000, v0
	v_cndmask_b32_e32 v14, v0, v14, vcc
	v_mov_b32_e32 v15, v14
	;;#ASMSTART
	v_pk_mul_f32 v[12:13], v[12:13], v[14:15]
	;;#ASMEND
	;;#ASMSTART
	v_pk_mul_f32 v[10:11], v[10:11], v[14:15]
	;;#ASMEND
	;; [unrolled: 3-line block ×4, first 2 shown]
	v_cvt_f32_f16_sdwa v15, v2 dst_sel:DWORD dst_unused:UNUSED_PAD src0_sel:WORD_1
	v_cvt_f32_f16_e32 v14, v2
	v_cvt_f32_f16_e32 v2, v4
	v_cvt_f32_f16_sdwa v19, v5 dst_sel:DWORD dst_unused:UNUSED_PAD src0_sel:WORD_1
	v_cvt_f32_f16_e32 v18, v5
	;;#ASMSTART
	v_pk_mul_f32 v[4:5], v[12:13], v[14:15]
	;;#ASMEND
	;;#ASMSTART
	v_pk_mul_f32 v[10:11], v[10:11], v[16:17]
	;;#ASMEND
	;; [unrolled: 3-line block ×4, first 2 shown]
	v_cvt_f16_f32_e32 v0, v4
	v_cvt_f16_f32_e32 v4, v5
	;; [unrolled: 1-line block ×8, first 2 shown]
	s_lshl_b64 s[0:1], s[0:1], 1
	s_add_u32 s0, s8, s0
	s_addc_u32 s1, s9, s1
	s_and_b32 s1, s1, 0xffff
	v_pack_b32_f16 v2, v0, v4
	v_pack_b32_f16 v3, v5, v8
	;; [unrolled: 1-line block ×4, first 2 shown]
	buffer_store_dwordx4 v[2:5], v1, s[0:3], 0 offen
	;;#ASMSTART
	s_nop 0
	;;#ASMEND
.LBB121_4:
	s_endpgm
	.section	.rodata,"a",@progbits
	.p2align	6, 0x0
	.amdhsa_kernel _ZN5aiter24add_rmsnorm_quant_kernelIDF16_DF16_Li256ELi8ELb1ELb0ELb1ELi1EEEvPT0_PT_PfS4_S4_S4_diiiiiiib
		.amdhsa_group_segment_fixed_size 16
		.amdhsa_private_segment_fixed_size 0
		.amdhsa_kernarg_size 88
		.amdhsa_user_sgpr_count 6
		.amdhsa_user_sgpr_private_segment_buffer 1
		.amdhsa_user_sgpr_dispatch_ptr 0
		.amdhsa_user_sgpr_queue_ptr 0
		.amdhsa_user_sgpr_kernarg_segment_ptr 1
		.amdhsa_user_sgpr_dispatch_id 0
		.amdhsa_user_sgpr_flat_scratch_init 0
		.amdhsa_user_sgpr_kernarg_preload_length 0
		.amdhsa_user_sgpr_kernarg_preload_offset 0
		.amdhsa_user_sgpr_private_segment_size 0
		.amdhsa_uses_dynamic_stack 0
		.amdhsa_system_sgpr_private_segment_wavefront_offset 0
		.amdhsa_system_sgpr_workgroup_id_x 1
		.amdhsa_system_sgpr_workgroup_id_y 0
		.amdhsa_system_sgpr_workgroup_id_z 0
		.amdhsa_system_sgpr_workgroup_info 0
		.amdhsa_system_vgpr_workitem_id 0
		.amdhsa_next_free_vgpr 32
		.amdhsa_next_free_sgpr 20
		.amdhsa_accum_offset 32
		.amdhsa_reserve_vcc 1
		.amdhsa_reserve_flat_scratch 0
		.amdhsa_float_round_mode_32 0
		.amdhsa_float_round_mode_16_64 0
		.amdhsa_float_denorm_mode_32 3
		.amdhsa_float_denorm_mode_16_64 3
		.amdhsa_dx10_clamp 1
		.amdhsa_ieee_mode 1
		.amdhsa_fp16_overflow 0
		.amdhsa_tg_split 0
		.amdhsa_exception_fp_ieee_invalid_op 0
		.amdhsa_exception_fp_denorm_src 0
		.amdhsa_exception_fp_ieee_div_zero 0
		.amdhsa_exception_fp_ieee_overflow 0
		.amdhsa_exception_fp_ieee_underflow 0
		.amdhsa_exception_fp_ieee_inexact 0
		.amdhsa_exception_int_div_zero 0
	.end_amdhsa_kernel
	.section	.text._ZN5aiter24add_rmsnorm_quant_kernelIDF16_DF16_Li256ELi8ELb1ELb0ELb1ELi1EEEvPT0_PT_PfS4_S4_S4_diiiiiiib,"axG",@progbits,_ZN5aiter24add_rmsnorm_quant_kernelIDF16_DF16_Li256ELi8ELb1ELb0ELb1ELi1EEEvPT0_PT_PfS4_S4_S4_diiiiiiib,comdat
.Lfunc_end121:
	.size	_ZN5aiter24add_rmsnorm_quant_kernelIDF16_DF16_Li256ELi8ELb1ELb0ELb1ELi1EEEvPT0_PT_PfS4_S4_S4_diiiiiiib, .Lfunc_end121-_ZN5aiter24add_rmsnorm_quant_kernelIDF16_DF16_Li256ELi8ELb1ELb0ELb1ELi1EEEvPT0_PT_PfS4_S4_S4_diiiiiiib
                                        ; -- End function
	.section	.AMDGPU.csdata,"",@progbits
; Kernel info:
; codeLenInByte = 1108
; NumSgprs: 24
; NumVgprs: 32
; NumAgprs: 0
; TotalNumVgprs: 32
; ScratchSize: 0
; MemoryBound: 0
; FloatMode: 240
; IeeeMode: 1
; LDSByteSize: 16 bytes/workgroup (compile time only)
; SGPRBlocks: 2
; VGPRBlocks: 3
; NumSGPRsForWavesPerEU: 24
; NumVGPRsForWavesPerEU: 32
; AccumOffset: 32
; Occupancy: 8
; WaveLimiterHint : 0
; COMPUTE_PGM_RSRC2:SCRATCH_EN: 0
; COMPUTE_PGM_RSRC2:USER_SGPR: 6
; COMPUTE_PGM_RSRC2:TRAP_HANDLER: 0
; COMPUTE_PGM_RSRC2:TGID_X_EN: 1
; COMPUTE_PGM_RSRC2:TGID_Y_EN: 0
; COMPUTE_PGM_RSRC2:TGID_Z_EN: 0
; COMPUTE_PGM_RSRC2:TIDIG_COMP_CNT: 0
; COMPUTE_PGM_RSRC3_GFX90A:ACCUM_OFFSET: 7
; COMPUTE_PGM_RSRC3_GFX90A:TG_SPLIT: 0
	.section	.text._ZN5aiter24add_rmsnorm_quant_kernelIttLi256ELi8ELb1ELb0ELb1ELi1EEEvPT0_PT_PfS4_S4_S4_diiiiiiib,"axG",@progbits,_ZN5aiter24add_rmsnorm_quant_kernelIttLi256ELi8ELb1ELb0ELb1ELi1EEEvPT0_PT_PfS4_S4_S4_diiiiiiib,comdat
	.protected	_ZN5aiter24add_rmsnorm_quant_kernelIttLi256ELi8ELb1ELb0ELb1ELi1EEEvPT0_PT_PfS4_S4_S4_diiiiiiib ; -- Begin function _ZN5aiter24add_rmsnorm_quant_kernelIttLi256ELi8ELb1ELb0ELb1ELi1EEEvPT0_PT_PfS4_S4_S4_diiiiiiib
	.globl	_ZN5aiter24add_rmsnorm_quant_kernelIttLi256ELi8ELb1ELb0ELb1ELi1EEEvPT0_PT_PfS4_S4_S4_diiiiiiib
	.p2align	8
	.type	_ZN5aiter24add_rmsnorm_quant_kernelIttLi256ELi8ELb1ELb0ELb1ELi1EEEvPT0_PT_PfS4_S4_S4_diiiiiiib,@function
_ZN5aiter24add_rmsnorm_quant_kernelIttLi256ELi8ELb1ELb0ELb1ELi1EEEvPT0_PT_PfS4_S4_S4_diiiiiiib: ; @_ZN5aiter24add_rmsnorm_quant_kernelIttLi256ELi8ELb1ELb0ELb1ELi1EEEvPT0_PT_PfS4_S4_S4_diiiiiiib
; %bb.0:
	s_load_dwordx4 s[16:19], s[4:5], 0x38
	s_mov_b32 s7, 0
	s_waitcnt lgkmcnt(0)
	s_ashr_i32 s0, s16, 31
	v_mov_b32_e32 v2, s16
	v_mov_b32_e32 v3, s0
	v_cmp_ge_i64_e32 vcc, s[6:7], v[2:3]
	s_cbranch_vccnz .LBB122_4
; %bb.1:
	s_load_dwordx8 s[8:15], s[4:5], 0x18
	s_ashr_i32 s0, s18, 31
	s_mul_hi_u32 s1, s18, s6
	s_mul_i32 s0, s0, s6
	s_add_i32 s1, s1, s0
	s_mul_i32 s0, s18, s6
	s_lshl_b64 s[0:1], s[0:1], 1
	s_waitcnt lgkmcnt(0)
	s_add_u32 s0, s8, s0
	s_addc_u32 s1, s9, s1
	s_add_i32 s2, s17, 1
	s_lshr_b32 s3, s2, 31
	s_add_i32 s2, s2, s3
	s_lshl_b32 s2, s2, 1
	s_and_b32 s2, s2, -4
	s_and_b32 s1, s1, 0xffff
	s_mov_b32 s3, 0x20000
	v_lshlrev_b32_e32 v1, 4, v0
	buffer_load_dwordx4 v[6:9], v1, s[0:3], 0 offen glc slc
	s_ashr_i32 s0, s19, 31
	s_mul_hi_u32 s1, s19, s6
	s_mul_i32 s0, s0, s6
	s_add_i32 s1, s1, s0
	s_mul_i32 s0, s19, s6
	s_and_b32 s9, s13, 0xffff
	s_lshl_b64 s[0:1], s[0:1], 1
	s_add_u32 s0, s10, s0
	s_addc_u32 s1, s11, s1
	s_and_b32 s1, s1, 0xffff
	buffer_load_dwordx4 v[10:13], v1, s[0:3], 0 offen glc slc
	s_mov_b32 s11, s3
	s_mov_b32 s8, s12
	s_mov_b32 s10, s2
	buffer_load_dwordx4 v[2:5], v1, s[8:11], 0 offen
	s_load_dwordx2 s[12:13], s[4:5], 0x48
	s_load_dwordx4 s[8:11], s[4:5], 0x0
	s_mov_b32 s4, 0x7060302
	v_and_b32_e32 v26, 63, v0
	v_cmp_eq_u32_e32 vcc, 63, v26
	s_waitcnt lgkmcnt(0)
	s_ashr_i32 s5, s12, 31
	s_mul_hi_u32 s1, s12, s6
	s_mul_i32 s5, s5, s6
	s_mul_i32 s0, s12, s6
	s_add_i32 s1, s1, s5
	s_lshl_b64 s[0:1], s[0:1], 1
	s_add_u32 s0, s10, s0
	s_addc_u32 s1, s11, s1
	s_and_b32 s1, s1, 0xffff
	s_waitcnt vmcnt(2)
	v_cvt_f32_u32_sdwa v15, v6 dst_sel:DWORD dst_unused:UNUSED_PAD src0_sel:WORD_1
	v_cvt_f32_u32_sdwa v14, v6 dst_sel:DWORD dst_unused:UNUSED_PAD src0_sel:WORD_0
	v_cvt_f32_u32_sdwa v17, v7 dst_sel:DWORD dst_unused:UNUSED_PAD src0_sel:WORD_1
	v_cvt_f32_u32_sdwa v16, v7 dst_sel:DWORD dst_unused:UNUSED_PAD src0_sel:WORD_0
	;; [unrolled: 2-line block ×4, first 2 shown]
	s_waitcnt vmcnt(1)
	v_cvt_f32_u32_sdwa v9, v10 dst_sel:DWORD dst_unused:UNUSED_PAD src0_sel:WORD_1
	v_cvt_f32_u32_sdwa v8, v10 dst_sel:DWORD dst_unused:UNUSED_PAD src0_sel:WORD_0
	v_cvt_f32_u32_sdwa v21, v11 dst_sel:DWORD dst_unused:UNUSED_PAD src0_sel:WORD_1
	v_cvt_f32_u32_sdwa v20, v11 dst_sel:DWORD dst_unused:UNUSED_PAD src0_sel:WORD_0
	;; [unrolled: 2-line block ×4, first 2 shown]
	v_pk_add_f32 v[12:13], v[14:15], v[8:9]
	v_pk_add_f32 v[10:11], v[16:17], v[20:21]
	;; [unrolled: 1-line block ×4, first 2 shown]
	v_perm_b32 v17, v7, v6, s4
	v_perm_b32 v16, v9, v8, s4
	;; [unrolled: 1-line block ×4, first 2 shown]
	v_pk_mul_f32 v[18:19], v[12:13], v[12:13]
	v_pk_mul_f32 v[20:21], v[10:11], v[10:11]
	buffer_store_dwordx4 v[14:17], v1, s[0:3], 0 offen glc slc
	v_pk_mul_f32 v[22:23], v[8:9], v[8:9]
	v_add_f32_e32 v14, v18, v19
	v_add_f32_e32 v14, v20, v14
	;; [unrolled: 1-line block ×4, first 2 shown]
	v_pk_mul_f32 v[24:25], v[6:7], v[6:7]
	v_add_f32_e32 v14, v23, v14
	v_add_f32_e32 v14, v24, v14
	;; [unrolled: 1-line block ×3, first 2 shown]
	;;#ASMSTART
	s_nop 0
	;;#ASMEND
	s_nop 1
	v_mov_b32_dpp v15, v14 quad_perm:[1,0,3,2] row_mask:0xf bank_mask:0xf
	v_add_f32_e32 v14, v14, v15
	s_nop 1
	v_mov_b32_dpp v15, v14 quad_perm:[2,3,0,1] row_mask:0xf bank_mask:0xf
	v_add_f32_e32 v14, v14, v15
	s_nop 1
	v_mov_b32_dpp v15, v14 row_half_mirror row_mask:0xf bank_mask:0xf
	v_add_f32_e32 v14, v14, v15
	s_nop 1
	v_mov_b32_dpp v15, v14 row_mirror row_mask:0xf bank_mask:0xf
	v_add_f32_e32 v14, v14, v15
	s_nop 1
	v_mov_b32_dpp v15, v14 row_bcast:15 row_mask:0xf bank_mask:0xf
	v_add_f32_e32 v14, v14, v15
	s_nop 1
	v_mov_b32_dpp v15, v14 row_bcast:31 row_mask:0xf bank_mask:0xf
	s_and_saveexec_b64 s[0:1], vcc
	s_cbranch_execz .LBB122_3
; %bb.2:
	v_lshrrev_b32_e32 v16, 4, v0
	v_and_b32_e32 v16, 60, v16
	v_add_f32_e32 v14, v14, v15
	ds_write_b32 v16, v14
.LBB122_3:
	s_or_b64 exec, exec, s[0:1]
	v_and_b32_e32 v0, 3, v0
	v_lshlrev_b32_e32 v0, 2, v0
	s_waitcnt lgkmcnt(0)
	s_barrier
	ds_read_b32 v0, v0
	s_ashr_i32 s5, s13, 31
	s_mul_hi_u32 s7, s13, s6
	s_mul_i32 s5, s5, s6
	s_waitcnt lgkmcnt(0)
	v_mov_b32_dpp v14, v0 quad_perm:[1,0,3,2] row_mask:0xf bank_mask:0xf
	v_add_f32_e32 v0, v0, v14
	v_cvt_f32_i32_e32 v14, s17
	s_nop 0
	v_mov_b32_dpp v15, v0 quad_perm:[2,3,0,1] row_mask:0xf bank_mask:0xf
	v_add_f32_e32 v0, v0, v15
	v_div_scale_f32 v15, s[0:1], v14, v14, v0
	v_rcp_f32_e32 v16, v15
	s_add_i32 s1, s7, s5
	s_mov_b32 s5, 0x800000
	s_mul_i32 s0, s13, s6
	v_fma_f32 v17, -v15, v16, 1.0
	v_fmac_f32_e32 v16, v17, v16
	v_div_scale_f32 v17, vcc, v0, v14, v0
	v_mul_f32_e32 v18, v17, v16
	v_fma_f32 v19, -v15, v18, v17
	v_fmac_f32_e32 v18, v19, v16
	v_fma_f32 v15, -v15, v18, v17
	v_div_fmas_f32 v15, v15, v16, v18
	v_div_fixup_f32 v0, v15, v14, v0
	v_cvt_f64_f32_e32 v[14:15], v0
	v_add_f64 v[14:15], v[14:15], s[14:15]
	v_cvt_f32_f64_e32 v0, v[14:15]
	v_mul_f32_e32 v14, 0x4b800000, v0
	v_cmp_gt_f32_e32 vcc, s5, v0
	v_cndmask_b32_e32 v0, v0, v14, vcc
	v_rsq_f32_e32 v0, v0
	s_lshl_b64 s[0:1], s[0:1], 1
	s_add_u32 s0, s8, s0
	s_addc_u32 s1, s9, s1
	v_mul_f32_e32 v14, 0x45800000, v0
	v_cndmask_b32_e32 v14, v0, v14, vcc
	v_mov_b32_e32 v15, v14
	;;#ASMSTART
	v_pk_mul_f32 v[12:13], v[12:13], v[14:15]
	;;#ASMEND
	;;#ASMSTART
	v_pk_mul_f32 v[10:11], v[10:11], v[14:15]
	;;#ASMEND
	;; [unrolled: 3-line block ×4, first 2 shown]
	s_waitcnt vmcnt(1)
	v_cvt_f32_u32_sdwa v15, v2 dst_sel:DWORD dst_unused:UNUSED_PAD src0_sel:WORD_1
	v_cvt_f32_u32_sdwa v14, v2 dst_sel:DWORD dst_unused:UNUSED_PAD src0_sel:WORD_0
	v_cvt_f32_u32_sdwa v17, v3 dst_sel:DWORD dst_unused:UNUSED_PAD src0_sel:WORD_1
	v_cvt_f32_u32_sdwa v16, v3 dst_sel:DWORD dst_unused:UNUSED_PAD src0_sel:WORD_0
	;; [unrolled: 2-line block ×4, first 2 shown]
	;;#ASMSTART
	v_pk_mul_f32 v[4:5], v[12:13], v[14:15]
	;;#ASMEND
	;;#ASMSTART
	v_pk_mul_f32 v[10:11], v[10:11], v[16:17]
	;;#ASMEND
	;; [unrolled: 3-line block ×4, first 2 shown]
	s_and_b32 s1, s1, 0xffff
	v_perm_b32 v2, v5, v4, s4
	v_perm_b32 v3, v11, v10, s4
	;; [unrolled: 1-line block ×4, first 2 shown]
	buffer_store_dwordx4 v[2:5], v1, s[0:3], 0 offen
	;;#ASMSTART
	s_nop 0
	;;#ASMEND
.LBB122_4:
	s_endpgm
	.section	.rodata,"a",@progbits
	.p2align	6, 0x0
	.amdhsa_kernel _ZN5aiter24add_rmsnorm_quant_kernelIttLi256ELi8ELb1ELb0ELb1ELi1EEEvPT0_PT_PfS4_S4_S4_diiiiiiib
		.amdhsa_group_segment_fixed_size 16
		.amdhsa_private_segment_fixed_size 0
		.amdhsa_kernarg_size 88
		.amdhsa_user_sgpr_count 6
		.amdhsa_user_sgpr_private_segment_buffer 1
		.amdhsa_user_sgpr_dispatch_ptr 0
		.amdhsa_user_sgpr_queue_ptr 0
		.amdhsa_user_sgpr_kernarg_segment_ptr 1
		.amdhsa_user_sgpr_dispatch_id 0
		.amdhsa_user_sgpr_flat_scratch_init 0
		.amdhsa_user_sgpr_kernarg_preload_length 0
		.amdhsa_user_sgpr_kernarg_preload_offset 0
		.amdhsa_user_sgpr_private_segment_size 0
		.amdhsa_uses_dynamic_stack 0
		.amdhsa_system_sgpr_private_segment_wavefront_offset 0
		.amdhsa_system_sgpr_workgroup_id_x 1
		.amdhsa_system_sgpr_workgroup_id_y 0
		.amdhsa_system_sgpr_workgroup_id_z 0
		.amdhsa_system_sgpr_workgroup_info 0
		.amdhsa_system_vgpr_workitem_id 0
		.amdhsa_next_free_vgpr 27
		.amdhsa_next_free_sgpr 20
		.amdhsa_accum_offset 28
		.amdhsa_reserve_vcc 1
		.amdhsa_reserve_flat_scratch 0
		.amdhsa_float_round_mode_32 0
		.amdhsa_float_round_mode_16_64 0
		.amdhsa_float_denorm_mode_32 3
		.amdhsa_float_denorm_mode_16_64 3
		.amdhsa_dx10_clamp 1
		.amdhsa_ieee_mode 1
		.amdhsa_fp16_overflow 0
		.amdhsa_tg_split 0
		.amdhsa_exception_fp_ieee_invalid_op 0
		.amdhsa_exception_fp_denorm_src 0
		.amdhsa_exception_fp_ieee_div_zero 0
		.amdhsa_exception_fp_ieee_overflow 0
		.amdhsa_exception_fp_ieee_underflow 0
		.amdhsa_exception_fp_ieee_inexact 0
		.amdhsa_exception_int_div_zero 0
	.end_amdhsa_kernel
	.section	.text._ZN5aiter24add_rmsnorm_quant_kernelIttLi256ELi8ELb1ELb0ELb1ELi1EEEvPT0_PT_PfS4_S4_S4_diiiiiiib,"axG",@progbits,_ZN5aiter24add_rmsnorm_quant_kernelIttLi256ELi8ELb1ELb0ELb1ELi1EEEvPT0_PT_PfS4_S4_S4_diiiiiiib,comdat
.Lfunc_end122:
	.size	_ZN5aiter24add_rmsnorm_quant_kernelIttLi256ELi8ELb1ELb0ELb1ELi1EEEvPT0_PT_PfS4_S4_S4_diiiiiiib, .Lfunc_end122-_ZN5aiter24add_rmsnorm_quant_kernelIttLi256ELi8ELb1ELb0ELb1ELi1EEEvPT0_PT_PfS4_S4_S4_diiiiiiib
                                        ; -- End function
	.section	.AMDGPU.csdata,"",@progbits
; Kernel info:
; codeLenInByte = 1096
; NumSgprs: 24
; NumVgprs: 27
; NumAgprs: 0
; TotalNumVgprs: 27
; ScratchSize: 0
; MemoryBound: 0
; FloatMode: 240
; IeeeMode: 1
; LDSByteSize: 16 bytes/workgroup (compile time only)
; SGPRBlocks: 2
; VGPRBlocks: 3
; NumSGPRsForWavesPerEU: 24
; NumVGPRsForWavesPerEU: 27
; AccumOffset: 28
; Occupancy: 8
; WaveLimiterHint : 0
; COMPUTE_PGM_RSRC2:SCRATCH_EN: 0
; COMPUTE_PGM_RSRC2:USER_SGPR: 6
; COMPUTE_PGM_RSRC2:TRAP_HANDLER: 0
; COMPUTE_PGM_RSRC2:TGID_X_EN: 1
; COMPUTE_PGM_RSRC2:TGID_Y_EN: 0
; COMPUTE_PGM_RSRC2:TGID_Z_EN: 0
; COMPUTE_PGM_RSRC2:TIDIG_COMP_CNT: 0
; COMPUTE_PGM_RSRC3_GFX90A:ACCUM_OFFSET: 6
; COMPUTE_PGM_RSRC3_GFX90A:TG_SPLIT: 0
	.section	.text._ZN5aiter24add_rmsnorm_quant_kernelIDF16_DF16_Li256ELi8ELb1ELb0ELb0ELi1EEEvPT0_PT_PfS4_S4_S4_diiiiiiib,"axG",@progbits,_ZN5aiter24add_rmsnorm_quant_kernelIDF16_DF16_Li256ELi8ELb1ELb0ELb0ELi1EEEvPT0_PT_PfS4_S4_S4_diiiiiiib,comdat
	.protected	_ZN5aiter24add_rmsnorm_quant_kernelIDF16_DF16_Li256ELi8ELb1ELb0ELb0ELi1EEEvPT0_PT_PfS4_S4_S4_diiiiiiib ; -- Begin function _ZN5aiter24add_rmsnorm_quant_kernelIDF16_DF16_Li256ELi8ELb1ELb0ELb0ELi1EEEvPT0_PT_PfS4_S4_S4_diiiiiiib
	.globl	_ZN5aiter24add_rmsnorm_quant_kernelIDF16_DF16_Li256ELi8ELb1ELb0ELb0ELi1EEEvPT0_PT_PfS4_S4_S4_diiiiiiib
	.p2align	8
	.type	_ZN5aiter24add_rmsnorm_quant_kernelIDF16_DF16_Li256ELi8ELb1ELb0ELb0ELi1EEEvPT0_PT_PfS4_S4_S4_diiiiiiib,@function
_ZN5aiter24add_rmsnorm_quant_kernelIDF16_DF16_Li256ELi8ELb1ELb0ELb0ELi1EEEvPT0_PT_PfS4_S4_S4_diiiiiiib: ; @_ZN5aiter24add_rmsnorm_quant_kernelIDF16_DF16_Li256ELi8ELb1ELb0ELb0ELi1EEEvPT0_PT_PfS4_S4_S4_diiiiiiib
; %bb.0:
	s_load_dwordx4 s[16:19], s[4:5], 0x38
	s_mov_b32 s7, 0
	s_waitcnt lgkmcnt(0)
	s_ashr_i32 s0, s16, 31
	v_mov_b32_e32 v2, s16
	v_mov_b32_e32 v3, s0
	v_cmp_ge_i64_e32 vcc, s[6:7], v[2:3]
	s_cbranch_vccnz .LBB123_4
; %bb.1:
	s_load_dwordx8 s[8:15], s[4:5], 0x18
	s_ashr_i32 s0, s18, 31
	s_mul_hi_u32 s1, s18, s6
	s_mul_i32 s0, s0, s6
	s_add_i32 s1, s1, s0
	s_mul_i32 s0, s18, s6
	s_lshl_b64 s[0:1], s[0:1], 1
	s_waitcnt lgkmcnt(0)
	s_add_u32 s0, s8, s0
	s_addc_u32 s1, s9, s1
	s_add_i32 s2, s17, 1
	s_lshr_b32 s3, s2, 31
	s_add_i32 s2, s2, s3
	s_lshl_b32 s2, s2, 1
	s_and_b32 s2, s2, -4
	s_and_b32 s1, s1, 0xffff
	s_mov_b32 s3, 0x20000
	v_lshlrev_b32_e32 v1, 4, v0
	buffer_load_dwordx4 v[6:9], v1, s[0:3], 0 offen glc slc
	s_ashr_i32 s0, s19, 31
	s_mul_hi_u32 s1, s19, s6
	s_mul_i32 s0, s0, s6
	s_add_i32 s1, s1, s0
	s_mul_i32 s0, s19, s6
	s_and_b32 s9, s13, 0xffff
	s_lshl_b64 s[0:1], s[0:1], 1
	s_add_u32 s0, s10, s0
	s_addc_u32 s1, s11, s1
	s_and_b32 s1, s1, 0xffff
	buffer_load_dwordx4 v[10:13], v1, s[0:3], 0 offen glc slc
	s_mov_b32 s11, s3
	s_mov_b32 s8, s12
	;; [unrolled: 1-line block ×3, first 2 shown]
	buffer_load_dwordx4 v[2:5], v1, s[8:11], 0 offen
	s_load_dwordx2 s[12:13], s[4:5], 0x48
	s_load_dwordx4 s[8:11], s[4:5], 0x0
	v_and_b32_e32 v24, 63, v0
	v_cmp_eq_u32_e32 vcc, 63, v24
	s_waitcnt lgkmcnt(0)
	s_ashr_i32 s4, s12, 31
	s_mul_hi_u32 s1, s12, s6
	s_mul_i32 s4, s4, s6
	s_mul_i32 s0, s12, s6
	s_add_i32 s1, s1, s4
	s_lshl_b64 s[0:1], s[0:1], 1
	s_add_u32 s0, s10, s0
	s_addc_u32 s1, s11, s1
	s_and_b32 s1, s1, 0xffff
	s_waitcnt vmcnt(2)
	v_cvt_f32_f16_e32 v14, v6
	v_cvt_f32_f16_sdwa v15, v6 dst_sel:DWORD dst_unused:UNUSED_PAD src0_sel:WORD_1
	v_cvt_f32_f16_e32 v6, v7
	v_cvt_f32_f16_sdwa v7, v7 dst_sel:DWORD dst_unused:UNUSED_PAD src0_sel:WORD_1
	;; [unrolled: 2-line block ×4, first 2 shown]
	s_waitcnt vmcnt(1)
	v_cvt_f32_f16_e32 v8, v10
	v_cvt_f32_f16_sdwa v9, v10 dst_sel:DWORD dst_unused:UNUSED_PAD src0_sel:WORD_1
	v_cvt_f32_f16_e32 v10, v11
	v_cvt_f32_f16_sdwa v11, v11 dst_sel:DWORD dst_unused:UNUSED_PAD src0_sel:WORD_1
	;; [unrolled: 2-line block ×4, first 2 shown]
	v_pk_add_f32 v[12:13], v[14:15], v[8:9]
	v_pk_add_f32 v[10:11], v[6:7], v[10:11]
	;; [unrolled: 1-line block ×4, first 2 shown]
	v_cvt_f16_f32_e32 v22, v13
	v_cvt_f16_f32_e32 v23, v12
	;; [unrolled: 1-line block ×8, first 2 shown]
	v_pk_mul_f32 v[14:15], v[12:13], v[12:13]
	v_pk_mul_f32 v[16:17], v[10:11], v[10:11]
	v_add_f32_e32 v14, v14, v15
	v_add_f32_e32 v14, v16, v14
	v_pk_mul_f32 v[18:19], v[8:9], v[8:9]
	v_add_f32_e32 v31, v17, v14
	v_pack_b32_f16 v17, v30, v29
	v_pack_b32_f16 v16, v28, v27
	;; [unrolled: 1-line block ×4, first 2 shown]
	v_add_f32_e32 v18, v18, v31
	v_pk_mul_f32 v[20:21], v[6:7], v[6:7]
	buffer_store_dwordx4 v[14:17], v1, s[0:3], 0 offen glc slc
	;;#ASMSTART
	s_nop 0
	;;#ASMEND
	s_nop 0
	v_add_f32_e32 v14, v19, v18
	v_add_f32_e32 v14, v20, v14
	;; [unrolled: 1-line block ×3, first 2 shown]
	s_nop 1
	v_mov_b32_dpp v15, v14 quad_perm:[1,0,3,2] row_mask:0xf bank_mask:0xf
	v_add_f32_e32 v14, v14, v15
	s_nop 1
	v_mov_b32_dpp v15, v14 quad_perm:[2,3,0,1] row_mask:0xf bank_mask:0xf
	v_add_f32_e32 v14, v14, v15
	s_nop 1
	v_mov_b32_dpp v15, v14 row_half_mirror row_mask:0xf bank_mask:0xf
	v_add_f32_e32 v14, v14, v15
	s_nop 1
	v_mov_b32_dpp v15, v14 row_mirror row_mask:0xf bank_mask:0xf
	v_add_f32_e32 v14, v14, v15
	s_nop 1
	v_mov_b32_dpp v15, v14 row_bcast:15 row_mask:0xf bank_mask:0xf
	v_add_f32_e32 v14, v14, v15
	s_nop 1
	v_mov_b32_dpp v15, v14 row_bcast:31 row_mask:0xf bank_mask:0xf
	s_and_saveexec_b64 s[0:1], vcc
	s_cbranch_execz .LBB123_3
; %bb.2:
	v_lshrrev_b32_e32 v16, 4, v0
	v_and_b32_e32 v16, 60, v16
	v_add_f32_e32 v14, v14, v15
	ds_write_b32 v16, v14
.LBB123_3:
	s_or_b64 exec, exec, s[0:1]
	v_and_b32_e32 v0, 3, v0
	v_lshlrev_b32_e32 v0, 2, v0
	s_waitcnt lgkmcnt(0)
	s_barrier
	ds_read_b32 v0, v0
	s_ashr_i32 s4, s13, 31
	s_mul_hi_u32 s5, s13, s6
	s_mul_i32 s4, s4, s6
	s_waitcnt lgkmcnt(0)
	v_mov_b32_dpp v14, v0 quad_perm:[1,0,3,2] row_mask:0xf bank_mask:0xf
	v_add_f32_e32 v0, v0, v14
	v_cvt_f32_i32_e32 v14, s17
	s_nop 0
	v_mov_b32_dpp v15, v0 quad_perm:[2,3,0,1] row_mask:0xf bank_mask:0xf
	v_add_f32_e32 v0, v0, v15
	v_div_scale_f32 v15, s[0:1], v14, v14, v0
	v_rcp_f32_e32 v16, v15
	s_add_i32 s1, s5, s4
	s_mov_b32 s4, 0x800000
	s_mul_i32 s0, s13, s6
	v_fma_f32 v17, -v15, v16, 1.0
	v_fmac_f32_e32 v16, v17, v16
	v_div_scale_f32 v17, vcc, v0, v14, v0
	v_mul_f32_e32 v18, v17, v16
	v_fma_f32 v19, -v15, v18, v17
	v_fmac_f32_e32 v18, v19, v16
	v_fma_f32 v15, -v15, v18, v17
	v_div_fmas_f32 v15, v15, v16, v18
	v_div_fixup_f32 v0, v15, v14, v0
	v_cvt_f64_f32_e32 v[14:15], v0
	v_add_f64 v[14:15], v[14:15], s[14:15]
	v_cvt_f32_f64_e32 v0, v[14:15]
	v_mul_f32_e32 v14, 0x4b800000, v0
	v_cmp_gt_f32_e32 vcc, s4, v0
	v_cndmask_b32_e32 v0, v0, v14, vcc
	v_rsq_f32_e32 v0, v0
	s_waitcnt vmcnt(1)
	v_cvt_f32_f16_sdwa v17, v3 dst_sel:DWORD dst_unused:UNUSED_PAD src0_sel:WORD_1
	v_cvt_f32_f16_e32 v16, v3
	v_cvt_f32_f16_sdwa v3, v4 dst_sel:DWORD dst_unused:UNUSED_PAD src0_sel:WORD_1
	v_mul_f32_e32 v14, 0x45800000, v0
	v_cndmask_b32_e32 v14, v0, v14, vcc
	v_mov_b32_e32 v15, v14
	;;#ASMSTART
	v_pk_mul_f32 v[12:13], v[12:13], v[14:15]
	;;#ASMEND
	;;#ASMSTART
	v_pk_mul_f32 v[10:11], v[10:11], v[14:15]
	;;#ASMEND
	;; [unrolled: 3-line block ×4, first 2 shown]
	v_cvt_f32_f16_sdwa v15, v2 dst_sel:DWORD dst_unused:UNUSED_PAD src0_sel:WORD_1
	v_cvt_f32_f16_e32 v14, v2
	v_cvt_f32_f16_e32 v2, v4
	v_cvt_f32_f16_sdwa v19, v5 dst_sel:DWORD dst_unused:UNUSED_PAD src0_sel:WORD_1
	v_cvt_f32_f16_e32 v18, v5
	;;#ASMSTART
	v_pk_mul_f32 v[4:5], v[12:13], v[14:15]
	;;#ASMEND
	;;#ASMSTART
	v_pk_mul_f32 v[10:11], v[10:11], v[16:17]
	;;#ASMEND
	;; [unrolled: 3-line block ×4, first 2 shown]
	v_cvt_f16_f32_e32 v0, v4
	v_cvt_f16_f32_e32 v4, v5
	;; [unrolled: 1-line block ×8, first 2 shown]
	s_lshl_b64 s[0:1], s[0:1], 1
	s_add_u32 s0, s8, s0
	s_addc_u32 s1, s9, s1
	s_and_b32 s1, s1, 0xffff
	v_pack_b32_f16 v2, v0, v4
	v_pack_b32_f16 v3, v5, v8
	;; [unrolled: 1-line block ×4, first 2 shown]
	buffer_store_dwordx4 v[2:5], v1, s[0:3], 0 offen
	;;#ASMSTART
	s_nop 0
	;;#ASMEND
.LBB123_4:
	s_endpgm
	.section	.rodata,"a",@progbits
	.p2align	6, 0x0
	.amdhsa_kernel _ZN5aiter24add_rmsnorm_quant_kernelIDF16_DF16_Li256ELi8ELb1ELb0ELb0ELi1EEEvPT0_PT_PfS4_S4_S4_diiiiiiib
		.amdhsa_group_segment_fixed_size 16
		.amdhsa_private_segment_fixed_size 0
		.amdhsa_kernarg_size 88
		.amdhsa_user_sgpr_count 6
		.amdhsa_user_sgpr_private_segment_buffer 1
		.amdhsa_user_sgpr_dispatch_ptr 0
		.amdhsa_user_sgpr_queue_ptr 0
		.amdhsa_user_sgpr_kernarg_segment_ptr 1
		.amdhsa_user_sgpr_dispatch_id 0
		.amdhsa_user_sgpr_flat_scratch_init 0
		.amdhsa_user_sgpr_kernarg_preload_length 0
		.amdhsa_user_sgpr_kernarg_preload_offset 0
		.amdhsa_user_sgpr_private_segment_size 0
		.amdhsa_uses_dynamic_stack 0
		.amdhsa_system_sgpr_private_segment_wavefront_offset 0
		.amdhsa_system_sgpr_workgroup_id_x 1
		.amdhsa_system_sgpr_workgroup_id_y 0
		.amdhsa_system_sgpr_workgroup_id_z 0
		.amdhsa_system_sgpr_workgroup_info 0
		.amdhsa_system_vgpr_workitem_id 0
		.amdhsa_next_free_vgpr 32
		.amdhsa_next_free_sgpr 20
		.amdhsa_accum_offset 32
		.amdhsa_reserve_vcc 1
		.amdhsa_reserve_flat_scratch 0
		.amdhsa_float_round_mode_32 0
		.amdhsa_float_round_mode_16_64 0
		.amdhsa_float_denorm_mode_32 3
		.amdhsa_float_denorm_mode_16_64 3
		.amdhsa_dx10_clamp 1
		.amdhsa_ieee_mode 1
		.amdhsa_fp16_overflow 0
		.amdhsa_tg_split 0
		.amdhsa_exception_fp_ieee_invalid_op 0
		.amdhsa_exception_fp_denorm_src 0
		.amdhsa_exception_fp_ieee_div_zero 0
		.amdhsa_exception_fp_ieee_overflow 0
		.amdhsa_exception_fp_ieee_underflow 0
		.amdhsa_exception_fp_ieee_inexact 0
		.amdhsa_exception_int_div_zero 0
	.end_amdhsa_kernel
	.section	.text._ZN5aiter24add_rmsnorm_quant_kernelIDF16_DF16_Li256ELi8ELb1ELb0ELb0ELi1EEEvPT0_PT_PfS4_S4_S4_diiiiiiib,"axG",@progbits,_ZN5aiter24add_rmsnorm_quant_kernelIDF16_DF16_Li256ELi8ELb1ELb0ELb0ELi1EEEvPT0_PT_PfS4_S4_S4_diiiiiiib,comdat
.Lfunc_end123:
	.size	_ZN5aiter24add_rmsnorm_quant_kernelIDF16_DF16_Li256ELi8ELb1ELb0ELb0ELi1EEEvPT0_PT_PfS4_S4_S4_diiiiiiib, .Lfunc_end123-_ZN5aiter24add_rmsnorm_quant_kernelIDF16_DF16_Li256ELi8ELb1ELb0ELb0ELi1EEEvPT0_PT_PfS4_S4_S4_diiiiiiib
                                        ; -- End function
	.section	.AMDGPU.csdata,"",@progbits
; Kernel info:
; codeLenInByte = 1108
; NumSgprs: 24
; NumVgprs: 32
; NumAgprs: 0
; TotalNumVgprs: 32
; ScratchSize: 0
; MemoryBound: 0
; FloatMode: 240
; IeeeMode: 1
; LDSByteSize: 16 bytes/workgroup (compile time only)
; SGPRBlocks: 2
; VGPRBlocks: 3
; NumSGPRsForWavesPerEU: 24
; NumVGPRsForWavesPerEU: 32
; AccumOffset: 32
; Occupancy: 8
; WaveLimiterHint : 0
; COMPUTE_PGM_RSRC2:SCRATCH_EN: 0
; COMPUTE_PGM_RSRC2:USER_SGPR: 6
; COMPUTE_PGM_RSRC2:TRAP_HANDLER: 0
; COMPUTE_PGM_RSRC2:TGID_X_EN: 1
; COMPUTE_PGM_RSRC2:TGID_Y_EN: 0
; COMPUTE_PGM_RSRC2:TGID_Z_EN: 0
; COMPUTE_PGM_RSRC2:TIDIG_COMP_CNT: 0
; COMPUTE_PGM_RSRC3_GFX90A:ACCUM_OFFSET: 7
; COMPUTE_PGM_RSRC3_GFX90A:TG_SPLIT: 0
	.section	.text._ZN5aiter24add_rmsnorm_quant_kernelIttLi256ELi8ELb1ELb0ELb0ELi1EEEvPT0_PT_PfS4_S4_S4_diiiiiiib,"axG",@progbits,_ZN5aiter24add_rmsnorm_quant_kernelIttLi256ELi8ELb1ELb0ELb0ELi1EEEvPT0_PT_PfS4_S4_S4_diiiiiiib,comdat
	.protected	_ZN5aiter24add_rmsnorm_quant_kernelIttLi256ELi8ELb1ELb0ELb0ELi1EEEvPT0_PT_PfS4_S4_S4_diiiiiiib ; -- Begin function _ZN5aiter24add_rmsnorm_quant_kernelIttLi256ELi8ELb1ELb0ELb0ELi1EEEvPT0_PT_PfS4_S4_S4_diiiiiiib
	.globl	_ZN5aiter24add_rmsnorm_quant_kernelIttLi256ELi8ELb1ELb0ELb0ELi1EEEvPT0_PT_PfS4_S4_S4_diiiiiiib
	.p2align	8
	.type	_ZN5aiter24add_rmsnorm_quant_kernelIttLi256ELi8ELb1ELb0ELb0ELi1EEEvPT0_PT_PfS4_S4_S4_diiiiiiib,@function
_ZN5aiter24add_rmsnorm_quant_kernelIttLi256ELi8ELb1ELb0ELb0ELi1EEEvPT0_PT_PfS4_S4_S4_diiiiiiib: ; @_ZN5aiter24add_rmsnorm_quant_kernelIttLi256ELi8ELb1ELb0ELb0ELi1EEEvPT0_PT_PfS4_S4_S4_diiiiiiib
; %bb.0:
	s_load_dwordx4 s[16:19], s[4:5], 0x38
	s_mov_b32 s7, 0
	s_waitcnt lgkmcnt(0)
	s_ashr_i32 s0, s16, 31
	v_mov_b32_e32 v2, s16
	v_mov_b32_e32 v3, s0
	v_cmp_ge_i64_e32 vcc, s[6:7], v[2:3]
	s_cbranch_vccnz .LBB124_4
; %bb.1:
	s_load_dwordx8 s[8:15], s[4:5], 0x18
	s_ashr_i32 s0, s18, 31
	s_mul_hi_u32 s1, s18, s6
	s_mul_i32 s0, s0, s6
	s_add_i32 s1, s1, s0
	s_mul_i32 s0, s18, s6
	s_lshl_b64 s[0:1], s[0:1], 1
	s_waitcnt lgkmcnt(0)
	s_add_u32 s0, s8, s0
	s_addc_u32 s1, s9, s1
	s_add_i32 s2, s17, 1
	s_lshr_b32 s3, s2, 31
	s_add_i32 s2, s2, s3
	s_lshl_b32 s2, s2, 1
	s_and_b32 s2, s2, -4
	s_and_b32 s1, s1, 0xffff
	s_mov_b32 s3, 0x20000
	v_lshlrev_b32_e32 v1, 4, v0
	buffer_load_dwordx4 v[6:9], v1, s[0:3], 0 offen glc slc
	s_ashr_i32 s0, s19, 31
	s_mul_hi_u32 s1, s19, s6
	s_mul_i32 s0, s0, s6
	s_add_i32 s1, s1, s0
	s_mul_i32 s0, s19, s6
	s_and_b32 s9, s13, 0xffff
	s_lshl_b64 s[0:1], s[0:1], 1
	s_add_u32 s0, s10, s0
	s_addc_u32 s1, s11, s1
	s_and_b32 s1, s1, 0xffff
	buffer_load_dwordx4 v[10:13], v1, s[0:3], 0 offen glc slc
	s_mov_b32 s11, s3
	s_mov_b32 s8, s12
	;; [unrolled: 1-line block ×3, first 2 shown]
	buffer_load_dwordx4 v[2:5], v1, s[8:11], 0 offen
	s_load_dwordx2 s[12:13], s[4:5], 0x48
	s_load_dwordx4 s[8:11], s[4:5], 0x0
	s_mov_b32 s4, 0x7060302
	v_and_b32_e32 v26, 63, v0
	v_cmp_eq_u32_e32 vcc, 63, v26
	s_waitcnt lgkmcnt(0)
	s_ashr_i32 s5, s12, 31
	s_mul_hi_u32 s1, s12, s6
	s_mul_i32 s5, s5, s6
	s_mul_i32 s0, s12, s6
	s_add_i32 s1, s1, s5
	s_lshl_b64 s[0:1], s[0:1], 1
	s_add_u32 s0, s10, s0
	s_addc_u32 s1, s11, s1
	s_and_b32 s1, s1, 0xffff
	s_waitcnt vmcnt(2)
	v_cvt_f32_u32_sdwa v15, v6 dst_sel:DWORD dst_unused:UNUSED_PAD src0_sel:WORD_1
	v_cvt_f32_u32_sdwa v14, v6 dst_sel:DWORD dst_unused:UNUSED_PAD src0_sel:WORD_0
	v_cvt_f32_u32_sdwa v17, v7 dst_sel:DWORD dst_unused:UNUSED_PAD src0_sel:WORD_1
	v_cvt_f32_u32_sdwa v16, v7 dst_sel:DWORD dst_unused:UNUSED_PAD src0_sel:WORD_0
	;; [unrolled: 2-line block ×4, first 2 shown]
	s_waitcnt vmcnt(1)
	v_cvt_f32_u32_sdwa v9, v10 dst_sel:DWORD dst_unused:UNUSED_PAD src0_sel:WORD_1
	v_cvt_f32_u32_sdwa v8, v10 dst_sel:DWORD dst_unused:UNUSED_PAD src0_sel:WORD_0
	v_cvt_f32_u32_sdwa v21, v11 dst_sel:DWORD dst_unused:UNUSED_PAD src0_sel:WORD_1
	v_cvt_f32_u32_sdwa v20, v11 dst_sel:DWORD dst_unused:UNUSED_PAD src0_sel:WORD_0
	;; [unrolled: 2-line block ×4, first 2 shown]
	v_pk_add_f32 v[12:13], v[14:15], v[8:9]
	v_pk_add_f32 v[10:11], v[16:17], v[20:21]
	;; [unrolled: 1-line block ×4, first 2 shown]
	v_perm_b32 v17, v7, v6, s4
	v_perm_b32 v16, v9, v8, s4
	;; [unrolled: 1-line block ×4, first 2 shown]
	v_pk_mul_f32 v[18:19], v[12:13], v[12:13]
	v_pk_mul_f32 v[20:21], v[10:11], v[10:11]
	buffer_store_dwordx4 v[14:17], v1, s[0:3], 0 offen glc slc
	v_pk_mul_f32 v[22:23], v[8:9], v[8:9]
	v_add_f32_e32 v14, v18, v19
	v_add_f32_e32 v14, v20, v14
	;; [unrolled: 1-line block ×4, first 2 shown]
	v_pk_mul_f32 v[24:25], v[6:7], v[6:7]
	v_add_f32_e32 v14, v23, v14
	v_add_f32_e32 v14, v24, v14
	;; [unrolled: 1-line block ×3, first 2 shown]
	;;#ASMSTART
	s_nop 0
	;;#ASMEND
	s_nop 1
	v_mov_b32_dpp v15, v14 quad_perm:[1,0,3,2] row_mask:0xf bank_mask:0xf
	v_add_f32_e32 v14, v14, v15
	s_nop 1
	v_mov_b32_dpp v15, v14 quad_perm:[2,3,0,1] row_mask:0xf bank_mask:0xf
	v_add_f32_e32 v14, v14, v15
	s_nop 1
	v_mov_b32_dpp v15, v14 row_half_mirror row_mask:0xf bank_mask:0xf
	v_add_f32_e32 v14, v14, v15
	s_nop 1
	v_mov_b32_dpp v15, v14 row_mirror row_mask:0xf bank_mask:0xf
	v_add_f32_e32 v14, v14, v15
	s_nop 1
	v_mov_b32_dpp v15, v14 row_bcast:15 row_mask:0xf bank_mask:0xf
	v_add_f32_e32 v14, v14, v15
	s_nop 1
	v_mov_b32_dpp v15, v14 row_bcast:31 row_mask:0xf bank_mask:0xf
	s_and_saveexec_b64 s[0:1], vcc
	s_cbranch_execz .LBB124_3
; %bb.2:
	v_lshrrev_b32_e32 v16, 4, v0
	v_and_b32_e32 v16, 60, v16
	v_add_f32_e32 v14, v14, v15
	ds_write_b32 v16, v14
.LBB124_3:
	s_or_b64 exec, exec, s[0:1]
	v_and_b32_e32 v0, 3, v0
	v_lshlrev_b32_e32 v0, 2, v0
	s_waitcnt lgkmcnt(0)
	s_barrier
	ds_read_b32 v0, v0
	s_ashr_i32 s5, s13, 31
	s_mul_hi_u32 s7, s13, s6
	s_mul_i32 s5, s5, s6
	s_waitcnt lgkmcnt(0)
	v_mov_b32_dpp v14, v0 quad_perm:[1,0,3,2] row_mask:0xf bank_mask:0xf
	v_add_f32_e32 v0, v0, v14
	v_cvt_f32_i32_e32 v14, s17
	s_nop 0
	v_mov_b32_dpp v15, v0 quad_perm:[2,3,0,1] row_mask:0xf bank_mask:0xf
	v_add_f32_e32 v0, v0, v15
	v_div_scale_f32 v15, s[0:1], v14, v14, v0
	v_rcp_f32_e32 v16, v15
	s_add_i32 s1, s7, s5
	s_mov_b32 s5, 0x800000
	s_mul_i32 s0, s13, s6
	v_fma_f32 v17, -v15, v16, 1.0
	v_fmac_f32_e32 v16, v17, v16
	v_div_scale_f32 v17, vcc, v0, v14, v0
	v_mul_f32_e32 v18, v17, v16
	v_fma_f32 v19, -v15, v18, v17
	v_fmac_f32_e32 v18, v19, v16
	v_fma_f32 v15, -v15, v18, v17
	v_div_fmas_f32 v15, v15, v16, v18
	v_div_fixup_f32 v0, v15, v14, v0
	v_cvt_f64_f32_e32 v[14:15], v0
	v_add_f64 v[14:15], v[14:15], s[14:15]
	v_cvt_f32_f64_e32 v0, v[14:15]
	v_mul_f32_e32 v14, 0x4b800000, v0
	v_cmp_gt_f32_e32 vcc, s5, v0
	v_cndmask_b32_e32 v0, v0, v14, vcc
	v_rsq_f32_e32 v0, v0
	s_lshl_b64 s[0:1], s[0:1], 1
	s_add_u32 s0, s8, s0
	s_addc_u32 s1, s9, s1
	v_mul_f32_e32 v14, 0x45800000, v0
	v_cndmask_b32_e32 v14, v0, v14, vcc
	v_mov_b32_e32 v15, v14
	;;#ASMSTART
	v_pk_mul_f32 v[12:13], v[12:13], v[14:15]
	;;#ASMEND
	;;#ASMSTART
	v_pk_mul_f32 v[10:11], v[10:11], v[14:15]
	;;#ASMEND
	;; [unrolled: 3-line block ×4, first 2 shown]
	s_waitcnt vmcnt(1)
	v_cvt_f32_u32_sdwa v15, v2 dst_sel:DWORD dst_unused:UNUSED_PAD src0_sel:WORD_1
	v_cvt_f32_u32_sdwa v14, v2 dst_sel:DWORD dst_unused:UNUSED_PAD src0_sel:WORD_0
	v_cvt_f32_u32_sdwa v17, v3 dst_sel:DWORD dst_unused:UNUSED_PAD src0_sel:WORD_1
	v_cvt_f32_u32_sdwa v16, v3 dst_sel:DWORD dst_unused:UNUSED_PAD src0_sel:WORD_0
	;; [unrolled: 2-line block ×4, first 2 shown]
	;;#ASMSTART
	v_pk_mul_f32 v[4:5], v[12:13], v[14:15]
	;;#ASMEND
	;;#ASMSTART
	v_pk_mul_f32 v[10:11], v[10:11], v[16:17]
	;;#ASMEND
	;; [unrolled: 3-line block ×4, first 2 shown]
	s_and_b32 s1, s1, 0xffff
	v_perm_b32 v2, v5, v4, s4
	v_perm_b32 v3, v11, v10, s4
	;; [unrolled: 1-line block ×4, first 2 shown]
	buffer_store_dwordx4 v[2:5], v1, s[0:3], 0 offen
	;;#ASMSTART
	s_nop 0
	;;#ASMEND
.LBB124_4:
	s_endpgm
	.section	.rodata,"a",@progbits
	.p2align	6, 0x0
	.amdhsa_kernel _ZN5aiter24add_rmsnorm_quant_kernelIttLi256ELi8ELb1ELb0ELb0ELi1EEEvPT0_PT_PfS4_S4_S4_diiiiiiib
		.amdhsa_group_segment_fixed_size 16
		.amdhsa_private_segment_fixed_size 0
		.amdhsa_kernarg_size 88
		.amdhsa_user_sgpr_count 6
		.amdhsa_user_sgpr_private_segment_buffer 1
		.amdhsa_user_sgpr_dispatch_ptr 0
		.amdhsa_user_sgpr_queue_ptr 0
		.amdhsa_user_sgpr_kernarg_segment_ptr 1
		.amdhsa_user_sgpr_dispatch_id 0
		.amdhsa_user_sgpr_flat_scratch_init 0
		.amdhsa_user_sgpr_kernarg_preload_length 0
		.amdhsa_user_sgpr_kernarg_preload_offset 0
		.amdhsa_user_sgpr_private_segment_size 0
		.amdhsa_uses_dynamic_stack 0
		.amdhsa_system_sgpr_private_segment_wavefront_offset 0
		.amdhsa_system_sgpr_workgroup_id_x 1
		.amdhsa_system_sgpr_workgroup_id_y 0
		.amdhsa_system_sgpr_workgroup_id_z 0
		.amdhsa_system_sgpr_workgroup_info 0
		.amdhsa_system_vgpr_workitem_id 0
		.amdhsa_next_free_vgpr 27
		.amdhsa_next_free_sgpr 20
		.amdhsa_accum_offset 28
		.amdhsa_reserve_vcc 1
		.amdhsa_reserve_flat_scratch 0
		.amdhsa_float_round_mode_32 0
		.amdhsa_float_round_mode_16_64 0
		.amdhsa_float_denorm_mode_32 3
		.amdhsa_float_denorm_mode_16_64 3
		.amdhsa_dx10_clamp 1
		.amdhsa_ieee_mode 1
		.amdhsa_fp16_overflow 0
		.amdhsa_tg_split 0
		.amdhsa_exception_fp_ieee_invalid_op 0
		.amdhsa_exception_fp_denorm_src 0
		.amdhsa_exception_fp_ieee_div_zero 0
		.amdhsa_exception_fp_ieee_overflow 0
		.amdhsa_exception_fp_ieee_underflow 0
		.amdhsa_exception_fp_ieee_inexact 0
		.amdhsa_exception_int_div_zero 0
	.end_amdhsa_kernel
	.section	.text._ZN5aiter24add_rmsnorm_quant_kernelIttLi256ELi8ELb1ELb0ELb0ELi1EEEvPT0_PT_PfS4_S4_S4_diiiiiiib,"axG",@progbits,_ZN5aiter24add_rmsnorm_quant_kernelIttLi256ELi8ELb1ELb0ELb0ELi1EEEvPT0_PT_PfS4_S4_S4_diiiiiiib,comdat
.Lfunc_end124:
	.size	_ZN5aiter24add_rmsnorm_quant_kernelIttLi256ELi8ELb1ELb0ELb0ELi1EEEvPT0_PT_PfS4_S4_S4_diiiiiiib, .Lfunc_end124-_ZN5aiter24add_rmsnorm_quant_kernelIttLi256ELi8ELb1ELb0ELb0ELi1EEEvPT0_PT_PfS4_S4_S4_diiiiiiib
                                        ; -- End function
	.section	.AMDGPU.csdata,"",@progbits
; Kernel info:
; codeLenInByte = 1096
; NumSgprs: 24
; NumVgprs: 27
; NumAgprs: 0
; TotalNumVgprs: 27
; ScratchSize: 0
; MemoryBound: 0
; FloatMode: 240
; IeeeMode: 1
; LDSByteSize: 16 bytes/workgroup (compile time only)
; SGPRBlocks: 2
; VGPRBlocks: 3
; NumSGPRsForWavesPerEU: 24
; NumVGPRsForWavesPerEU: 27
; AccumOffset: 28
; Occupancy: 8
; WaveLimiterHint : 0
; COMPUTE_PGM_RSRC2:SCRATCH_EN: 0
; COMPUTE_PGM_RSRC2:USER_SGPR: 6
; COMPUTE_PGM_RSRC2:TRAP_HANDLER: 0
; COMPUTE_PGM_RSRC2:TGID_X_EN: 1
; COMPUTE_PGM_RSRC2:TGID_Y_EN: 0
; COMPUTE_PGM_RSRC2:TGID_Z_EN: 0
; COMPUTE_PGM_RSRC2:TIDIG_COMP_CNT: 0
; COMPUTE_PGM_RSRC3_GFX90A:ACCUM_OFFSET: 6
; COMPUTE_PGM_RSRC3_GFX90A:TG_SPLIT: 0
	.section	.text._ZN5aiter24add_rmsnorm_quant_kernelIDF16_DF16_Li256ELi16ELb1ELb0ELb1ELi1EEEvPT0_PT_PfS4_S4_S4_diiiiiiib,"axG",@progbits,_ZN5aiter24add_rmsnorm_quant_kernelIDF16_DF16_Li256ELi16ELb1ELb0ELb1ELi1EEEvPT0_PT_PfS4_S4_S4_diiiiiiib,comdat
	.protected	_ZN5aiter24add_rmsnorm_quant_kernelIDF16_DF16_Li256ELi16ELb1ELb0ELb1ELi1EEEvPT0_PT_PfS4_S4_S4_diiiiiiib ; -- Begin function _ZN5aiter24add_rmsnorm_quant_kernelIDF16_DF16_Li256ELi16ELb1ELb0ELb1ELi1EEEvPT0_PT_PfS4_S4_S4_diiiiiiib
	.globl	_ZN5aiter24add_rmsnorm_quant_kernelIDF16_DF16_Li256ELi16ELb1ELb0ELb1ELi1EEEvPT0_PT_PfS4_S4_S4_diiiiiiib
	.p2align	8
	.type	_ZN5aiter24add_rmsnorm_quant_kernelIDF16_DF16_Li256ELi16ELb1ELb0ELb1ELi1EEEvPT0_PT_PfS4_S4_S4_diiiiiiib,@function
_ZN5aiter24add_rmsnorm_quant_kernelIDF16_DF16_Li256ELi16ELb1ELb0ELb1ELi1EEEvPT0_PT_PfS4_S4_S4_diiiiiiib: ; @_ZN5aiter24add_rmsnorm_quant_kernelIDF16_DF16_Li256ELi16ELb1ELb0ELb1ELi1EEEvPT0_PT_PfS4_S4_S4_diiiiiiib
; %bb.0:
	s_load_dwordx4 s[16:19], s[4:5], 0x38
	s_mov_b32 s7, 0
	s_waitcnt lgkmcnt(0)
	s_ashr_i32 s0, s16, 31
	v_mov_b32_e32 v2, s16
	v_mov_b32_e32 v3, s0
	v_cmp_ge_i64_e32 vcc, s[6:7], v[2:3]
	s_cbranch_vccnz .LBB125_4
; %bb.1:
	s_load_dwordx8 s[8:15], s[4:5], 0x18
	s_ashr_i32 s0, s18, 31
	s_mul_hi_u32 s1, s18, s6
	s_mul_i32 s0, s0, s6
	s_add_i32 s1, s1, s0
	s_mul_i32 s0, s18, s6
	s_lshl_b64 s[0:1], s[0:1], 1
	s_waitcnt lgkmcnt(0)
	s_add_u32 s0, s8, s0
	s_addc_u32 s1, s9, s1
	s_add_i32 s2, s17, 1
	s_lshr_b32 s3, s2, 31
	s_add_i32 s2, s2, s3
	v_lshlrev_b32_e32 v2, 5, v0
	s_lshl_b32 s2, s2, 1
	v_lshlrev_b32_e32 v1, 4, v0
	v_and_b32_e32 v2, 0x7800, v2
	s_movk_i32 s7, 0x3f0
	s_and_b32 s2, s2, -4
	s_and_b32 s1, s1, 0xffff
	s_mov_b32 s3, 0x20000
	v_and_or_b32 v1, v1, s7, v2
	s_movk_i32 s7, 0x400
	buffer_load_dwordx4 v[18:21], v1, s[0:3], s7 offen glc slc
	buffer_load_dwordx4 v[10:13], v1, s[0:3], 0 offen glc slc
	s_ashr_i32 s0, s19, 31
	s_mul_hi_u32 s1, s19, s6
	s_mul_i32 s0, s0, s6
	s_add_i32 s1, s1, s0
	s_mul_i32 s0, s19, s6
	s_and_b32 s21, s13, 0xffff
	s_lshl_b64 s[0:1], s[0:1], 1
	s_add_u32 s0, s10, s0
	s_addc_u32 s1, s11, s1
	s_and_b32 s1, s1, 0xffff
	buffer_load_dwordx4 v[22:25], v1, s[0:3], s7 offen glc slc
	buffer_load_dwordx4 v[14:17], v1, s[0:3], 0 offen glc slc
	s_mov_b32 s23, s3
	s_mov_b32 s20, s12
	;; [unrolled: 1-line block ×3, first 2 shown]
	s_load_dwordx2 s[18:19], s[4:5], 0x48
	s_load_dwordx4 s[8:11], s[4:5], 0x0
	buffer_load_dwordx4 v[6:9], v1, s[20:23], 0 offen
	buffer_load_dwordx4 v[2:5], v1, s[20:23], s7 offen
	s_waitcnt lgkmcnt(0)
	s_ashr_i32 s4, s18, 31
	s_mul_hi_u32 s1, s18, s6
	s_mul_i32 s4, s4, s6
	s_mul_i32 s0, s18, s6
	s_add_i32 s1, s1, s4
	s_lshl_b64 s[0:1], s[0:1], 1
	s_add_u32 s0, s10, s0
	s_addc_u32 s1, s11, s1
	s_and_b32 s1, s1, 0xffff
	s_waitcnt vmcnt(5)
	v_cvt_f32_f16_e32 v26, v18
	v_cvt_f32_f16_sdwa v27, v18 dst_sel:DWORD dst_unused:UNUSED_PAD src0_sel:WORD_1
	v_cvt_f32_f16_e32 v18, v19
	v_cvt_f32_f16_sdwa v19, v19 dst_sel:DWORD dst_unused:UNUSED_PAD src0_sel:WORD_1
	v_cvt_f32_f16_e32 v28, v20
	v_cvt_f32_f16_sdwa v29, v20 dst_sel:DWORD dst_unused:UNUSED_PAD src0_sel:WORD_1
	v_cvt_f32_f16_e32 v20, v21
	v_cvt_f32_f16_sdwa v21, v21 dst_sel:DWORD dst_unused:UNUSED_PAD src0_sel:WORD_1
	s_waitcnt vmcnt(4)
	v_cvt_f32_f16_e32 v30, v10
	v_cvt_f32_f16_sdwa v31, v10 dst_sel:DWORD dst_unused:UNUSED_PAD src0_sel:WORD_1
	v_cvt_f32_f16_e32 v32, v11
	v_cvt_f32_f16_sdwa v33, v11 dst_sel:DWORD dst_unused:UNUSED_PAD src0_sel:WORD_1
	v_cvt_f32_f16_e32 v34, v12
	v_cvt_f32_f16_sdwa v35, v12 dst_sel:DWORD dst_unused:UNUSED_PAD src0_sel:WORD_1
	v_cvt_f32_f16_e32 v36, v13
	v_cvt_f32_f16_sdwa v37, v13 dst_sel:DWORD dst_unused:UNUSED_PAD src0_sel:WORD_1
	;; [unrolled: 9-line block ×4, first 2 shown]
	v_pk_add_f32 v[16:17], v[26:27], v[10:11]
	v_pk_add_f32 v[14:15], v[18:19], v[12:13]
	;; [unrolled: 1-line block ×8, first 2 shown]
	v_cvt_f16_f32_e32 v26, v25
	v_cvt_f16_f32_e32 v27, v21
	;; [unrolled: 1-line block ×8, first 2 shown]
	v_pack_b32_f16 v29, v30, v29
	v_pack_b32_f16 v28, v31, v28
	;; [unrolled: 1-line block ×4, first 2 shown]
	buffer_store_dwordx4 v[26:29], v1, s[0:3], 0 offen glc slc
	v_cvt_f16_f32_e32 v30, v11
	v_cvt_f16_f32_e32 v26, v16
	;; [unrolled: 1-line block ×8, first 2 shown]
	v_pack_b32_f16 v29, v29, v30
	v_pack_b32_f16 v28, v28, v31
	;; [unrolled: 1-line block ×4, first 2 shown]
	;;#ASMSTART
	s_nop 0
	;;#ASMEND
	buffer_store_dwordx4 v[26:29], v1, s[0:3], s7 offen glc slc
	v_pk_mul_f32 v[26:27], v[24:25], v[24:25]
	v_pk_mul_f32 v[28:29], v[20:21], v[20:21]
	v_add_f32_e32 v26, v26, v27
	v_add_f32_e32 v26, v28, v26
	v_pk_mul_f32 v[30:31], v[18:19], v[18:19]
	v_add_f32_e32 v26, v29, v26
	v_add_f32_e32 v26, v30, v26
	;; [unrolled: 3-line block ×7, first 2 shown]
	v_add_f32_e32 v26, v41, v26
	v_and_b32_e32 v28, 63, v0
	v_cmp_eq_u32_e32 vcc, 63, v28
	v_mov_b32_dpp v27, v26 quad_perm:[1,0,3,2] row_mask:0xf bank_mask:0xf
	v_add_f32_e32 v26, v26, v27
	;;#ASMSTART
	s_nop 0
	;;#ASMEND
	s_nop 1
	v_mov_b32_dpp v27, v26 quad_perm:[2,3,0,1] row_mask:0xf bank_mask:0xf
	v_add_f32_e32 v26, v26, v27
	s_nop 1
	v_mov_b32_dpp v27, v26 row_half_mirror row_mask:0xf bank_mask:0xf
	v_add_f32_e32 v26, v26, v27
	s_nop 1
	v_mov_b32_dpp v27, v26 row_mirror row_mask:0xf bank_mask:0xf
	v_add_f32_e32 v26, v26, v27
	s_nop 1
	v_mov_b32_dpp v27, v26 row_bcast:15 row_mask:0xf bank_mask:0xf
	v_add_f32_e32 v26, v26, v27
	s_nop 1
	v_mov_b32_dpp v27, v26 row_bcast:31 row_mask:0xf bank_mask:0xf
	s_and_saveexec_b64 s[0:1], vcc
	s_cbranch_execz .LBB125_3
; %bb.2:
	v_lshrrev_b32_e32 v28, 4, v0
	v_and_b32_e32 v28, 60, v28
	v_add_f32_e32 v26, v26, v27
	ds_write_b32 v28, v26
.LBB125_3:
	s_or_b64 exec, exec, s[0:1]
	v_and_b32_e32 v0, 3, v0
	v_lshlrev_b32_e32 v0, 2, v0
	s_waitcnt lgkmcnt(0)
	s_barrier
	ds_read_b32 v0, v0
	s_ashr_i32 s4, s19, 31
	s_mul_hi_u32 s5, s19, s6
	s_mul_i32 s4, s4, s6
	s_waitcnt lgkmcnt(0)
	v_mov_b32_dpp v26, v0 quad_perm:[1,0,3,2] row_mask:0xf bank_mask:0xf
	v_add_f32_e32 v0, v0, v26
	v_cvt_f32_i32_e32 v26, s17
	s_nop 0
	v_mov_b32_dpp v27, v0 quad_perm:[2,3,0,1] row_mask:0xf bank_mask:0xf
	v_add_f32_e32 v0, v0, v27
	v_div_scale_f32 v27, s[0:1], v26, v26, v0
	v_rcp_f32_e32 v28, v27
	s_add_i32 s1, s5, s4
	s_mov_b32 s4, 0x800000
	s_mul_i32 s0, s19, s6
	v_fma_f32 v29, -v27, v28, 1.0
	v_fmac_f32_e32 v28, v29, v28
	v_div_scale_f32 v29, vcc, v0, v26, v0
	v_mul_f32_e32 v30, v29, v28
	v_fma_f32 v31, -v27, v30, v29
	v_fmac_f32_e32 v30, v31, v28
	v_fma_f32 v27, -v27, v30, v29
	v_div_fmas_f32 v27, v27, v28, v30
	v_div_fixup_f32 v0, v27, v26, v0
	v_cvt_f64_f32_e32 v[26:27], v0
	v_add_f64 v[26:27], v[26:27], s[14:15]
	v_cvt_f32_f64_e32 v0, v[26:27]
	v_mul_f32_e32 v26, 0x4b800000, v0
	v_cmp_gt_f32_e32 vcc, s4, v0
	v_cndmask_b32_e32 v0, v0, v26, vcc
	v_rsq_f32_e32 v0, v0
	s_waitcnt vmcnt(3)
	v_cvt_f32_f16_sdwa v29, v7 dst_sel:DWORD dst_unused:UNUSED_PAD src0_sel:WORD_1
	v_cvt_f32_f16_e32 v28, v7
	v_cvt_f32_f16_sdwa v7, v8 dst_sel:DWORD dst_unused:UNUSED_PAD src0_sel:WORD_1
	v_mul_f32_e32 v26, 0x45800000, v0
	v_cndmask_b32_e32 v26, v0, v26, vcc
	v_mov_b32_e32 v27, v26
	;;#ASMSTART
	v_pk_mul_f32 v[24:25], v[24:25], v[26:27]
	;;#ASMEND
	;;#ASMSTART
	v_pk_mul_f32 v[20:21], v[20:21], v[26:27]
	;;#ASMEND
	;; [unrolled: 3-line block ×8, first 2 shown]
	v_cvt_f32_f16_sdwa v27, v6 dst_sel:DWORD dst_unused:UNUSED_PAD src0_sel:WORD_1
	v_cvt_f32_f16_e32 v26, v6
	v_cvt_f32_f16_e32 v6, v8
	v_cvt_f32_f16_sdwa v31, v9 dst_sel:DWORD dst_unused:UNUSED_PAD src0_sel:WORD_1
	v_cvt_f32_f16_e32 v30, v9
	;;#ASMSTART
	v_pk_mul_f32 v[8:9], v[24:25], v[26:27]
	;;#ASMEND
	;;#ASMSTART
	v_pk_mul_f32 v[20:21], v[20:21], v[28:29]
	;;#ASMEND
	;; [unrolled: 3-line block ×4, first 2 shown]
	s_waitcnt vmcnt(2)
	v_cvt_f32_f16_sdwa v23, v2 dst_sel:DWORD dst_unused:UNUSED_PAD src0_sel:WORD_1
	v_cvt_f32_f16_e32 v22, v2
	v_cvt_f32_f16_sdwa v25, v3 dst_sel:DWORD dst_unused:UNUSED_PAD src0_sel:WORD_1
	v_cvt_f32_f16_e32 v24, v3
	;; [unrolled: 2-line block ×4, first 2 shown]
	;;#ASMSTART
	v_pk_mul_f32 v[16:17], v[16:17], v[22:23]
	;;#ASMEND
	;;#ASMSTART
	v_pk_mul_f32 v[14:15], v[14:15], v[24:25]
	;;#ASMEND
	;; [unrolled: 3-line block ×3, first 2 shown]
	v_cvt_f16_f32_e32 v0, v8
	v_cvt_f16_f32_e32 v2, v9
	;; [unrolled: 1-line block ×8, first 2 shown]
	s_lshl_b64 s[0:1], s[0:1], 1
	s_add_u32 s0, s8, s0
	s_addc_u32 s1, s9, s1
	s_and_b32 s1, s1, 0xffff
	v_pack_b32_f16 v2, v0, v2
	v_pack_b32_f16 v3, v3, v4
	;; [unrolled: 1-line block ×4, first 2 shown]
	;;#ASMSTART
	v_pk_mul_f32 v[10:11], v[10:11], v[26:27]
	;;#ASMEND
	buffer_store_dwordx4 v[2:5], v1, s[0:3], 0 offen
	v_cvt_f16_f32_e32 v0, v16
	v_cvt_f16_f32_e32 v2, v17
	;; [unrolled: 1-line block ×8, first 2 shown]
	v_pack_b32_f16 v2, v0, v2
	v_pack_b32_f16 v3, v3, v4
	;; [unrolled: 1-line block ×4, first 2 shown]
	;;#ASMSTART
	s_nop 0
	;;#ASMEND
	buffer_store_dwordx4 v[2:5], v1, s[0:3], s7 offen
	;;#ASMSTART
	s_nop 0
	;;#ASMEND
.LBB125_4:
	s_endpgm
	.section	.rodata,"a",@progbits
	.p2align	6, 0x0
	.amdhsa_kernel _ZN5aiter24add_rmsnorm_quant_kernelIDF16_DF16_Li256ELi16ELb1ELb0ELb1ELi1EEEvPT0_PT_PfS4_S4_S4_diiiiiiib
		.amdhsa_group_segment_fixed_size 16
		.amdhsa_private_segment_fixed_size 0
		.amdhsa_kernarg_size 88
		.amdhsa_user_sgpr_count 6
		.amdhsa_user_sgpr_private_segment_buffer 1
		.amdhsa_user_sgpr_dispatch_ptr 0
		.amdhsa_user_sgpr_queue_ptr 0
		.amdhsa_user_sgpr_kernarg_segment_ptr 1
		.amdhsa_user_sgpr_dispatch_id 0
		.amdhsa_user_sgpr_flat_scratch_init 0
		.amdhsa_user_sgpr_kernarg_preload_length 0
		.amdhsa_user_sgpr_kernarg_preload_offset 0
		.amdhsa_user_sgpr_private_segment_size 0
		.amdhsa_uses_dynamic_stack 0
		.amdhsa_system_sgpr_private_segment_wavefront_offset 0
		.amdhsa_system_sgpr_workgroup_id_x 1
		.amdhsa_system_sgpr_workgroup_id_y 0
		.amdhsa_system_sgpr_workgroup_id_z 0
		.amdhsa_system_sgpr_workgroup_info 0
		.amdhsa_system_vgpr_workitem_id 0
		.amdhsa_next_free_vgpr 46
		.amdhsa_next_free_sgpr 24
		.amdhsa_accum_offset 48
		.amdhsa_reserve_vcc 1
		.amdhsa_reserve_flat_scratch 0
		.amdhsa_float_round_mode_32 0
		.amdhsa_float_round_mode_16_64 0
		.amdhsa_float_denorm_mode_32 3
		.amdhsa_float_denorm_mode_16_64 3
		.amdhsa_dx10_clamp 1
		.amdhsa_ieee_mode 1
		.amdhsa_fp16_overflow 0
		.amdhsa_tg_split 0
		.amdhsa_exception_fp_ieee_invalid_op 0
		.amdhsa_exception_fp_denorm_src 0
		.amdhsa_exception_fp_ieee_div_zero 0
		.amdhsa_exception_fp_ieee_overflow 0
		.amdhsa_exception_fp_ieee_underflow 0
		.amdhsa_exception_fp_ieee_inexact 0
		.amdhsa_exception_int_div_zero 0
	.end_amdhsa_kernel
	.section	.text._ZN5aiter24add_rmsnorm_quant_kernelIDF16_DF16_Li256ELi16ELb1ELb0ELb1ELi1EEEvPT0_PT_PfS4_S4_S4_diiiiiiib,"axG",@progbits,_ZN5aiter24add_rmsnorm_quant_kernelIDF16_DF16_Li256ELi16ELb1ELb0ELb1ELi1EEEvPT0_PT_PfS4_S4_S4_diiiiiiib,comdat
.Lfunc_end125:
	.size	_ZN5aiter24add_rmsnorm_quant_kernelIDF16_DF16_Li256ELi16ELb1ELb0ELb1ELi1EEEvPT0_PT_PfS4_S4_S4_diiiiiiib, .Lfunc_end125-_ZN5aiter24add_rmsnorm_quant_kernelIDF16_DF16_Li256ELi16ELb1ELb0ELb1ELi1EEEvPT0_PT_PfS4_S4_S4_diiiiiiib
                                        ; -- End function
	.section	.AMDGPU.csdata,"",@progbits
; Kernel info:
; codeLenInByte = 1628
; NumSgprs: 28
; NumVgprs: 46
; NumAgprs: 0
; TotalNumVgprs: 46
; ScratchSize: 0
; MemoryBound: 0
; FloatMode: 240
; IeeeMode: 1
; LDSByteSize: 16 bytes/workgroup (compile time only)
; SGPRBlocks: 3
; VGPRBlocks: 5
; NumSGPRsForWavesPerEU: 28
; NumVGPRsForWavesPerEU: 46
; AccumOffset: 48
; Occupancy: 8
; WaveLimiterHint : 0
; COMPUTE_PGM_RSRC2:SCRATCH_EN: 0
; COMPUTE_PGM_RSRC2:USER_SGPR: 6
; COMPUTE_PGM_RSRC2:TRAP_HANDLER: 0
; COMPUTE_PGM_RSRC2:TGID_X_EN: 1
; COMPUTE_PGM_RSRC2:TGID_Y_EN: 0
; COMPUTE_PGM_RSRC2:TGID_Z_EN: 0
; COMPUTE_PGM_RSRC2:TIDIG_COMP_CNT: 0
; COMPUTE_PGM_RSRC3_GFX90A:ACCUM_OFFSET: 11
; COMPUTE_PGM_RSRC3_GFX90A:TG_SPLIT: 0
	.section	.text._ZN5aiter24add_rmsnorm_quant_kernelIttLi256ELi16ELb1ELb0ELb1ELi1EEEvPT0_PT_PfS4_S4_S4_diiiiiiib,"axG",@progbits,_ZN5aiter24add_rmsnorm_quant_kernelIttLi256ELi16ELb1ELb0ELb1ELi1EEEvPT0_PT_PfS4_S4_S4_diiiiiiib,comdat
	.protected	_ZN5aiter24add_rmsnorm_quant_kernelIttLi256ELi16ELb1ELb0ELb1ELi1EEEvPT0_PT_PfS4_S4_S4_diiiiiiib ; -- Begin function _ZN5aiter24add_rmsnorm_quant_kernelIttLi256ELi16ELb1ELb0ELb1ELi1EEEvPT0_PT_PfS4_S4_S4_diiiiiiib
	.globl	_ZN5aiter24add_rmsnorm_quant_kernelIttLi256ELi16ELb1ELb0ELb1ELi1EEEvPT0_PT_PfS4_S4_S4_diiiiiiib
	.p2align	8
	.type	_ZN5aiter24add_rmsnorm_quant_kernelIttLi256ELi16ELb1ELb0ELb1ELi1EEEvPT0_PT_PfS4_S4_S4_diiiiiiib,@function
_ZN5aiter24add_rmsnorm_quant_kernelIttLi256ELi16ELb1ELb0ELb1ELi1EEEvPT0_PT_PfS4_S4_S4_diiiiiiib: ; @_ZN5aiter24add_rmsnorm_quant_kernelIttLi256ELi16ELb1ELb0ELb1ELi1EEEvPT0_PT_PfS4_S4_S4_diiiiiiib
; %bb.0:
	s_load_dwordx4 s[16:19], s[4:5], 0x38
	s_mov_b32 s7, 0
	s_waitcnt lgkmcnt(0)
	s_ashr_i32 s0, s16, 31
	v_mov_b32_e32 v2, s16
	v_mov_b32_e32 v3, s0
	v_cmp_ge_i64_e32 vcc, s[6:7], v[2:3]
	s_cbranch_vccnz .LBB126_4
; %bb.1:
	s_load_dwordx8 s[8:15], s[4:5], 0x18
	s_ashr_i32 s0, s18, 31
	s_mul_hi_u32 s1, s18, s6
	s_mul_i32 s0, s0, s6
	s_add_i32 s1, s1, s0
	s_mul_i32 s0, s18, s6
	s_lshl_b64 s[0:1], s[0:1], 1
	s_waitcnt lgkmcnt(0)
	s_add_u32 s0, s8, s0
	s_addc_u32 s1, s9, s1
	s_add_i32 s2, s17, 1
	s_lshr_b32 s3, s2, 31
	s_add_i32 s2, s2, s3
	v_lshlrev_b32_e32 v2, 5, v0
	s_lshl_b32 s2, s2, 1
	v_lshlrev_b32_e32 v1, 4, v0
	v_and_b32_e32 v2, 0x7800, v2
	s_movk_i32 s7, 0x3f0
	s_and_b32 s2, s2, -4
	s_and_b32 s1, s1, 0xffff
	s_mov_b32 s3, 0x20000
	v_and_or_b32 v1, v1, s7, v2
	s_movk_i32 s7, 0x400
	buffer_load_dwordx4 v[18:21], v1, s[0:3], s7 offen glc slc
	buffer_load_dwordx4 v[10:13], v1, s[0:3], 0 offen glc slc
	s_ashr_i32 s0, s19, 31
	s_mul_hi_u32 s1, s19, s6
	s_mul_i32 s0, s0, s6
	s_add_i32 s1, s1, s0
	s_mul_i32 s0, s19, s6
	s_and_b32 s21, s13, 0xffff
	s_lshl_b64 s[0:1], s[0:1], 1
	s_add_u32 s0, s10, s0
	s_addc_u32 s1, s11, s1
	s_and_b32 s1, s1, 0xffff
	buffer_load_dwordx4 v[22:25], v1, s[0:3], s7 offen glc slc
	buffer_load_dwordx4 v[14:17], v1, s[0:3], 0 offen glc slc
	s_mov_b32 s23, s3
	s_mov_b32 s20, s12
	;; [unrolled: 1-line block ×3, first 2 shown]
	s_load_dwordx2 s[18:19], s[4:5], 0x48
	s_load_dwordx4 s[8:11], s[4:5], 0x0
	buffer_load_dwordx4 v[6:9], v1, s[20:23], 0 offen
	buffer_load_dwordx4 v[2:5], v1, s[20:23], s7 offen
	s_mov_b32 s4, 0x7060302
	s_waitcnt lgkmcnt(0)
	s_ashr_i32 s5, s18, 31
	s_mul_hi_u32 s1, s18, s6
	s_mul_i32 s5, s5, s6
	s_mul_i32 s0, s18, s6
	s_add_i32 s1, s1, s5
	s_lshl_b64 s[0:1], s[0:1], 1
	s_add_u32 s0, s10, s0
	s_addc_u32 s1, s11, s1
	s_and_b32 s1, s1, 0xffff
	s_waitcnt vmcnt(5)
	v_cvt_f32_u32_sdwa v27, v18 dst_sel:DWORD dst_unused:UNUSED_PAD src0_sel:WORD_1
	v_cvt_f32_u32_sdwa v26, v18 dst_sel:DWORD dst_unused:UNUSED_PAD src0_sel:WORD_0
	v_cvt_f32_u32_sdwa v29, v19 dst_sel:DWORD dst_unused:UNUSED_PAD src0_sel:WORD_1
	v_cvt_f32_u32_sdwa v28, v19 dst_sel:DWORD dst_unused:UNUSED_PAD src0_sel:WORD_0
	v_cvt_f32_u32_sdwa v19, v20 dst_sel:DWORD dst_unused:UNUSED_PAD src0_sel:WORD_1
	v_cvt_f32_u32_sdwa v18, v20 dst_sel:DWORD dst_unused:UNUSED_PAD src0_sel:WORD_0
	v_cvt_f32_u32_sdwa v31, v21 dst_sel:DWORD dst_unused:UNUSED_PAD src0_sel:WORD_1
	v_cvt_f32_u32_sdwa v30, v21 dst_sel:DWORD dst_unused:UNUSED_PAD src0_sel:WORD_0
	s_waitcnt vmcnt(4)
	v_cvt_f32_u32_sdwa v21, v10 dst_sel:DWORD dst_unused:UNUSED_PAD src0_sel:WORD_1
	v_cvt_f32_u32_sdwa v20, v10 dst_sel:DWORD dst_unused:UNUSED_PAD src0_sel:WORD_0
	v_cvt_f32_u32_sdwa v33, v11 dst_sel:DWORD dst_unused:UNUSED_PAD src0_sel:WORD_1
	v_cvt_f32_u32_sdwa v32, v11 dst_sel:DWORD dst_unused:UNUSED_PAD src0_sel:WORD_0
	v_cvt_f32_u32_sdwa v35, v12 dst_sel:DWORD dst_unused:UNUSED_PAD src0_sel:WORD_1
	v_cvt_f32_u32_sdwa v34, v12 dst_sel:DWORD dst_unused:UNUSED_PAD src0_sel:WORD_0
	v_cvt_f32_u32_sdwa v37, v13 dst_sel:DWORD dst_unused:UNUSED_PAD src0_sel:WORD_1
	v_cvt_f32_u32_sdwa v36, v13 dst_sel:DWORD dst_unused:UNUSED_PAD src0_sel:WORD_0
	;; [unrolled: 9-line block ×4, first 2 shown]
	v_pk_add_f32 v[14:15], v[28:29], v[12:13]
	v_pk_add_f32 v[12:13], v[18:19], v[22:23]
	;; [unrolled: 1-line block ×8, first 2 shown]
	v_perm_b32 v29, v19, v18, s4
	v_perm_b32 v28, v21, v20, s4
	;; [unrolled: 1-line block ×6, first 2 shown]
	buffer_store_dwordx4 v[26:29], v1, s[0:3], 0 offen glc slc
	;;#ASMSTART
	s_nop 0
	;;#ASMEND
	v_pk_mul_f32 v[32:33], v[18:19], v[18:19]
	v_perm_b32 v29, v15, v14, s4
	v_perm_b32 v28, v17, v16, s4
	v_pk_mul_f32 v[26:27], v[24:25], v[24:25]
	buffer_store_dwordx4 v[28:31], v1, s[0:3], s7 offen glc slc
	v_pk_mul_f32 v[28:29], v[22:23], v[22:23]
	v_add_f32_e32 v26, v26, v27
	v_add_f32_e32 v26, v28, v26
	v_pk_mul_f32 v[30:31], v[20:21], v[20:21]
	v_add_f32_e32 v26, v29, v26
	v_add_f32_e32 v26, v30, v26
	;; [unrolled: 1-line block ×4, first 2 shown]
	v_pk_mul_f32 v[34:35], v[16:17], v[16:17]
	v_add_f32_e32 v26, v33, v26
	v_add_f32_e32 v26, v34, v26
	v_pk_mul_f32 v[36:37], v[14:15], v[14:15]
	v_add_f32_e32 v26, v35, v26
	v_add_f32_e32 v26, v36, v26
	;; [unrolled: 3-line block ×4, first 2 shown]
	v_add_f32_e32 v26, v41, v26
	v_and_b32_e32 v28, 63, v0
	v_cmp_eq_u32_e32 vcc, 63, v28
	v_mov_b32_dpp v27, v26 quad_perm:[1,0,3,2] row_mask:0xf bank_mask:0xf
	v_add_f32_e32 v26, v26, v27
	;;#ASMSTART
	s_nop 0
	;;#ASMEND
	s_nop 1
	v_mov_b32_dpp v27, v26 quad_perm:[2,3,0,1] row_mask:0xf bank_mask:0xf
	v_add_f32_e32 v26, v26, v27
	s_nop 1
	v_mov_b32_dpp v27, v26 row_half_mirror row_mask:0xf bank_mask:0xf
	v_add_f32_e32 v26, v26, v27
	s_nop 1
	v_mov_b32_dpp v27, v26 row_mirror row_mask:0xf bank_mask:0xf
	v_add_f32_e32 v26, v26, v27
	s_nop 1
	v_mov_b32_dpp v27, v26 row_bcast:15 row_mask:0xf bank_mask:0xf
	v_add_f32_e32 v26, v26, v27
	s_nop 1
	v_mov_b32_dpp v27, v26 row_bcast:31 row_mask:0xf bank_mask:0xf
	s_and_saveexec_b64 s[0:1], vcc
	s_cbranch_execz .LBB126_3
; %bb.2:
	v_lshrrev_b32_e32 v28, 4, v0
	v_and_b32_e32 v28, 60, v28
	v_add_f32_e32 v26, v26, v27
	ds_write_b32 v28, v26
.LBB126_3:
	s_or_b64 exec, exec, s[0:1]
	v_and_b32_e32 v0, 3, v0
	v_lshlrev_b32_e32 v0, 2, v0
	s_waitcnt lgkmcnt(0)
	s_barrier
	ds_read_b32 v0, v0
	s_ashr_i32 s5, s19, 31
	s_mul_hi_u32 s10, s19, s6
	s_mul_i32 s5, s5, s6
	s_waitcnt lgkmcnt(0)
	v_mov_b32_dpp v26, v0 quad_perm:[1,0,3,2] row_mask:0xf bank_mask:0xf
	v_add_f32_e32 v0, v0, v26
	v_cvt_f32_i32_e32 v26, s17
	s_nop 0
	v_mov_b32_dpp v27, v0 quad_perm:[2,3,0,1] row_mask:0xf bank_mask:0xf
	v_add_f32_e32 v0, v0, v27
	v_div_scale_f32 v27, s[0:1], v26, v26, v0
	v_rcp_f32_e32 v28, v27
	s_add_i32 s1, s10, s5
	s_mov_b32 s5, 0x800000
	s_mul_i32 s0, s19, s6
	v_fma_f32 v29, -v27, v28, 1.0
	v_fmac_f32_e32 v28, v29, v28
	v_div_scale_f32 v29, vcc, v0, v26, v0
	v_mul_f32_e32 v30, v29, v28
	v_fma_f32 v31, -v27, v30, v29
	v_fmac_f32_e32 v30, v31, v28
	v_fma_f32 v27, -v27, v30, v29
	v_div_fmas_f32 v27, v27, v28, v30
	v_div_fixup_f32 v0, v27, v26, v0
	v_cvt_f64_f32_e32 v[26:27], v0
	v_add_f64 v[26:27], v[26:27], s[14:15]
	v_cvt_f32_f64_e32 v0, v[26:27]
	v_mul_f32_e32 v26, 0x4b800000, v0
	v_cmp_gt_f32_e32 vcc, s5, v0
	v_cndmask_b32_e32 v0, v0, v26, vcc
	v_rsq_f32_e32 v0, v0
	s_lshl_b64 s[0:1], s[0:1], 1
	s_add_u32 s0, s8, s0
	s_waitcnt vmcnt(3)
	v_cvt_f32_u32_sdwa v29, v7 dst_sel:DWORD dst_unused:UNUSED_PAD src0_sel:WORD_1
	v_mul_f32_e32 v26, 0x45800000, v0
	v_cndmask_b32_e32 v26, v0, v26, vcc
	v_mov_b32_e32 v27, v26
	;;#ASMSTART
	v_pk_mul_f32 v[24:25], v[24:25], v[26:27]
	;;#ASMEND
	;;#ASMSTART
	v_pk_mul_f32 v[22:23], v[22:23], v[26:27]
	;;#ASMEND
	;; [unrolled: 3-line block ×8, first 2 shown]
	v_cvt_f32_u32_sdwa v27, v6 dst_sel:DWORD dst_unused:UNUSED_PAD src0_sel:WORD_1
	v_cvt_f32_u32_sdwa v26, v6 dst_sel:DWORD dst_unused:UNUSED_PAD src0_sel:WORD_0
	v_cvt_f32_u32_sdwa v28, v7 dst_sel:DWORD dst_unused:UNUSED_PAD src0_sel:WORD_0
	v_cvt_f32_u32_sdwa v7, v8 dst_sel:DWORD dst_unused:UNUSED_PAD src0_sel:WORD_1
	v_cvt_f32_u32_sdwa v6, v8 dst_sel:DWORD dst_unused:UNUSED_PAD src0_sel:WORD_0
	s_addc_u32 s1, s9, s1
	v_cvt_f32_u32_sdwa v31, v9 dst_sel:DWORD dst_unused:UNUSED_PAD src0_sel:WORD_1
	v_cvt_f32_u32_sdwa v30, v9 dst_sel:DWORD dst_unused:UNUSED_PAD src0_sel:WORD_0
	;;#ASMSTART
	v_pk_mul_f32 v[8:9], v[24:25], v[26:27]
	;;#ASMEND
	;;#ASMSTART
	v_pk_mul_f32 v[22:23], v[22:23], v[28:29]
	;;#ASMEND
	;; [unrolled: 3-line block ×3, first 2 shown]
	s_waitcnt vmcnt(2)
	v_cvt_f32_u32_sdwa v21, v2 dst_sel:DWORD dst_unused:UNUSED_PAD src0_sel:WORD_1
	v_cvt_f32_u32_sdwa v20, v2 dst_sel:DWORD dst_unused:UNUSED_PAD src0_sel:WORD_0
	v_cvt_f32_u32_sdwa v25, v3 dst_sel:DWORD dst_unused:UNUSED_PAD src0_sel:WORD_1
	v_cvt_f32_u32_sdwa v24, v3 dst_sel:DWORD dst_unused:UNUSED_PAD src0_sel:WORD_0
	;; [unrolled: 2-line block ×3, first 2 shown]
	;;#ASMSTART
	v_pk_mul_f32 v[18:19], v[18:19], v[30:31]
	;;#ASMEND
	v_cvt_f32_u32_sdwa v27, v5 dst_sel:DWORD dst_unused:UNUSED_PAD src0_sel:WORD_1
	v_cvt_f32_u32_sdwa v26, v5 dst_sel:DWORD dst_unused:UNUSED_PAD src0_sel:WORD_0
	;;#ASMSTART
	v_pk_mul_f32 v[16:17], v[16:17], v[20:21]
	;;#ASMEND
	;;#ASMSTART
	v_pk_mul_f32 v[14:15], v[14:15], v[24:25]
	;;#ASMEND
	;; [unrolled: 3-line block ×3, first 2 shown]
	s_and_b32 s1, s1, 0xffff
	v_perm_b32 v2, v9, v8, s4
	v_perm_b32 v3, v23, v22, s4
	;; [unrolled: 1-line block ×4, first 2 shown]
	;;#ASMSTART
	v_pk_mul_f32 v[10:11], v[10:11], v[26:27]
	;;#ASMEND
	buffer_store_dwordx4 v[2:5], v1, s[0:3], 0 offen
	;;#ASMSTART
	s_nop 0
	;;#ASMEND
	s_nop 0
	v_perm_b32 v2, v17, v16, s4
	v_perm_b32 v3, v15, v14, s4
	;; [unrolled: 1-line block ×4, first 2 shown]
	buffer_store_dwordx4 v[2:5], v1, s[0:3], s7 offen
	;;#ASMSTART
	s_nop 0
	;;#ASMEND
.LBB126_4:
	s_endpgm
	.section	.rodata,"a",@progbits
	.p2align	6, 0x0
	.amdhsa_kernel _ZN5aiter24add_rmsnorm_quant_kernelIttLi256ELi16ELb1ELb0ELb1ELi1EEEvPT0_PT_PfS4_S4_S4_diiiiiiib
		.amdhsa_group_segment_fixed_size 16
		.amdhsa_private_segment_fixed_size 0
		.amdhsa_kernarg_size 88
		.amdhsa_user_sgpr_count 6
		.amdhsa_user_sgpr_private_segment_buffer 1
		.amdhsa_user_sgpr_dispatch_ptr 0
		.amdhsa_user_sgpr_queue_ptr 0
		.amdhsa_user_sgpr_kernarg_segment_ptr 1
		.amdhsa_user_sgpr_dispatch_id 0
		.amdhsa_user_sgpr_flat_scratch_init 0
		.amdhsa_user_sgpr_kernarg_preload_length 0
		.amdhsa_user_sgpr_kernarg_preload_offset 0
		.amdhsa_user_sgpr_private_segment_size 0
		.amdhsa_uses_dynamic_stack 0
		.amdhsa_system_sgpr_private_segment_wavefront_offset 0
		.amdhsa_system_sgpr_workgroup_id_x 1
		.amdhsa_system_sgpr_workgroup_id_y 0
		.amdhsa_system_sgpr_workgroup_id_z 0
		.amdhsa_system_sgpr_workgroup_info 0
		.amdhsa_system_vgpr_workitem_id 0
		.amdhsa_next_free_vgpr 46
		.amdhsa_next_free_sgpr 24
		.amdhsa_accum_offset 48
		.amdhsa_reserve_vcc 1
		.amdhsa_reserve_flat_scratch 0
		.amdhsa_float_round_mode_32 0
		.amdhsa_float_round_mode_16_64 0
		.amdhsa_float_denorm_mode_32 3
		.amdhsa_float_denorm_mode_16_64 3
		.amdhsa_dx10_clamp 1
		.amdhsa_ieee_mode 1
		.amdhsa_fp16_overflow 0
		.amdhsa_tg_split 0
		.amdhsa_exception_fp_ieee_invalid_op 0
		.amdhsa_exception_fp_denorm_src 0
		.amdhsa_exception_fp_ieee_div_zero 0
		.amdhsa_exception_fp_ieee_overflow 0
		.amdhsa_exception_fp_ieee_underflow 0
		.amdhsa_exception_fp_ieee_inexact 0
		.amdhsa_exception_int_div_zero 0
	.end_amdhsa_kernel
	.section	.text._ZN5aiter24add_rmsnorm_quant_kernelIttLi256ELi16ELb1ELb0ELb1ELi1EEEvPT0_PT_PfS4_S4_S4_diiiiiiib,"axG",@progbits,_ZN5aiter24add_rmsnorm_quant_kernelIttLi256ELi16ELb1ELb0ELb1ELi1EEEvPT0_PT_PfS4_S4_S4_diiiiiiib,comdat
.Lfunc_end126:
	.size	_ZN5aiter24add_rmsnorm_quant_kernelIttLi256ELi16ELb1ELb0ELb1ELi1EEEvPT0_PT_PfS4_S4_S4_diiiiiiib, .Lfunc_end126-_ZN5aiter24add_rmsnorm_quant_kernelIttLi256ELi16ELb1ELb0ELb1ELi1EEEvPT0_PT_PfS4_S4_S4_diiiiiiib
                                        ; -- End function
	.section	.AMDGPU.csdata,"",@progbits
; Kernel info:
; codeLenInByte = 1608
; NumSgprs: 28
; NumVgprs: 46
; NumAgprs: 0
; TotalNumVgprs: 46
; ScratchSize: 0
; MemoryBound: 0
; FloatMode: 240
; IeeeMode: 1
; LDSByteSize: 16 bytes/workgroup (compile time only)
; SGPRBlocks: 3
; VGPRBlocks: 5
; NumSGPRsForWavesPerEU: 28
; NumVGPRsForWavesPerEU: 46
; AccumOffset: 48
; Occupancy: 8
; WaveLimiterHint : 0
; COMPUTE_PGM_RSRC2:SCRATCH_EN: 0
; COMPUTE_PGM_RSRC2:USER_SGPR: 6
; COMPUTE_PGM_RSRC2:TRAP_HANDLER: 0
; COMPUTE_PGM_RSRC2:TGID_X_EN: 1
; COMPUTE_PGM_RSRC2:TGID_Y_EN: 0
; COMPUTE_PGM_RSRC2:TGID_Z_EN: 0
; COMPUTE_PGM_RSRC2:TIDIG_COMP_CNT: 0
; COMPUTE_PGM_RSRC3_GFX90A:ACCUM_OFFSET: 11
; COMPUTE_PGM_RSRC3_GFX90A:TG_SPLIT: 0
	.section	.text._ZN5aiter24add_rmsnorm_quant_kernelIDF16_DF16_Li256ELi16ELb1ELb0ELb0ELi1EEEvPT0_PT_PfS4_S4_S4_diiiiiiib,"axG",@progbits,_ZN5aiter24add_rmsnorm_quant_kernelIDF16_DF16_Li256ELi16ELb1ELb0ELb0ELi1EEEvPT0_PT_PfS4_S4_S4_diiiiiiib,comdat
	.protected	_ZN5aiter24add_rmsnorm_quant_kernelIDF16_DF16_Li256ELi16ELb1ELb0ELb0ELi1EEEvPT0_PT_PfS4_S4_S4_diiiiiiib ; -- Begin function _ZN5aiter24add_rmsnorm_quant_kernelIDF16_DF16_Li256ELi16ELb1ELb0ELb0ELi1EEEvPT0_PT_PfS4_S4_S4_diiiiiiib
	.globl	_ZN5aiter24add_rmsnorm_quant_kernelIDF16_DF16_Li256ELi16ELb1ELb0ELb0ELi1EEEvPT0_PT_PfS4_S4_S4_diiiiiiib
	.p2align	8
	.type	_ZN5aiter24add_rmsnorm_quant_kernelIDF16_DF16_Li256ELi16ELb1ELb0ELb0ELi1EEEvPT0_PT_PfS4_S4_S4_diiiiiiib,@function
_ZN5aiter24add_rmsnorm_quant_kernelIDF16_DF16_Li256ELi16ELb1ELb0ELb0ELi1EEEvPT0_PT_PfS4_S4_S4_diiiiiiib: ; @_ZN5aiter24add_rmsnorm_quant_kernelIDF16_DF16_Li256ELi16ELb1ELb0ELb0ELi1EEEvPT0_PT_PfS4_S4_S4_diiiiiiib
; %bb.0:
	s_load_dwordx4 s[16:19], s[4:5], 0x38
	s_mov_b32 s7, 0
	s_waitcnt lgkmcnt(0)
	s_ashr_i32 s0, s16, 31
	v_mov_b32_e32 v2, s16
	v_mov_b32_e32 v3, s0
	v_cmp_ge_i64_e32 vcc, s[6:7], v[2:3]
	s_cbranch_vccnz .LBB127_4
; %bb.1:
	s_load_dwordx8 s[8:15], s[4:5], 0x18
	s_ashr_i32 s0, s18, 31
	s_mul_hi_u32 s1, s18, s6
	s_mul_i32 s0, s0, s6
	s_add_i32 s1, s1, s0
	s_mul_i32 s0, s18, s6
	s_lshl_b64 s[0:1], s[0:1], 1
	s_waitcnt lgkmcnt(0)
	s_add_u32 s0, s8, s0
	s_addc_u32 s1, s9, s1
	s_add_i32 s2, s17, 1
	s_lshr_b32 s3, s2, 31
	s_add_i32 s2, s2, s3
	s_lshl_b32 s2, s2, 1
	s_and_b32 s2, s2, -4
	s_and_b32 s1, s1, 0xffff
	s_mov_b32 s3, 0x20000
	v_lshlrev_b32_e32 v1, 5, v0
	buffer_load_dwordx4 v[18:21], v1, s[0:3], 16 offen
	buffer_load_dwordx4 v[10:13], v1, s[0:3], 0 offen
	s_ashr_i32 s0, s19, 31
	s_mul_hi_u32 s1, s19, s6
	s_mul_i32 s0, s0, s6
	s_add_i32 s1, s1, s0
	s_mul_i32 s0, s19, s6
	s_and_b32 s21, s13, 0xffff
	s_lshl_b64 s[0:1], s[0:1], 1
	s_add_u32 s0, s10, s0
	s_addc_u32 s1, s11, s1
	s_and_b32 s1, s1, 0xffff
	buffer_load_dwordx4 v[22:25], v1, s[0:3], 16 offen
	buffer_load_dwordx4 v[14:17], v1, s[0:3], 0 offen
	s_mov_b32 s23, s3
	s_mov_b32 s20, s12
	;; [unrolled: 1-line block ×3, first 2 shown]
	s_load_dwordx2 s[18:19], s[4:5], 0x48
	s_load_dwordx4 s[8:11], s[4:5], 0x0
	buffer_load_dwordx4 v[6:9], v1, s[20:23], 0 offen
	buffer_load_dwordx4 v[2:5], v1, s[20:23], 16 offen
	s_waitcnt lgkmcnt(0)
	s_ashr_i32 s4, s18, 31
	s_mul_hi_u32 s1, s18, s6
	s_mul_i32 s4, s4, s6
	s_mul_i32 s0, s18, s6
	s_add_i32 s1, s1, s4
	s_lshl_b64 s[0:1], s[0:1], 1
	s_add_u32 s0, s10, s0
	s_addc_u32 s1, s11, s1
	s_and_b32 s1, s1, 0xffff
	s_waitcnt vmcnt(5)
	v_cvt_f32_f16_e32 v26, v18
	v_cvt_f32_f16_sdwa v27, v18 dst_sel:DWORD dst_unused:UNUSED_PAD src0_sel:WORD_1
	v_cvt_f32_f16_e32 v18, v19
	v_cvt_f32_f16_sdwa v19, v19 dst_sel:DWORD dst_unused:UNUSED_PAD src0_sel:WORD_1
	v_cvt_f32_f16_e32 v28, v20
	v_cvt_f32_f16_sdwa v29, v20 dst_sel:DWORD dst_unused:UNUSED_PAD src0_sel:WORD_1
	v_cvt_f32_f16_e32 v20, v21
	v_cvt_f32_f16_sdwa v21, v21 dst_sel:DWORD dst_unused:UNUSED_PAD src0_sel:WORD_1
	s_waitcnt vmcnt(4)
	v_cvt_f32_f16_e32 v30, v10
	v_cvt_f32_f16_sdwa v31, v10 dst_sel:DWORD dst_unused:UNUSED_PAD src0_sel:WORD_1
	v_cvt_f32_f16_e32 v32, v11
	v_cvt_f32_f16_sdwa v33, v11 dst_sel:DWORD dst_unused:UNUSED_PAD src0_sel:WORD_1
	v_cvt_f32_f16_e32 v34, v12
	v_cvt_f32_f16_sdwa v35, v12 dst_sel:DWORD dst_unused:UNUSED_PAD src0_sel:WORD_1
	v_cvt_f32_f16_e32 v36, v13
	v_cvt_f32_f16_sdwa v37, v13 dst_sel:DWORD dst_unused:UNUSED_PAD src0_sel:WORD_1
	;; [unrolled: 9-line block ×4, first 2 shown]
	v_pk_add_f32 v[16:17], v[26:27], v[10:11]
	v_pk_add_f32 v[14:15], v[18:19], v[12:13]
	;; [unrolled: 1-line block ×8, first 2 shown]
	v_cvt_f16_f32_e32 v26, v25
	v_cvt_f16_f32_e32 v30, v24
	;; [unrolled: 1-line block ×8, first 2 shown]
	v_pack_b32_f16 v27, v31, v27
	v_pack_b32_f16 v28, v32, v28
	;; [unrolled: 1-line block ×4, first 2 shown]
	v_cvt_f16_f32_e32 v34, v16
	v_cvt_f16_f32_e32 v35, v14
	;; [unrolled: 1-line block ×4, first 2 shown]
	buffer_store_dwordx4 v[26:29], v1, s[0:3], 0 offen
	v_cvt_f16_f32_e32 v30, v15
	v_cvt_f16_f32_e32 v26, v11
	;; [unrolled: 1-line block ×4, first 2 shown]
	;;#ASMSTART
	s_nop 0
	;;#ASMEND
	v_pack_b32_f16 v29, v37, v26
	v_pack_b32_f16 v28, v36, v27
	;; [unrolled: 1-line block ×4, first 2 shown]
	buffer_store_dwordx4 v[26:29], v1, s[0:3], 16 offen
	v_pk_mul_f32 v[30:31], v[18:19], v[18:19]
	v_pk_mul_f32 v[26:27], v[24:25], v[24:25]
	v_pk_mul_f32 v[28:29], v[20:21], v[20:21]
	v_add_f32_e32 v26, v26, v27
	v_add_f32_e32 v26, v28, v26
	;; [unrolled: 1-line block ×4, first 2 shown]
	v_pk_mul_f32 v[32:33], v[22:23], v[22:23]
	v_add_f32_e32 v26, v31, v26
	v_add_f32_e32 v26, v32, v26
	v_pk_mul_f32 v[34:35], v[16:17], v[16:17]
	v_add_f32_e32 v26, v33, v26
	v_add_f32_e32 v26, v34, v26
	;; [unrolled: 3-line block ×5, first 2 shown]
	v_add_f32_e32 v26, v41, v26
	v_and_b32_e32 v28, 63, v0
	v_cmp_eq_u32_e32 vcc, 63, v28
	v_mov_b32_dpp v27, v26 quad_perm:[1,0,3,2] row_mask:0xf bank_mask:0xf
	v_add_f32_e32 v26, v26, v27
	;;#ASMSTART
	s_nop 0
	;;#ASMEND
	s_nop 1
	v_mov_b32_dpp v27, v26 quad_perm:[2,3,0,1] row_mask:0xf bank_mask:0xf
	v_add_f32_e32 v26, v26, v27
	s_nop 1
	v_mov_b32_dpp v27, v26 row_half_mirror row_mask:0xf bank_mask:0xf
	v_add_f32_e32 v26, v26, v27
	s_nop 1
	v_mov_b32_dpp v27, v26 row_mirror row_mask:0xf bank_mask:0xf
	v_add_f32_e32 v26, v26, v27
	s_nop 1
	v_mov_b32_dpp v27, v26 row_bcast:15 row_mask:0xf bank_mask:0xf
	v_add_f32_e32 v26, v26, v27
	s_nop 1
	v_mov_b32_dpp v27, v26 row_bcast:31 row_mask:0xf bank_mask:0xf
	s_and_saveexec_b64 s[0:1], vcc
	s_cbranch_execz .LBB127_3
; %bb.2:
	v_lshrrev_b32_e32 v28, 4, v0
	v_and_b32_e32 v28, 60, v28
	v_add_f32_e32 v26, v26, v27
	ds_write_b32 v28, v26
.LBB127_3:
	s_or_b64 exec, exec, s[0:1]
	v_and_b32_e32 v0, 3, v0
	v_lshlrev_b32_e32 v0, 2, v0
	s_waitcnt lgkmcnt(0)
	s_barrier
	ds_read_b32 v0, v0
	s_ashr_i32 s4, s19, 31
	s_mul_hi_u32 s5, s19, s6
	s_mul_i32 s4, s4, s6
	s_waitcnt lgkmcnt(0)
	v_mov_b32_dpp v26, v0 quad_perm:[1,0,3,2] row_mask:0xf bank_mask:0xf
	v_add_f32_e32 v0, v0, v26
	v_cvt_f32_i32_e32 v26, s17
	s_nop 0
	v_mov_b32_dpp v27, v0 quad_perm:[2,3,0,1] row_mask:0xf bank_mask:0xf
	v_add_f32_e32 v0, v0, v27
	v_div_scale_f32 v27, s[0:1], v26, v26, v0
	v_rcp_f32_e32 v28, v27
	s_add_i32 s1, s5, s4
	s_mov_b32 s4, 0x800000
	s_mul_i32 s0, s19, s6
	v_fma_f32 v29, -v27, v28, 1.0
	v_fmac_f32_e32 v28, v29, v28
	v_div_scale_f32 v29, vcc, v0, v26, v0
	v_mul_f32_e32 v30, v29, v28
	v_fma_f32 v31, -v27, v30, v29
	v_fmac_f32_e32 v30, v31, v28
	v_fma_f32 v27, -v27, v30, v29
	v_div_fmas_f32 v27, v27, v28, v30
	v_div_fixup_f32 v0, v27, v26, v0
	v_cvt_f64_f32_e32 v[26:27], v0
	v_add_f64 v[26:27], v[26:27], s[14:15]
	v_cvt_f32_f64_e32 v0, v[26:27]
	v_mul_f32_e32 v26, 0x4b800000, v0
	v_cmp_gt_f32_e32 vcc, s4, v0
	v_cndmask_b32_e32 v0, v0, v26, vcc
	v_rsq_f32_e32 v0, v0
	s_waitcnt vmcnt(3)
	v_cvt_f32_f16_sdwa v29, v7 dst_sel:DWORD dst_unused:UNUSED_PAD src0_sel:WORD_1
	v_cvt_f32_f16_e32 v28, v7
	v_cvt_f32_f16_sdwa v7, v8 dst_sel:DWORD dst_unused:UNUSED_PAD src0_sel:WORD_1
	v_mul_f32_e32 v26, 0x45800000, v0
	v_cndmask_b32_e32 v26, v0, v26, vcc
	v_mov_b32_e32 v27, v26
	;;#ASMSTART
	v_pk_mul_f32 v[24:25], v[24:25], v[26:27]
	;;#ASMEND
	;;#ASMSTART
	v_pk_mul_f32 v[20:21], v[20:21], v[26:27]
	;;#ASMEND
	;; [unrolled: 3-line block ×8, first 2 shown]
	v_cvt_f32_f16_sdwa v27, v6 dst_sel:DWORD dst_unused:UNUSED_PAD src0_sel:WORD_1
	v_cvt_f32_f16_e32 v26, v6
	v_cvt_f32_f16_e32 v6, v8
	v_cvt_f32_f16_sdwa v31, v9 dst_sel:DWORD dst_unused:UNUSED_PAD src0_sel:WORD_1
	v_cvt_f32_f16_e32 v30, v9
	;;#ASMSTART
	v_pk_mul_f32 v[8:9], v[24:25], v[26:27]
	;;#ASMEND
	;;#ASMSTART
	v_pk_mul_f32 v[20:21], v[20:21], v[28:29]
	;;#ASMEND
	;; [unrolled: 3-line block ×4, first 2 shown]
	s_waitcnt vmcnt(2)
	v_cvt_f32_f16_sdwa v23, v2 dst_sel:DWORD dst_unused:UNUSED_PAD src0_sel:WORD_1
	v_cvt_f32_f16_e32 v22, v2
	v_cvt_f32_f16_sdwa v25, v3 dst_sel:DWORD dst_unused:UNUSED_PAD src0_sel:WORD_1
	v_cvt_f32_f16_e32 v24, v3
	;; [unrolled: 2-line block ×4, first 2 shown]
	;;#ASMSTART
	v_pk_mul_f32 v[16:17], v[16:17], v[22:23]
	;;#ASMEND
	;;#ASMSTART
	v_pk_mul_f32 v[14:15], v[14:15], v[24:25]
	;;#ASMEND
	;; [unrolled: 3-line block ×3, first 2 shown]
	v_cvt_f16_f32_e32 v0, v8
	v_cvt_f16_f32_e32 v2, v9
	;; [unrolled: 1-line block ×8, first 2 shown]
	s_lshl_b64 s[0:1], s[0:1], 1
	s_add_u32 s0, s8, s0
	s_addc_u32 s1, s9, s1
	s_and_b32 s1, s1, 0xffff
	v_pack_b32_f16 v2, v0, v2
	v_pack_b32_f16 v3, v3, v4
	;; [unrolled: 1-line block ×4, first 2 shown]
	;;#ASMSTART
	v_pk_mul_f32 v[10:11], v[10:11], v[26:27]
	;;#ASMEND
	buffer_store_dwordx4 v[2:5], v1, s[0:3], 0 offen
	v_cvt_f16_f32_e32 v0, v16
	v_cvt_f16_f32_e32 v2, v17
	;; [unrolled: 1-line block ×8, first 2 shown]
	v_pack_b32_f16 v2, v0, v2
	v_pack_b32_f16 v3, v3, v4
	;; [unrolled: 1-line block ×4, first 2 shown]
	;;#ASMSTART
	s_nop 0
	;;#ASMEND
	buffer_store_dwordx4 v[2:5], v1, s[0:3], 16 offen
	;;#ASMSTART
	s_nop 0
	;;#ASMEND
.LBB127_4:
	s_endpgm
	.section	.rodata,"a",@progbits
	.p2align	6, 0x0
	.amdhsa_kernel _ZN5aiter24add_rmsnorm_quant_kernelIDF16_DF16_Li256ELi16ELb1ELb0ELb0ELi1EEEvPT0_PT_PfS4_S4_S4_diiiiiiib
		.amdhsa_group_segment_fixed_size 16
		.amdhsa_private_segment_fixed_size 0
		.amdhsa_kernarg_size 88
		.amdhsa_user_sgpr_count 6
		.amdhsa_user_sgpr_private_segment_buffer 1
		.amdhsa_user_sgpr_dispatch_ptr 0
		.amdhsa_user_sgpr_queue_ptr 0
		.amdhsa_user_sgpr_kernarg_segment_ptr 1
		.amdhsa_user_sgpr_dispatch_id 0
		.amdhsa_user_sgpr_flat_scratch_init 0
		.amdhsa_user_sgpr_kernarg_preload_length 0
		.amdhsa_user_sgpr_kernarg_preload_offset 0
		.amdhsa_user_sgpr_private_segment_size 0
		.amdhsa_uses_dynamic_stack 0
		.amdhsa_system_sgpr_private_segment_wavefront_offset 0
		.amdhsa_system_sgpr_workgroup_id_x 1
		.amdhsa_system_sgpr_workgroup_id_y 0
		.amdhsa_system_sgpr_workgroup_id_z 0
		.amdhsa_system_sgpr_workgroup_info 0
		.amdhsa_system_vgpr_workitem_id 0
		.amdhsa_next_free_vgpr 46
		.amdhsa_next_free_sgpr 24
		.amdhsa_accum_offset 48
		.amdhsa_reserve_vcc 1
		.amdhsa_reserve_flat_scratch 0
		.amdhsa_float_round_mode_32 0
		.amdhsa_float_round_mode_16_64 0
		.amdhsa_float_denorm_mode_32 3
		.amdhsa_float_denorm_mode_16_64 3
		.amdhsa_dx10_clamp 1
		.amdhsa_ieee_mode 1
		.amdhsa_fp16_overflow 0
		.amdhsa_tg_split 0
		.amdhsa_exception_fp_ieee_invalid_op 0
		.amdhsa_exception_fp_denorm_src 0
		.amdhsa_exception_fp_ieee_div_zero 0
		.amdhsa_exception_fp_ieee_overflow 0
		.amdhsa_exception_fp_ieee_underflow 0
		.amdhsa_exception_fp_ieee_inexact 0
		.amdhsa_exception_int_div_zero 0
	.end_amdhsa_kernel
	.section	.text._ZN5aiter24add_rmsnorm_quant_kernelIDF16_DF16_Li256ELi16ELb1ELb0ELb0ELi1EEEvPT0_PT_PfS4_S4_S4_diiiiiiib,"axG",@progbits,_ZN5aiter24add_rmsnorm_quant_kernelIDF16_DF16_Li256ELi16ELb1ELb0ELb0ELi1EEEvPT0_PT_PfS4_S4_S4_diiiiiiib,comdat
.Lfunc_end127:
	.size	_ZN5aiter24add_rmsnorm_quant_kernelIDF16_DF16_Li256ELi16ELb1ELb0ELb0ELi1EEEvPT0_PT_PfS4_S4_S4_diiiiiiib, .Lfunc_end127-_ZN5aiter24add_rmsnorm_quant_kernelIDF16_DF16_Li256ELi16ELb1ELb0ELb0ELi1EEEvPT0_PT_PfS4_S4_S4_diiiiiiib
                                        ; -- End function
	.section	.AMDGPU.csdata,"",@progbits
; Kernel info:
; codeLenInByte = 1600
; NumSgprs: 28
; NumVgprs: 46
; NumAgprs: 0
; TotalNumVgprs: 46
; ScratchSize: 0
; MemoryBound: 0
; FloatMode: 240
; IeeeMode: 1
; LDSByteSize: 16 bytes/workgroup (compile time only)
; SGPRBlocks: 3
; VGPRBlocks: 5
; NumSGPRsForWavesPerEU: 28
; NumVGPRsForWavesPerEU: 46
; AccumOffset: 48
; Occupancy: 8
; WaveLimiterHint : 0
; COMPUTE_PGM_RSRC2:SCRATCH_EN: 0
; COMPUTE_PGM_RSRC2:USER_SGPR: 6
; COMPUTE_PGM_RSRC2:TRAP_HANDLER: 0
; COMPUTE_PGM_RSRC2:TGID_X_EN: 1
; COMPUTE_PGM_RSRC2:TGID_Y_EN: 0
; COMPUTE_PGM_RSRC2:TGID_Z_EN: 0
; COMPUTE_PGM_RSRC2:TIDIG_COMP_CNT: 0
; COMPUTE_PGM_RSRC3_GFX90A:ACCUM_OFFSET: 11
; COMPUTE_PGM_RSRC3_GFX90A:TG_SPLIT: 0
	.section	.text._ZN5aiter24add_rmsnorm_quant_kernelIttLi256ELi16ELb1ELb0ELb0ELi1EEEvPT0_PT_PfS4_S4_S4_diiiiiiib,"axG",@progbits,_ZN5aiter24add_rmsnorm_quant_kernelIttLi256ELi16ELb1ELb0ELb0ELi1EEEvPT0_PT_PfS4_S4_S4_diiiiiiib,comdat
	.protected	_ZN5aiter24add_rmsnorm_quant_kernelIttLi256ELi16ELb1ELb0ELb0ELi1EEEvPT0_PT_PfS4_S4_S4_diiiiiiib ; -- Begin function _ZN5aiter24add_rmsnorm_quant_kernelIttLi256ELi16ELb1ELb0ELb0ELi1EEEvPT0_PT_PfS4_S4_S4_diiiiiiib
	.globl	_ZN5aiter24add_rmsnorm_quant_kernelIttLi256ELi16ELb1ELb0ELb0ELi1EEEvPT0_PT_PfS4_S4_S4_diiiiiiib
	.p2align	8
	.type	_ZN5aiter24add_rmsnorm_quant_kernelIttLi256ELi16ELb1ELb0ELb0ELi1EEEvPT0_PT_PfS4_S4_S4_diiiiiiib,@function
_ZN5aiter24add_rmsnorm_quant_kernelIttLi256ELi16ELb1ELb0ELb0ELi1EEEvPT0_PT_PfS4_S4_S4_diiiiiiib: ; @_ZN5aiter24add_rmsnorm_quant_kernelIttLi256ELi16ELb1ELb0ELb0ELi1EEEvPT0_PT_PfS4_S4_S4_diiiiiiib
; %bb.0:
	s_load_dwordx4 s[16:19], s[4:5], 0x38
	s_mov_b32 s7, 0
	s_waitcnt lgkmcnt(0)
	s_ashr_i32 s0, s16, 31
	v_mov_b32_e32 v2, s16
	v_mov_b32_e32 v3, s0
	v_cmp_ge_i64_e32 vcc, s[6:7], v[2:3]
	s_cbranch_vccnz .LBB128_4
; %bb.1:
	s_load_dwordx8 s[8:15], s[4:5], 0x18
	s_ashr_i32 s0, s18, 31
	s_mul_hi_u32 s1, s18, s6
	s_mul_i32 s0, s0, s6
	s_add_i32 s1, s1, s0
	s_mul_i32 s0, s18, s6
	s_lshl_b64 s[0:1], s[0:1], 1
	s_waitcnt lgkmcnt(0)
	s_add_u32 s0, s8, s0
	s_addc_u32 s1, s9, s1
	s_add_i32 s2, s17, 1
	s_lshr_b32 s3, s2, 31
	s_add_i32 s2, s2, s3
	s_lshl_b32 s2, s2, 1
	s_and_b32 s2, s2, -4
	s_and_b32 s1, s1, 0xffff
	s_mov_b32 s3, 0x20000
	v_lshlrev_b32_e32 v1, 5, v0
	buffer_load_dwordx4 v[18:21], v1, s[0:3], 16 offen
	buffer_load_dwordx4 v[10:13], v1, s[0:3], 0 offen
	s_ashr_i32 s0, s19, 31
	s_mul_hi_u32 s1, s19, s6
	s_mul_i32 s0, s0, s6
	s_add_i32 s1, s1, s0
	s_mul_i32 s0, s19, s6
	s_and_b32 s21, s13, 0xffff
	s_lshl_b64 s[0:1], s[0:1], 1
	s_add_u32 s0, s10, s0
	s_addc_u32 s1, s11, s1
	s_and_b32 s1, s1, 0xffff
	buffer_load_dwordx4 v[22:25], v1, s[0:3], 16 offen
	buffer_load_dwordx4 v[14:17], v1, s[0:3], 0 offen
	s_mov_b32 s23, s3
	s_mov_b32 s20, s12
	;; [unrolled: 1-line block ×3, first 2 shown]
	s_load_dwordx2 s[18:19], s[4:5], 0x48
	s_load_dwordx4 s[8:11], s[4:5], 0x0
	buffer_load_dwordx4 v[6:9], v1, s[20:23], 0 offen
	buffer_load_dwordx4 v[2:5], v1, s[20:23], 16 offen
	s_mov_b32 s4, 0x7060302
	s_waitcnt lgkmcnt(0)
	s_ashr_i32 s5, s18, 31
	s_mul_hi_u32 s1, s18, s6
	s_mul_i32 s5, s5, s6
	s_mul_i32 s0, s18, s6
	s_add_i32 s1, s1, s5
	s_lshl_b64 s[0:1], s[0:1], 1
	s_add_u32 s0, s10, s0
	s_addc_u32 s1, s11, s1
	s_and_b32 s1, s1, 0xffff
	s_waitcnt vmcnt(5)
	v_cvt_f32_u32_sdwa v27, v18 dst_sel:DWORD dst_unused:UNUSED_PAD src0_sel:WORD_1
	v_cvt_f32_u32_sdwa v26, v18 dst_sel:DWORD dst_unused:UNUSED_PAD src0_sel:WORD_0
	v_cvt_f32_u32_sdwa v29, v19 dst_sel:DWORD dst_unused:UNUSED_PAD src0_sel:WORD_1
	v_cvt_f32_u32_sdwa v28, v19 dst_sel:DWORD dst_unused:UNUSED_PAD src0_sel:WORD_0
	v_cvt_f32_u32_sdwa v19, v20 dst_sel:DWORD dst_unused:UNUSED_PAD src0_sel:WORD_1
	v_cvt_f32_u32_sdwa v18, v20 dst_sel:DWORD dst_unused:UNUSED_PAD src0_sel:WORD_0
	v_cvt_f32_u32_sdwa v31, v21 dst_sel:DWORD dst_unused:UNUSED_PAD src0_sel:WORD_1
	v_cvt_f32_u32_sdwa v30, v21 dst_sel:DWORD dst_unused:UNUSED_PAD src0_sel:WORD_0
	s_waitcnt vmcnt(4)
	v_cvt_f32_u32_sdwa v21, v10 dst_sel:DWORD dst_unused:UNUSED_PAD src0_sel:WORD_1
	v_cvt_f32_u32_sdwa v20, v10 dst_sel:DWORD dst_unused:UNUSED_PAD src0_sel:WORD_0
	v_cvt_f32_u32_sdwa v33, v11 dst_sel:DWORD dst_unused:UNUSED_PAD src0_sel:WORD_1
	v_cvt_f32_u32_sdwa v32, v11 dst_sel:DWORD dst_unused:UNUSED_PAD src0_sel:WORD_0
	v_cvt_f32_u32_sdwa v35, v12 dst_sel:DWORD dst_unused:UNUSED_PAD src0_sel:WORD_1
	v_cvt_f32_u32_sdwa v34, v12 dst_sel:DWORD dst_unused:UNUSED_PAD src0_sel:WORD_0
	v_cvt_f32_u32_sdwa v37, v13 dst_sel:DWORD dst_unused:UNUSED_PAD src0_sel:WORD_1
	v_cvt_f32_u32_sdwa v36, v13 dst_sel:DWORD dst_unused:UNUSED_PAD src0_sel:WORD_0
	;; [unrolled: 9-line block ×4, first 2 shown]
	v_pk_add_f32 v[14:15], v[28:29], v[12:13]
	v_pk_add_f32 v[12:13], v[18:19], v[22:23]
	;; [unrolled: 1-line block ×7, first 2 shown]
	v_perm_b32 v29, v19, v18, s4
	v_perm_b32 v28, v21, v20, s4
	;; [unrolled: 1-line block ×4, first 2 shown]
	v_pk_mul_f32 v[34:35], v[24:25], v[24:25]
	buffer_store_dwordx4 v[26:29], v1, s[0:3], 0 offen
	v_add_f32_e32 v34, v34, v35
	v_pk_mul_f32 v[26:27], v[22:23], v[22:23]
	v_add_f32_e32 v26, v26, v34
	v_pk_add_f32 v[10:11], v[30:31], v[38:39]
	v_pk_mul_f32 v[28:29], v[20:21], v[20:21]
	v_add_f32_e32 v26, v27, v26
	v_perm_b32 v33, v11, v10, s4
	v_perm_b32 v32, v13, v12, s4
	;; [unrolled: 1-line block ×4, first 2 shown]
	v_add_f32_e32 v26, v28, v26
	;;#ASMSTART
	s_nop 0
	;;#ASMEND
	buffer_store_dwordx4 v[30:33], v1, s[0:3], 16 offen
	v_add_f32_e32 v26, v29, v26
	v_pk_mul_f32 v[30:31], v[18:19], v[18:19]
	v_add_f32_e32 v26, v30, v26
	v_pk_mul_f32 v[32:33], v[16:17], v[16:17]
	v_add_f32_e32 v26, v31, v26
	v_add_f32_e32 v26, v32, v26
	v_pk_mul_f32 v[36:37], v[14:15], v[14:15]
	v_add_f32_e32 v26, v33, v26
	;; [unrolled: 3-line block ×4, first 2 shown]
	v_add_f32_e32 v26, v40, v26
	v_add_f32_e32 v26, v41, v26
	v_and_b32_e32 v28, 63, v0
	v_cmp_eq_u32_e32 vcc, 63, v28
	v_mov_b32_dpp v27, v26 quad_perm:[1,0,3,2] row_mask:0xf bank_mask:0xf
	v_add_f32_e32 v26, v26, v27
	;;#ASMSTART
	s_nop 0
	;;#ASMEND
	s_nop 1
	v_mov_b32_dpp v27, v26 quad_perm:[2,3,0,1] row_mask:0xf bank_mask:0xf
	v_add_f32_e32 v26, v26, v27
	s_nop 1
	v_mov_b32_dpp v27, v26 row_half_mirror row_mask:0xf bank_mask:0xf
	v_add_f32_e32 v26, v26, v27
	s_nop 1
	v_mov_b32_dpp v27, v26 row_mirror row_mask:0xf bank_mask:0xf
	v_add_f32_e32 v26, v26, v27
	s_nop 1
	v_mov_b32_dpp v27, v26 row_bcast:15 row_mask:0xf bank_mask:0xf
	v_add_f32_e32 v26, v26, v27
	s_nop 1
	v_mov_b32_dpp v27, v26 row_bcast:31 row_mask:0xf bank_mask:0xf
	s_and_saveexec_b64 s[0:1], vcc
	s_cbranch_execz .LBB128_3
; %bb.2:
	v_lshrrev_b32_e32 v28, 4, v0
	v_and_b32_e32 v28, 60, v28
	v_add_f32_e32 v26, v26, v27
	ds_write_b32 v28, v26
.LBB128_3:
	s_or_b64 exec, exec, s[0:1]
	v_and_b32_e32 v0, 3, v0
	v_lshlrev_b32_e32 v0, 2, v0
	s_waitcnt lgkmcnt(0)
	s_barrier
	ds_read_b32 v0, v0
	s_ashr_i32 s5, s19, 31
	s_mul_hi_u32 s7, s19, s6
	s_mul_i32 s5, s5, s6
	s_waitcnt lgkmcnt(0)
	v_mov_b32_dpp v26, v0 quad_perm:[1,0,3,2] row_mask:0xf bank_mask:0xf
	v_add_f32_e32 v0, v0, v26
	v_cvt_f32_i32_e32 v26, s17
	s_nop 0
	v_mov_b32_dpp v27, v0 quad_perm:[2,3,0,1] row_mask:0xf bank_mask:0xf
	v_add_f32_e32 v0, v0, v27
	v_div_scale_f32 v27, s[0:1], v26, v26, v0
	v_rcp_f32_e32 v28, v27
	s_add_i32 s1, s7, s5
	s_mov_b32 s5, 0x800000
	s_mul_i32 s0, s19, s6
	v_fma_f32 v29, -v27, v28, 1.0
	v_fmac_f32_e32 v28, v29, v28
	v_div_scale_f32 v29, vcc, v0, v26, v0
	v_mul_f32_e32 v30, v29, v28
	v_fma_f32 v31, -v27, v30, v29
	v_fmac_f32_e32 v30, v31, v28
	v_fma_f32 v27, -v27, v30, v29
	v_div_fmas_f32 v27, v27, v28, v30
	v_div_fixup_f32 v0, v27, v26, v0
	v_cvt_f64_f32_e32 v[26:27], v0
	v_add_f64 v[26:27], v[26:27], s[14:15]
	v_cvt_f32_f64_e32 v0, v[26:27]
	v_mul_f32_e32 v26, 0x4b800000, v0
	v_cmp_gt_f32_e32 vcc, s5, v0
	v_cndmask_b32_e32 v0, v0, v26, vcc
	v_rsq_f32_e32 v0, v0
	s_lshl_b64 s[0:1], s[0:1], 1
	s_add_u32 s0, s8, s0
	s_waitcnt vmcnt(3)
	v_cvt_f32_u32_sdwa v29, v7 dst_sel:DWORD dst_unused:UNUSED_PAD src0_sel:WORD_1
	v_mul_f32_e32 v26, 0x45800000, v0
	v_cndmask_b32_e32 v26, v0, v26, vcc
	v_mov_b32_e32 v27, v26
	;;#ASMSTART
	v_pk_mul_f32 v[24:25], v[24:25], v[26:27]
	;;#ASMEND
	;;#ASMSTART
	v_pk_mul_f32 v[22:23], v[22:23], v[26:27]
	;;#ASMEND
	;; [unrolled: 3-line block ×8, first 2 shown]
	v_cvt_f32_u32_sdwa v27, v6 dst_sel:DWORD dst_unused:UNUSED_PAD src0_sel:WORD_1
	v_cvt_f32_u32_sdwa v26, v6 dst_sel:DWORD dst_unused:UNUSED_PAD src0_sel:WORD_0
	v_cvt_f32_u32_sdwa v28, v7 dst_sel:DWORD dst_unused:UNUSED_PAD src0_sel:WORD_0
	v_cvt_f32_u32_sdwa v7, v8 dst_sel:DWORD dst_unused:UNUSED_PAD src0_sel:WORD_1
	v_cvt_f32_u32_sdwa v6, v8 dst_sel:DWORD dst_unused:UNUSED_PAD src0_sel:WORD_0
	s_addc_u32 s1, s9, s1
	v_cvt_f32_u32_sdwa v31, v9 dst_sel:DWORD dst_unused:UNUSED_PAD src0_sel:WORD_1
	v_cvt_f32_u32_sdwa v30, v9 dst_sel:DWORD dst_unused:UNUSED_PAD src0_sel:WORD_0
	;;#ASMSTART
	v_pk_mul_f32 v[8:9], v[24:25], v[26:27]
	;;#ASMEND
	;;#ASMSTART
	v_pk_mul_f32 v[22:23], v[22:23], v[28:29]
	;;#ASMEND
	;; [unrolled: 3-line block ×3, first 2 shown]
	s_waitcnt vmcnt(2)
	v_cvt_f32_u32_sdwa v21, v2 dst_sel:DWORD dst_unused:UNUSED_PAD src0_sel:WORD_1
	v_cvt_f32_u32_sdwa v20, v2 dst_sel:DWORD dst_unused:UNUSED_PAD src0_sel:WORD_0
	v_cvt_f32_u32_sdwa v25, v3 dst_sel:DWORD dst_unused:UNUSED_PAD src0_sel:WORD_1
	v_cvt_f32_u32_sdwa v24, v3 dst_sel:DWORD dst_unused:UNUSED_PAD src0_sel:WORD_0
	v_cvt_f32_u32_sdwa v3, v4 dst_sel:DWORD dst_unused:UNUSED_PAD src0_sel:WORD_1
	v_cvt_f32_u32_sdwa v2, v4 dst_sel:DWORD dst_unused:UNUSED_PAD src0_sel:WORD_0
	;;#ASMSTART
	v_pk_mul_f32 v[18:19], v[18:19], v[30:31]
	;;#ASMEND
	v_cvt_f32_u32_sdwa v27, v5 dst_sel:DWORD dst_unused:UNUSED_PAD src0_sel:WORD_1
	v_cvt_f32_u32_sdwa v26, v5 dst_sel:DWORD dst_unused:UNUSED_PAD src0_sel:WORD_0
	;;#ASMSTART
	v_pk_mul_f32 v[16:17], v[16:17], v[20:21]
	;;#ASMEND
	;;#ASMSTART
	v_pk_mul_f32 v[14:15], v[14:15], v[24:25]
	;;#ASMEND
	;; [unrolled: 3-line block ×3, first 2 shown]
	s_and_b32 s1, s1, 0xffff
	v_perm_b32 v2, v9, v8, s4
	v_perm_b32 v3, v23, v22, s4
	;; [unrolled: 1-line block ×4, first 2 shown]
	;;#ASMSTART
	v_pk_mul_f32 v[10:11], v[10:11], v[26:27]
	;;#ASMEND
	buffer_store_dwordx4 v[2:5], v1, s[0:3], 0 offen
	;;#ASMSTART
	s_nop 0
	;;#ASMEND
	s_nop 0
	v_perm_b32 v2, v17, v16, s4
	v_perm_b32 v3, v15, v14, s4
	;; [unrolled: 1-line block ×4, first 2 shown]
	buffer_store_dwordx4 v[2:5], v1, s[0:3], 16 offen
	;;#ASMSTART
	s_nop 0
	;;#ASMEND
.LBB128_4:
	s_endpgm
	.section	.rodata,"a",@progbits
	.p2align	6, 0x0
	.amdhsa_kernel _ZN5aiter24add_rmsnorm_quant_kernelIttLi256ELi16ELb1ELb0ELb0ELi1EEEvPT0_PT_PfS4_S4_S4_diiiiiiib
		.amdhsa_group_segment_fixed_size 16
		.amdhsa_private_segment_fixed_size 0
		.amdhsa_kernarg_size 88
		.amdhsa_user_sgpr_count 6
		.amdhsa_user_sgpr_private_segment_buffer 1
		.amdhsa_user_sgpr_dispatch_ptr 0
		.amdhsa_user_sgpr_queue_ptr 0
		.amdhsa_user_sgpr_kernarg_segment_ptr 1
		.amdhsa_user_sgpr_dispatch_id 0
		.amdhsa_user_sgpr_flat_scratch_init 0
		.amdhsa_user_sgpr_kernarg_preload_length 0
		.amdhsa_user_sgpr_kernarg_preload_offset 0
		.amdhsa_user_sgpr_private_segment_size 0
		.amdhsa_uses_dynamic_stack 0
		.amdhsa_system_sgpr_private_segment_wavefront_offset 0
		.amdhsa_system_sgpr_workgroup_id_x 1
		.amdhsa_system_sgpr_workgroup_id_y 0
		.amdhsa_system_sgpr_workgroup_id_z 0
		.amdhsa_system_sgpr_workgroup_info 0
		.amdhsa_system_vgpr_workitem_id 0
		.amdhsa_next_free_vgpr 46
		.amdhsa_next_free_sgpr 24
		.amdhsa_accum_offset 48
		.amdhsa_reserve_vcc 1
		.amdhsa_reserve_flat_scratch 0
		.amdhsa_float_round_mode_32 0
		.amdhsa_float_round_mode_16_64 0
		.amdhsa_float_denorm_mode_32 3
		.amdhsa_float_denorm_mode_16_64 3
		.amdhsa_dx10_clamp 1
		.amdhsa_ieee_mode 1
		.amdhsa_fp16_overflow 0
		.amdhsa_tg_split 0
		.amdhsa_exception_fp_ieee_invalid_op 0
		.amdhsa_exception_fp_denorm_src 0
		.amdhsa_exception_fp_ieee_div_zero 0
		.amdhsa_exception_fp_ieee_overflow 0
		.amdhsa_exception_fp_ieee_underflow 0
		.amdhsa_exception_fp_ieee_inexact 0
		.amdhsa_exception_int_div_zero 0
	.end_amdhsa_kernel
	.section	.text._ZN5aiter24add_rmsnorm_quant_kernelIttLi256ELi16ELb1ELb0ELb0ELi1EEEvPT0_PT_PfS4_S4_S4_diiiiiiib,"axG",@progbits,_ZN5aiter24add_rmsnorm_quant_kernelIttLi256ELi16ELb1ELb0ELb0ELi1EEEvPT0_PT_PfS4_S4_S4_diiiiiiib,comdat
.Lfunc_end128:
	.size	_ZN5aiter24add_rmsnorm_quant_kernelIttLi256ELi16ELb1ELb0ELb0ELi1EEEvPT0_PT_PfS4_S4_S4_diiiiiiib, .Lfunc_end128-_ZN5aiter24add_rmsnorm_quant_kernelIttLi256ELi16ELb1ELb0ELb0ELi1EEEvPT0_PT_PfS4_S4_S4_diiiiiiib
                                        ; -- End function
	.section	.AMDGPU.csdata,"",@progbits
; Kernel info:
; codeLenInByte = 1580
; NumSgprs: 28
; NumVgprs: 46
; NumAgprs: 0
; TotalNumVgprs: 46
; ScratchSize: 0
; MemoryBound: 0
; FloatMode: 240
; IeeeMode: 1
; LDSByteSize: 16 bytes/workgroup (compile time only)
; SGPRBlocks: 3
; VGPRBlocks: 5
; NumSGPRsForWavesPerEU: 28
; NumVGPRsForWavesPerEU: 46
; AccumOffset: 48
; Occupancy: 8
; WaveLimiterHint : 0
; COMPUTE_PGM_RSRC2:SCRATCH_EN: 0
; COMPUTE_PGM_RSRC2:USER_SGPR: 6
; COMPUTE_PGM_RSRC2:TRAP_HANDLER: 0
; COMPUTE_PGM_RSRC2:TGID_X_EN: 1
; COMPUTE_PGM_RSRC2:TGID_Y_EN: 0
; COMPUTE_PGM_RSRC2:TGID_Z_EN: 0
; COMPUTE_PGM_RSRC2:TIDIG_COMP_CNT: 0
; COMPUTE_PGM_RSRC3_GFX90A:ACCUM_OFFSET: 11
; COMPUTE_PGM_RSRC3_GFX90A:TG_SPLIT: 0
	.section	.text._ZN5aiter24add_rmsnorm_quant_kernelIDF16_DF16_Li256ELi24ELb1ELb0ELb1ELi1EEEvPT0_PT_PfS4_S4_S4_diiiiiiib,"axG",@progbits,_ZN5aiter24add_rmsnorm_quant_kernelIDF16_DF16_Li256ELi24ELb1ELb0ELb1ELi1EEEvPT0_PT_PfS4_S4_S4_diiiiiiib,comdat
	.protected	_ZN5aiter24add_rmsnorm_quant_kernelIDF16_DF16_Li256ELi24ELb1ELb0ELb1ELi1EEEvPT0_PT_PfS4_S4_S4_diiiiiiib ; -- Begin function _ZN5aiter24add_rmsnorm_quant_kernelIDF16_DF16_Li256ELi24ELb1ELb0ELb1ELi1EEEvPT0_PT_PfS4_S4_S4_diiiiiiib
	.globl	_ZN5aiter24add_rmsnorm_quant_kernelIDF16_DF16_Li256ELi24ELb1ELb0ELb1ELi1EEEvPT0_PT_PfS4_S4_S4_diiiiiiib
	.p2align	8
	.type	_ZN5aiter24add_rmsnorm_quant_kernelIDF16_DF16_Li256ELi24ELb1ELb0ELb1ELi1EEEvPT0_PT_PfS4_S4_S4_diiiiiiib,@function
_ZN5aiter24add_rmsnorm_quant_kernelIDF16_DF16_Li256ELi24ELb1ELb0ELb1ELi1EEEvPT0_PT_PfS4_S4_S4_diiiiiiib: ; @_ZN5aiter24add_rmsnorm_quant_kernelIDF16_DF16_Li256ELi24ELb1ELb0ELb1ELi1EEEvPT0_PT_PfS4_S4_S4_diiiiiiib
; %bb.0:
	s_load_dwordx4 s[16:19], s[4:5], 0x38
	s_mov_b32 s7, 0
	s_waitcnt lgkmcnt(0)
	s_ashr_i32 s0, s16, 31
	v_mov_b32_e32 v2, s16
	v_mov_b32_e32 v3, s0
	v_cmp_ge_i64_e32 vcc, s[6:7], v[2:3]
	s_cbranch_vccnz .LBB129_4
; %bb.1:
	s_load_dwordx8 s[8:15], s[4:5], 0x18
	s_ashr_i32 s0, s18, 31
	s_mul_hi_u32 s1, s18, s6
	s_mul_i32 s0, s0, s6
	s_add_i32 s1, s1, s0
	s_mul_i32 s0, s18, s6
	s_lshl_b64 s[0:1], s[0:1], 1
	s_waitcnt lgkmcnt(0)
	s_add_u32 s0, s8, s0
	s_addc_u32 s1, s9, s1
	s_add_i32 s2, s17, 1
	s_lshr_b32 s3, s2, 31
	v_and_b32_e32 v2, 0x3c0, v0
	s_add_i32 s2, s2, s3
	v_lshlrev_b32_e32 v1, 3, v0
	v_mul_u32_u24_e32 v2, 24, v2
	s_movk_i32 s7, 0x1f8
	s_lshl_b32 s2, s2, 1
	v_and_or_b32 v1, v1, s7, v2
	s_and_b32 s2, s2, -4
	s_and_b32 s1, s1, 0xffff
	s_mov_b32 s3, 0x20000
	v_lshlrev_b32_e32 v1, 1, v1
	s_movk_i32 s16, 0x400
	s_movk_i32 s7, 0x800
	buffer_load_dwordx4 v[34:37], v1, s[0:3], s16 offen glc slc
	buffer_load_dwordx4 v[14:17], v1, s[0:3], 0 offen glc slc
	;; [unrolled: 1-line block ×3, first 2 shown]
	s_ashr_i32 s0, s19, 31
	s_mul_hi_u32 s1, s19, s6
	s_mul_i32 s0, s0, s6
	s_add_i32 s1, s1, s0
	s_mul_i32 s0, s19, s6
	s_and_b32 s21, s13, 0xffff
	s_lshl_b64 s[0:1], s[0:1], 1
	s_add_u32 s0, s10, s0
	s_addc_u32 s1, s11, s1
	s_and_b32 s1, s1, 0xffff
	buffer_load_dwordx4 v[30:33], v1, s[0:3], s16 offen glc slc
	buffer_load_dwordx4 v[22:25], v1, s[0:3], s7 offen glc slc
	;; [unrolled: 1-line block ×3, first 2 shown]
	s_mov_b32 s23, s3
	s_mov_b32 s20, s12
	;; [unrolled: 1-line block ×3, first 2 shown]
	s_load_dwordx2 s[18:19], s[4:5], 0x48
	s_load_dwordx4 s[8:11], s[4:5], 0x0
	buffer_load_dwordx4 v[10:13], v1, s[20:23], 0 offen
	buffer_load_dwordx4 v[6:9], v1, s[20:23], s16 offen
	;; [unrolled: 1-line block ×3, first 2 shown]
	s_waitcnt lgkmcnt(0)
	s_ashr_i32 s4, s18, 31
	s_mul_hi_u32 s1, s18, s6
	s_mul_i32 s4, s4, s6
	s_mul_i32 s0, s18, s6
	s_add_i32 s1, s1, s4
	s_lshl_b64 s[0:1], s[0:1], 1
	s_add_u32 s0, s10, s0
	s_addc_u32 s1, s11, s1
	s_and_b32 s1, s1, 0xffff
	s_waitcnt vmcnt(8)
	v_cvt_f32_f16_e32 v38, v34
	v_cvt_f32_f16_sdwa v39, v34 dst_sel:DWORD dst_unused:UNUSED_PAD src0_sel:WORD_1
	s_waitcnt vmcnt(6)
	v_cvt_f32_f16_e32 v46, v28
	v_cvt_f32_f16_sdwa v47, v28 dst_sel:DWORD dst_unused:UNUSED_PAD src0_sel:WORD_1
	v_cvt_f32_f16_e32 v48, v29
	v_cvt_f32_f16_sdwa v49, v29 dst_sel:DWORD dst_unused:UNUSED_PAD src0_sel:WORD_1
	;; [unrolled: 2-line block ×4, first 2 shown]
	v_cvt_f32_f16_e32 v42, v37
	s_waitcnt vmcnt(5)
	v_cvt_f32_f16_e32 v28, v30
	v_cvt_f32_f16_sdwa v29, v30 dst_sel:DWORD dst_unused:UNUSED_PAD src0_sel:WORD_1
	v_cvt_f32_f16_sdwa v43, v37 dst_sel:DWORD dst_unused:UNUSED_PAD src0_sel:WORD_1
	v_cvt_f32_f16_e32 v30, v31
	v_cvt_f32_f16_sdwa v31, v31 dst_sel:DWORD dst_unused:UNUSED_PAD src0_sel:WORD_1
	v_cvt_f32_f16_e32 v52, v32
	;; [unrolled: 2-line block ×3, first 2 shown]
	v_cvt_f32_f16_sdwa v55, v33 dst_sel:DWORD dst_unused:UNUSED_PAD src0_sel:WORD_1
	s_waitcnt vmcnt(3)
	v_cvt_f32_f16_e32 v62, v18
	v_pk_add_f32 v[36:37], v[38:39], v[28:29]
	v_cvt_f32_f16_sdwa v63, v18 dst_sel:DWORD dst_unused:UNUSED_PAD src0_sel:WORD_1
	v_cvt_f32_f16_e32 v38, v15
	v_cvt_f32_f16_sdwa v39, v15 dst_sel:DWORD dst_unused:UNUSED_PAD src0_sel:WORD_1
	v_cvt_f32_f16_e32 v18, v19
	;; [unrolled: 2-line block ×3, first 2 shown]
	v_cvt_f32_f16_sdwa v51, v14 dst_sel:DWORD dst_unused:UNUSED_PAD src0_sel:WORD_1
	v_pk_add_f32 v[34:35], v[34:35], v[30:31]
	v_pk_add_f32 v[32:33], v[40:41], v[52:53]
	;; [unrolled: 1-line block ×4, first 2 shown]
	v_cvt_f32_f16_e32 v38, v16
	v_cvt_f32_f16_sdwa v39, v16 dst_sel:DWORD dst_unused:UNUSED_PAD src0_sel:WORD_1
	v_cvt_f32_f16_e32 v40, v20
	v_cvt_f32_f16_sdwa v41, v20 dst_sel:DWORD dst_unused:UNUSED_PAD src0_sel:WORD_1
	;; [unrolled: 2-line block ×7, first 2 shown]
	v_pk_add_f32 v[14:15], v[50:51], v[62:63]
	v_pk_add_f32 v[16:17], v[38:39], v[40:41]
	;; [unrolled: 1-line block ×3, first 2 shown]
	v_cvt_f32_f16_e32 v60, v25
	v_cvt_f32_f16_sdwa v61, v25 dst_sel:DWORD dst_unused:UNUSED_PAD src0_sel:WORD_1
	v_pk_add_f32 v[28:29], v[44:45], v[56:57]
	v_pk_add_f32 v[24:25], v[46:47], v[58:59]
	v_cvt_f16_f32_e32 v44, v15
	v_cvt_f16_f32_e32 v45, v19
	;; [unrolled: 1-line block ×8, first 2 shown]
	v_pack_b32_f16 v41, v40, v39
	v_pack_b32_f16 v40, v42, v38
	v_pack_b32_f16 v39, v43, v45
	v_pack_b32_f16 v38, v46, v44
	v_cvt_f32_f16_e32 v26, v27
	v_cvt_f32_f16_sdwa v27, v27 dst_sel:DWORD dst_unused:UNUSED_PAD src0_sel:WORD_1
	v_cvt_f32_f16_e32 v22, v23
	v_cvt_f32_f16_sdwa v23, v23 dst_sel:DWORD dst_unused:UNUSED_PAD src0_sel:WORD_1
	buffer_store_dwordx4 v[38:41], v1, s[0:3], 0 offen glc slc
	v_cvt_f16_f32_e32 v42, v31
	v_cvt_f16_f32_e32 v38, v36
	;; [unrolled: 1-line block ×8, first 2 shown]
	v_pk_add_f32 v[26:27], v[26:27], v[22:23]
	v_pk_add_f32 v[22:23], v[48:49], v[60:61]
	v_pack_b32_f16 v41, v41, v42
	v_pack_b32_f16 v40, v40, v43
	v_pack_b32_f16 v39, v39, v44
	v_pack_b32_f16 v38, v38, v45
	;;#ASMSTART
	s_nop 0
	;;#ASMEND
	buffer_store_dwordx4 v[38:41], v1, s[0:3], s16 offen glc slc
	v_cvt_f16_f32_e32 v38, v28
	v_cvt_f16_f32_e32 v39, v26
	;; [unrolled: 1-line block ×8, first 2 shown]
	v_pack_b32_f16 v41, v41, v42
	v_pack_b32_f16 v40, v40, v43
	;; [unrolled: 1-line block ×4, first 2 shown]
	;;#ASMSTART
	s_nop 0
	;;#ASMEND
	buffer_store_dwordx4 v[38:41], v1, s[0:3], s7 offen glc slc
	v_pk_mul_f32 v[38:39], v[14:15], v[14:15]
	v_pk_mul_f32 v[40:41], v[18:19], v[18:19]
	v_add_f32_e32 v38, v38, v39
	v_add_f32_e32 v38, v40, v38
	v_pk_mul_f32 v[42:43], v[16:17], v[16:17]
	v_add_f32_e32 v40, v41, v38
	v_add_f32_e32 v40, v42, v40
	;; [unrolled: 3-line block ×11, first 2 shown]
	v_add_f32_e32 v38, v39, v38
	v_and_b32_e32 v40, 63, v0
	v_cmp_eq_u32_e32 vcc, 63, v40
	v_mov_b32_dpp v39, v38 quad_perm:[1,0,3,2] row_mask:0xf bank_mask:0xf
	v_add_f32_e32 v38, v38, v39
	;;#ASMSTART
	s_nop 0
	;;#ASMEND
	s_nop 1
	v_mov_b32_dpp v39, v38 quad_perm:[2,3,0,1] row_mask:0xf bank_mask:0xf
	v_add_f32_e32 v38, v38, v39
	s_nop 1
	v_mov_b32_dpp v39, v38 row_half_mirror row_mask:0xf bank_mask:0xf
	v_add_f32_e32 v38, v38, v39
	s_nop 1
	v_mov_b32_dpp v39, v38 row_mirror row_mask:0xf bank_mask:0xf
	v_add_f32_e32 v38, v38, v39
	s_nop 1
	v_mov_b32_dpp v39, v38 row_bcast:15 row_mask:0xf bank_mask:0xf
	v_add_f32_e32 v38, v38, v39
	s_nop 1
	v_mov_b32_dpp v39, v38 row_bcast:31 row_mask:0xf bank_mask:0xf
	s_and_saveexec_b64 s[0:1], vcc
	s_cbranch_execz .LBB129_3
; %bb.2:
	v_lshrrev_b32_e32 v40, 4, v0
	v_and_b32_e32 v40, 60, v40
	v_add_f32_e32 v38, v38, v39
	ds_write_b32 v40, v38
.LBB129_3:
	s_or_b64 exec, exec, s[0:1]
	v_and_b32_e32 v0, 3, v0
	v_lshlrev_b32_e32 v0, 2, v0
	s_waitcnt lgkmcnt(0)
	s_barrier
	ds_read_b32 v0, v0
	s_ashr_i32 s4, s19, 31
	s_mul_hi_u32 s5, s19, s6
	s_mul_i32 s4, s4, s6
	s_waitcnt lgkmcnt(0)
	v_mov_b32_dpp v38, v0 quad_perm:[1,0,3,2] row_mask:0xf bank_mask:0xf
	v_add_f32_e32 v0, v0, v38
	v_cvt_f32_i32_e32 v38, s17
	s_nop 0
	v_mov_b32_dpp v39, v0 quad_perm:[2,3,0,1] row_mask:0xf bank_mask:0xf
	v_add_f32_e32 v0, v0, v39
	v_div_scale_f32 v39, s[0:1], v38, v38, v0
	v_rcp_f32_e32 v40, v39
	s_add_i32 s1, s5, s4
	s_mov_b32 s4, 0x800000
	s_mul_i32 s0, s19, s6
	v_fma_f32 v41, -v39, v40, 1.0
	v_fmac_f32_e32 v40, v41, v40
	v_div_scale_f32 v41, vcc, v0, v38, v0
	v_mul_f32_e32 v42, v41, v40
	v_fma_f32 v43, -v39, v42, v41
	v_fmac_f32_e32 v42, v43, v40
	v_fma_f32 v39, -v39, v42, v41
	v_div_fmas_f32 v39, v39, v40, v42
	v_div_fixup_f32 v0, v39, v38, v0
	v_cvt_f64_f32_e32 v[38:39], v0
	v_add_f64 v[38:39], v[38:39], s[14:15]
	v_cvt_f32_f64_e32 v0, v[38:39]
	v_mul_f32_e32 v38, 0x4b800000, v0
	v_cmp_gt_f32_e32 vcc, s4, v0
	v_cndmask_b32_e32 v0, v0, v38, vcc
	v_rsq_f32_e32 v0, v0
	s_waitcnt vmcnt(5)
	v_cvt_f32_f16_sdwa v41, v11 dst_sel:DWORD dst_unused:UNUSED_PAD src0_sel:WORD_1
	v_cvt_f32_f16_e32 v40, v11
	v_cvt_f32_f16_sdwa v11, v12 dst_sel:DWORD dst_unused:UNUSED_PAD src0_sel:WORD_1
	v_mul_f32_e32 v38, 0x45800000, v0
	v_cndmask_b32_e32 v38, v0, v38, vcc
	v_mov_b32_e32 v39, v38
	;;#ASMSTART
	v_pk_mul_f32 v[14:15], v[14:15], v[38:39]
	;;#ASMEND
	;;#ASMSTART
	v_pk_mul_f32 v[18:19], v[18:19], v[38:39]
	;;#ASMEND
	;; [unrolled: 3-line block ×12, first 2 shown]
	v_cvt_f32_f16_sdwa v39, v10 dst_sel:DWORD dst_unused:UNUSED_PAD src0_sel:WORD_1
	v_cvt_f32_f16_e32 v38, v10
	v_cvt_f32_f16_e32 v10, v12
	v_cvt_f32_f16_sdwa v43, v13 dst_sel:DWORD dst_unused:UNUSED_PAD src0_sel:WORD_1
	v_cvt_f32_f16_e32 v42, v13
	;;#ASMSTART
	v_pk_mul_f32 v[12:13], v[14:15], v[38:39]
	;;#ASMEND
	;;#ASMSTART
	v_pk_mul_f32 v[14:15], v[18:19], v[40:41]
	;;#ASMEND
	;; [unrolled: 3-line block ×4, first 2 shown]
	s_waitcnt vmcnt(4)
	v_cvt_f32_f16_sdwa v19, v6 dst_sel:DWORD dst_unused:UNUSED_PAD src0_sel:WORD_1
	v_cvt_f32_f16_e32 v18, v6
	v_cvt_f32_f16_sdwa v21, v7 dst_sel:DWORD dst_unused:UNUSED_PAD src0_sel:WORD_1
	v_cvt_f32_f16_e32 v20, v7
	;; [unrolled: 2-line block ×4, first 2 shown]
	;;#ASMSTART
	v_pk_mul_f32 v[8:9], v[36:37], v[18:19]
	;;#ASMEND
	;;#ASMSTART
	v_pk_mul_f32 v[18:19], v[34:35], v[20:21]
	;;#ASMEND
	;;#ASMSTART
	v_pk_mul_f32 v[6:7], v[32:33], v[6:7]
	;;#ASMEND
	;;#ASMSTART
	v_pk_mul_f32 v[20:21], v[30:31], v[38:39]
	;;#ASMEND
	s_waitcnt vmcnt(3)
	v_cvt_f32_f16_sdwa v31, v2 dst_sel:DWORD dst_unused:UNUSED_PAD src0_sel:WORD_1
	v_cvt_f32_f16_e32 v30, v2
	v_cvt_f32_f16_sdwa v33, v3 dst_sel:DWORD dst_unused:UNUSED_PAD src0_sel:WORD_1
	v_cvt_f32_f16_e32 v32, v3
	;; [unrolled: 2-line block ×4, first 2 shown]
	;;#ASMSTART
	v_pk_mul_f32 v[28:29], v[28:29], v[30:31]
	;;#ASMEND
	;;#ASMSTART
	v_pk_mul_f32 v[26:27], v[26:27], v[32:33]
	;;#ASMEND
	;; [unrolled: 3-line block ×3, first 2 shown]
	v_cvt_f16_f32_e32 v0, v12
	v_cvt_f16_f32_e32 v2, v13
	;; [unrolled: 1-line block ×8, first 2 shown]
	s_lshl_b64 s[0:1], s[0:1], 1
	s_add_u32 s0, s8, s0
	s_addc_u32 s1, s9, s1
	s_and_b32 s1, s1, 0xffff
	v_pack_b32_f16 v2, v0, v2
	v_pack_b32_f16 v3, v3, v4
	;; [unrolled: 1-line block ×4, first 2 shown]
	;;#ASMSTART
	v_pk_mul_f32 v[22:23], v[22:23], v[34:35]
	;;#ASMEND
	buffer_store_dwordx4 v[2:5], v1, s[0:3], 0 offen
	v_cvt_f16_f32_e32 v0, v8
	v_cvt_f16_f32_e32 v2, v9
	;; [unrolled: 1-line block ×8, first 2 shown]
	v_pack_b32_f16 v2, v0, v2
	v_pack_b32_f16 v3, v3, v4
	;; [unrolled: 1-line block ×4, first 2 shown]
	;;#ASMSTART
	s_nop 0
	;;#ASMEND
	buffer_store_dwordx4 v[2:5], v1, s[0:3], s16 offen
	v_cvt_f16_f32_e32 v0, v28
	v_cvt_f16_f32_e32 v2, v29
	;; [unrolled: 1-line block ×8, first 2 shown]
	v_pack_b32_f16 v2, v0, v2
	v_pack_b32_f16 v3, v3, v4
	;; [unrolled: 1-line block ×4, first 2 shown]
	;;#ASMSTART
	s_nop 0
	;;#ASMEND
	buffer_store_dwordx4 v[2:5], v1, s[0:3], s7 offen
	;;#ASMSTART
	s_nop 0
	;;#ASMEND
.LBB129_4:
	s_endpgm
	.section	.rodata,"a",@progbits
	.p2align	6, 0x0
	.amdhsa_kernel _ZN5aiter24add_rmsnorm_quant_kernelIDF16_DF16_Li256ELi24ELb1ELb0ELb1ELi1EEEvPT0_PT_PfS4_S4_S4_diiiiiiib
		.amdhsa_group_segment_fixed_size 16
		.amdhsa_private_segment_fixed_size 0
		.amdhsa_kernarg_size 88
		.amdhsa_user_sgpr_count 6
		.amdhsa_user_sgpr_private_segment_buffer 1
		.amdhsa_user_sgpr_dispatch_ptr 0
		.amdhsa_user_sgpr_queue_ptr 0
		.amdhsa_user_sgpr_kernarg_segment_ptr 1
		.amdhsa_user_sgpr_dispatch_id 0
		.amdhsa_user_sgpr_flat_scratch_init 0
		.amdhsa_user_sgpr_kernarg_preload_length 0
		.amdhsa_user_sgpr_kernarg_preload_offset 0
		.amdhsa_user_sgpr_private_segment_size 0
		.amdhsa_uses_dynamic_stack 0
		.amdhsa_system_sgpr_private_segment_wavefront_offset 0
		.amdhsa_system_sgpr_workgroup_id_x 1
		.amdhsa_system_sgpr_workgroup_id_y 0
		.amdhsa_system_sgpr_workgroup_id_z 0
		.amdhsa_system_sgpr_workgroup_info 0
		.amdhsa_system_vgpr_workitem_id 0
		.amdhsa_next_free_vgpr 64
		.amdhsa_next_free_sgpr 24
		.amdhsa_accum_offset 64
		.amdhsa_reserve_vcc 1
		.amdhsa_reserve_flat_scratch 0
		.amdhsa_float_round_mode_32 0
		.amdhsa_float_round_mode_16_64 0
		.amdhsa_float_denorm_mode_32 3
		.amdhsa_float_denorm_mode_16_64 3
		.amdhsa_dx10_clamp 1
		.amdhsa_ieee_mode 1
		.amdhsa_fp16_overflow 0
		.amdhsa_tg_split 0
		.amdhsa_exception_fp_ieee_invalid_op 0
		.amdhsa_exception_fp_denorm_src 0
		.amdhsa_exception_fp_ieee_div_zero 0
		.amdhsa_exception_fp_ieee_overflow 0
		.amdhsa_exception_fp_ieee_underflow 0
		.amdhsa_exception_fp_ieee_inexact 0
		.amdhsa_exception_int_div_zero 0
	.end_amdhsa_kernel
	.section	.text._ZN5aiter24add_rmsnorm_quant_kernelIDF16_DF16_Li256ELi24ELb1ELb0ELb1ELi1EEEvPT0_PT_PfS4_S4_S4_diiiiiiib,"axG",@progbits,_ZN5aiter24add_rmsnorm_quant_kernelIDF16_DF16_Li256ELi24ELb1ELb0ELb1ELi1EEEvPT0_PT_PfS4_S4_S4_diiiiiiib,comdat
.Lfunc_end129:
	.size	_ZN5aiter24add_rmsnorm_quant_kernelIDF16_DF16_Li256ELi24ELb1ELb0ELb1ELi1EEEvPT0_PT_PfS4_S4_S4_diiiiiiib, .Lfunc_end129-_ZN5aiter24add_rmsnorm_quant_kernelIDF16_DF16_Li256ELi24ELb1ELb0ELb1ELi1EEEvPT0_PT_PfS4_S4_S4_diiiiiiib
                                        ; -- End function
	.section	.AMDGPU.csdata,"",@progbits
; Kernel info:
; codeLenInByte = 2128
; NumSgprs: 28
; NumVgprs: 64
; NumAgprs: 0
; TotalNumVgprs: 64
; ScratchSize: 0
; MemoryBound: 0
; FloatMode: 240
; IeeeMode: 1
; LDSByteSize: 16 bytes/workgroup (compile time only)
; SGPRBlocks: 3
; VGPRBlocks: 7
; NumSGPRsForWavesPerEU: 28
; NumVGPRsForWavesPerEU: 64
; AccumOffset: 64
; Occupancy: 8
; WaveLimiterHint : 0
; COMPUTE_PGM_RSRC2:SCRATCH_EN: 0
; COMPUTE_PGM_RSRC2:USER_SGPR: 6
; COMPUTE_PGM_RSRC2:TRAP_HANDLER: 0
; COMPUTE_PGM_RSRC2:TGID_X_EN: 1
; COMPUTE_PGM_RSRC2:TGID_Y_EN: 0
; COMPUTE_PGM_RSRC2:TGID_Z_EN: 0
; COMPUTE_PGM_RSRC2:TIDIG_COMP_CNT: 0
; COMPUTE_PGM_RSRC3_GFX90A:ACCUM_OFFSET: 15
; COMPUTE_PGM_RSRC3_GFX90A:TG_SPLIT: 0
	.section	.text._ZN5aiter24add_rmsnorm_quant_kernelIttLi256ELi24ELb1ELb0ELb1ELi1EEEvPT0_PT_PfS4_S4_S4_diiiiiiib,"axG",@progbits,_ZN5aiter24add_rmsnorm_quant_kernelIttLi256ELi24ELb1ELb0ELb1ELi1EEEvPT0_PT_PfS4_S4_S4_diiiiiiib,comdat
	.protected	_ZN5aiter24add_rmsnorm_quant_kernelIttLi256ELi24ELb1ELb0ELb1ELi1EEEvPT0_PT_PfS4_S4_S4_diiiiiiib ; -- Begin function _ZN5aiter24add_rmsnorm_quant_kernelIttLi256ELi24ELb1ELb0ELb1ELi1EEEvPT0_PT_PfS4_S4_S4_diiiiiiib
	.globl	_ZN5aiter24add_rmsnorm_quant_kernelIttLi256ELi24ELb1ELb0ELb1ELi1EEEvPT0_PT_PfS4_S4_S4_diiiiiiib
	.p2align	8
	.type	_ZN5aiter24add_rmsnorm_quant_kernelIttLi256ELi24ELb1ELb0ELb1ELi1EEEvPT0_PT_PfS4_S4_S4_diiiiiiib,@function
_ZN5aiter24add_rmsnorm_quant_kernelIttLi256ELi24ELb1ELb0ELb1ELi1EEEvPT0_PT_PfS4_S4_S4_diiiiiiib: ; @_ZN5aiter24add_rmsnorm_quant_kernelIttLi256ELi24ELb1ELb0ELb1ELi1EEEvPT0_PT_PfS4_S4_S4_diiiiiiib
; %bb.0:
	s_load_dwordx4 s[16:19], s[4:5], 0x38
	s_mov_b32 s7, 0
	s_waitcnt lgkmcnt(0)
	s_ashr_i32 s0, s16, 31
	v_mov_b32_e32 v2, s16
	v_mov_b32_e32 v3, s0
	v_cmp_ge_i64_e32 vcc, s[6:7], v[2:3]
	s_cbranch_vccnz .LBB130_4
; %bb.1:
	s_load_dwordx8 s[8:15], s[4:5], 0x18
	s_ashr_i32 s0, s18, 31
	s_mul_hi_u32 s1, s18, s6
	s_mul_i32 s0, s0, s6
	s_add_i32 s1, s1, s0
	s_mul_i32 s0, s18, s6
	s_lshl_b64 s[0:1], s[0:1], 1
	s_waitcnt lgkmcnt(0)
	s_add_u32 s0, s8, s0
	s_addc_u32 s1, s9, s1
	s_add_i32 s2, s17, 1
	s_lshr_b32 s3, s2, 31
	v_and_b32_e32 v2, 0x3c0, v0
	s_add_i32 s2, s2, s3
	v_lshlrev_b32_e32 v1, 3, v0
	v_mul_u32_u24_e32 v2, 24, v2
	s_movk_i32 s7, 0x1f8
	s_lshl_b32 s2, s2, 1
	v_and_or_b32 v1, v1, s7, v2
	s_and_b32 s2, s2, -4
	s_and_b32 s1, s1, 0xffff
	s_mov_b32 s3, 0x20000
	v_lshlrev_b32_e32 v1, 1, v1
	s_movk_i32 s16, 0x400
	s_movk_i32 s7, 0x800
	buffer_load_dwordx4 v[34:37], v1, s[0:3], s16 offen glc slc
	buffer_load_dwordx4 v[14:17], v1, s[0:3], 0 offen glc slc
	;; [unrolled: 1-line block ×3, first 2 shown]
	s_ashr_i32 s0, s19, 31
	s_mul_hi_u32 s1, s19, s6
	s_mul_i32 s0, s0, s6
	s_add_i32 s1, s1, s0
	s_mul_i32 s0, s19, s6
	s_and_b32 s21, s13, 0xffff
	s_lshl_b64 s[0:1], s[0:1], 1
	s_add_u32 s0, s10, s0
	s_addc_u32 s1, s11, s1
	s_and_b32 s1, s1, 0xffff
	buffer_load_dwordx4 v[30:33], v1, s[0:3], s16 offen glc slc
	buffer_load_dwordx4 v[22:25], v1, s[0:3], s7 offen glc slc
	;; [unrolled: 1-line block ×3, first 2 shown]
	s_mov_b32 s23, s3
	s_mov_b32 s20, s12
	;; [unrolled: 1-line block ×3, first 2 shown]
	s_load_dwordx2 s[18:19], s[4:5], 0x48
	s_load_dwordx4 s[8:11], s[4:5], 0x0
	buffer_load_dwordx4 v[10:13], v1, s[20:23], 0 offen
	buffer_load_dwordx4 v[6:9], v1, s[20:23], s16 offen
	;; [unrolled: 1-line block ×3, first 2 shown]
	s_waitcnt lgkmcnt(0)
	s_ashr_i32 s4, s18, 31
	s_mul_hi_u32 s1, s18, s6
	s_mul_i32 s4, s4, s6
	s_mul_i32 s0, s18, s6
	s_add_i32 s1, s1, s4
	s_lshl_b64 s[0:1], s[0:1], 1
	s_add_u32 s0, s10, s0
	s_addc_u32 s1, s11, s1
	s_mov_b32 s4, 0x7060302
	s_and_b32 s1, s1, 0xffff
	s_waitcnt vmcnt(8)
	v_cvt_f32_u32_sdwa v39, v34 dst_sel:DWORD dst_unused:UNUSED_PAD src0_sel:WORD_1
	v_cvt_f32_u32_sdwa v38, v34 dst_sel:DWORD dst_unused:UNUSED_PAD src0_sel:WORD_0
	v_cvt_f32_u32_sdwa v41, v35 dst_sel:DWORD dst_unused:UNUSED_PAD src0_sel:WORD_1
	v_cvt_f32_u32_sdwa v40, v35 dst_sel:DWORD dst_unused:UNUSED_PAD src0_sel:WORD_0
	v_cvt_f32_u32_sdwa v43, v36 dst_sel:DWORD dst_unused:UNUSED_PAD src0_sel:WORD_1
	v_cvt_f32_u32_sdwa v42, v36 dst_sel:DWORD dst_unused:UNUSED_PAD src0_sel:WORD_0
	v_cvt_f32_u32_sdwa v45, v37 dst_sel:DWORD dst_unused:UNUSED_PAD src0_sel:WORD_1
	v_cvt_f32_u32_sdwa v44, v37 dst_sel:DWORD dst_unused:UNUSED_PAD src0_sel:WORD_0
	s_waitcnt vmcnt(6)
	v_cvt_f32_u32_sdwa v47, v26 dst_sel:DWORD dst_unused:UNUSED_PAD src0_sel:WORD_1
	v_cvt_f32_u32_sdwa v46, v26 dst_sel:DWORD dst_unused:UNUSED_PAD src0_sel:WORD_0
	v_cvt_f32_u32_sdwa v49, v27 dst_sel:DWORD dst_unused:UNUSED_PAD src0_sel:WORD_1
	v_cvt_f32_u32_sdwa v48, v27 dst_sel:DWORD dst_unused:UNUSED_PAD src0_sel:WORD_0
	v_cvt_f32_u32_sdwa v51, v28 dst_sel:DWORD dst_unused:UNUSED_PAD src0_sel:WORD_1
	v_cvt_f32_u32_sdwa v50, v28 dst_sel:DWORD dst_unused:UNUSED_PAD src0_sel:WORD_0
	v_cvt_f32_u32_sdwa v53, v29 dst_sel:DWORD dst_unused:UNUSED_PAD src0_sel:WORD_1
	v_cvt_f32_u32_sdwa v52, v29 dst_sel:DWORD dst_unused:UNUSED_PAD src0_sel:WORD_0
	;; [unrolled: 9-line block ×3, first 2 shown]
	s_waitcnt vmcnt(4)
	v_cvt_f32_u32_sdwa v59, v22 dst_sel:DWORD dst_unused:UNUSED_PAD src0_sel:WORD_1
	v_cvt_f32_u32_sdwa v58, v22 dst_sel:DWORD dst_unused:UNUSED_PAD src0_sel:WORD_0
	v_cvt_f32_u32_sdwa v55, v14 dst_sel:DWORD dst_unused:UNUSED_PAD src0_sel:WORD_1
	v_cvt_f32_u32_sdwa v54, v14 dst_sel:DWORD dst_unused:UNUSED_PAD src0_sel:WORD_0
	v_pk_add_f32 v[36:37], v[38:39], v[26:27]
	v_pk_add_f32 v[34:35], v[40:41], v[28:29]
	;; [unrolled: 1-line block ×5, first 2 shown]
	s_waitcnt vmcnt(3)
	v_cvt_f32_u32_sdwa v39, v18 dst_sel:DWORD dst_unused:UNUSED_PAD src0_sel:WORD_1
	v_cvt_f32_u32_sdwa v38, v18 dst_sel:DWORD dst_unused:UNUSED_PAD src0_sel:WORD_0
	v_cvt_f32_u32_sdwa v41, v15 dst_sel:DWORD dst_unused:UNUSED_PAD src0_sel:WORD_1
	v_cvt_f32_u32_sdwa v40, v15 dst_sel:DWORD dst_unused:UNUSED_PAD src0_sel:WORD_0
	v_cvt_f32_u32_sdwa v15, v19 dst_sel:DWORD dst_unused:UNUSED_PAD src0_sel:WORD_1
	v_cvt_f32_u32_sdwa v14, v19 dst_sel:DWORD dst_unused:UNUSED_PAD src0_sel:WORD_0
	v_cvt_f32_u32_sdwa v19, v16 dst_sel:DWORD dst_unused:UNUSED_PAD src0_sel:WORD_1
	v_cvt_f32_u32_sdwa v18, v16 dst_sel:DWORD dst_unused:UNUSED_PAD src0_sel:WORD_0
	v_cvt_f32_u32_sdwa v43, v20 dst_sel:DWORD dst_unused:UNUSED_PAD src0_sel:WORD_1
	v_cvt_f32_u32_sdwa v42, v20 dst_sel:DWORD dst_unused:UNUSED_PAD src0_sel:WORD_0
	v_cvt_f32_u32_sdwa v45, v17 dst_sel:DWORD dst_unused:UNUSED_PAD src0_sel:WORD_1
	v_cvt_f32_u32_sdwa v44, v17 dst_sel:DWORD dst_unused:UNUSED_PAD src0_sel:WORD_0
	v_cvt_f32_u32_sdwa v47, v21 dst_sel:DWORD dst_unused:UNUSED_PAD src0_sel:WORD_1
	v_cvt_f32_u32_sdwa v46, v21 dst_sel:DWORD dst_unused:UNUSED_PAD src0_sel:WORD_0
	v_cvt_f32_u32_sdwa v61, v23 dst_sel:DWORD dst_unused:UNUSED_PAD src0_sel:WORD_1
	v_cvt_f32_u32_sdwa v60, v23 dst_sel:DWORD dst_unused:UNUSED_PAD src0_sel:WORD_0
	v_cvt_f32_u32_sdwa v23, v24 dst_sel:DWORD dst_unused:UNUSED_PAD src0_sel:WORD_1
	v_cvt_f32_u32_sdwa v22, v24 dst_sel:DWORD dst_unused:UNUSED_PAD src0_sel:WORD_0
	v_cvt_f32_u32_sdwa v63, v25 dst_sel:DWORD dst_unused:UNUSED_PAD src0_sel:WORD_1
	v_cvt_f32_u32_sdwa v62, v25 dst_sel:DWORD dst_unused:UNUSED_PAD src0_sel:WORD_0
	v_pk_add_f32 v[20:21], v[54:55], v[38:39]
	v_pk_add_f32 v[16:17], v[40:41], v[14:15]
	;; [unrolled: 1-line block ×4, first 2 shown]
	v_perm_b32 v41, v19, v18, s4
	v_perm_b32 v40, v15, v14, s4
	;; [unrolled: 1-line block ×4, first 2 shown]
	v_pk_add_f32 v[26:27], v[48:49], v[60:61]
	v_pk_add_f32 v[24:25], v[50:51], v[22:23]
	v_pk_add_f32 v[22:23], v[52:53], v[62:63]
	buffer_store_dwordx4 v[38:41], v1, s[0:3], 0 offen glc slc
	;;#ASMSTART
	s_nop 0
	;;#ASMEND
	v_pk_mul_f32 v[42:43], v[14:15], v[14:15]
	v_perm_b32 v41, v31, v30, s4
	v_perm_b32 v40, v33, v32, s4
	;; [unrolled: 1-line block ×4, first 2 shown]
	buffer_store_dwordx4 v[38:41], v1, s[0:3], s16 offen glc slc
	v_perm_b32 v41, v23, v22, s4
	v_perm_b32 v40, v25, v24, s4
	;; [unrolled: 1-line block ×4, first 2 shown]
	;;#ASMSTART
	s_nop 0
	;;#ASMEND
	buffer_store_dwordx4 v[38:41], v1, s[0:3], s7 offen glc slc
	v_pk_mul_f32 v[38:39], v[20:21], v[20:21]
	v_pk_mul_f32 v[40:41], v[16:17], v[16:17]
	v_add_f32_e32 v38, v38, v39
	v_add_f32_e32 v38, v40, v38
	;; [unrolled: 1-line block ×4, first 2 shown]
	v_pk_mul_f32 v[44:45], v[18:19], v[18:19]
	v_add_f32_e32 v40, v43, v40
	v_add_f32_e32 v40, v44, v40
	v_pk_mul_f32 v[46:47], v[36:37], v[36:37]
	v_add_f32_e32 v40, v45, v40
	v_add_f32_e32 v40, v46, v40
	;; [unrolled: 3-line block ×9, first 2 shown]
	v_add_f32_e32 v38, v39, v38
	v_and_b32_e32 v40, 63, v0
	v_cmp_eq_u32_e32 vcc, 63, v40
	v_mov_b32_dpp v39, v38 quad_perm:[1,0,3,2] row_mask:0xf bank_mask:0xf
	v_add_f32_e32 v38, v38, v39
	;;#ASMSTART
	s_nop 0
	;;#ASMEND
	s_nop 1
	v_mov_b32_dpp v39, v38 quad_perm:[2,3,0,1] row_mask:0xf bank_mask:0xf
	v_add_f32_e32 v38, v38, v39
	s_nop 1
	v_mov_b32_dpp v39, v38 row_half_mirror row_mask:0xf bank_mask:0xf
	v_add_f32_e32 v38, v38, v39
	s_nop 1
	v_mov_b32_dpp v39, v38 row_mirror row_mask:0xf bank_mask:0xf
	v_add_f32_e32 v38, v38, v39
	s_nop 1
	v_mov_b32_dpp v39, v38 row_bcast:15 row_mask:0xf bank_mask:0xf
	v_add_f32_e32 v38, v38, v39
	s_nop 1
	v_mov_b32_dpp v39, v38 row_bcast:31 row_mask:0xf bank_mask:0xf
	s_and_saveexec_b64 s[0:1], vcc
	s_cbranch_execz .LBB130_3
; %bb.2:
	v_lshrrev_b32_e32 v40, 4, v0
	v_and_b32_e32 v40, 60, v40
	v_add_f32_e32 v38, v38, v39
	ds_write_b32 v40, v38
.LBB130_3:
	s_or_b64 exec, exec, s[0:1]
	v_and_b32_e32 v0, 3, v0
	v_lshlrev_b32_e32 v0, 2, v0
	s_waitcnt lgkmcnt(0)
	s_barrier
	ds_read_b32 v0, v0
	s_ashr_i32 s5, s19, 31
	s_mul_hi_u32 s10, s19, s6
	s_mul_i32 s5, s5, s6
	s_waitcnt lgkmcnt(0)
	v_mov_b32_dpp v38, v0 quad_perm:[1,0,3,2] row_mask:0xf bank_mask:0xf
	v_add_f32_e32 v0, v0, v38
	v_cvt_f32_i32_e32 v38, s17
	s_nop 0
	v_mov_b32_dpp v39, v0 quad_perm:[2,3,0,1] row_mask:0xf bank_mask:0xf
	v_add_f32_e32 v0, v0, v39
	v_div_scale_f32 v39, s[0:1], v38, v38, v0
	v_rcp_f32_e32 v40, v39
	s_add_i32 s1, s10, s5
	s_mov_b32 s5, 0x800000
	s_mul_i32 s0, s19, s6
	v_fma_f32 v41, -v39, v40, 1.0
	v_fmac_f32_e32 v40, v41, v40
	v_div_scale_f32 v41, vcc, v0, v38, v0
	v_mul_f32_e32 v42, v41, v40
	v_fma_f32 v43, -v39, v42, v41
	v_fmac_f32_e32 v42, v43, v40
	v_fma_f32 v39, -v39, v42, v41
	v_div_fmas_f32 v39, v39, v40, v42
	v_div_fixup_f32 v0, v39, v38, v0
	v_cvt_f64_f32_e32 v[38:39], v0
	v_add_f64 v[38:39], v[38:39], s[14:15]
	v_cvt_f32_f64_e32 v0, v[38:39]
	v_mul_f32_e32 v38, 0x4b800000, v0
	v_cmp_gt_f32_e32 vcc, s5, v0
	v_cndmask_b32_e32 v0, v0, v38, vcc
	v_rsq_f32_e32 v0, v0
	s_lshl_b64 s[0:1], s[0:1], 1
	s_waitcnt vmcnt(5)
	v_cvt_f32_u32_sdwa v41, v11 dst_sel:DWORD dst_unused:UNUSED_PAD src0_sel:WORD_1
	v_cvt_f32_u32_sdwa v40, v11 dst_sel:DWORD dst_unused:UNUSED_PAD src0_sel:WORD_0
	v_mul_f32_e32 v38, 0x45800000, v0
	v_cndmask_b32_e32 v38, v0, v38, vcc
	v_mov_b32_e32 v39, v38
	;;#ASMSTART
	v_pk_mul_f32 v[20:21], v[20:21], v[38:39]
	;;#ASMEND
	;;#ASMSTART
	v_pk_mul_f32 v[16:17], v[16:17], v[38:39]
	;;#ASMEND
	;; [unrolled: 3-line block ×12, first 2 shown]
	v_cvt_f32_u32_sdwa v39, v10 dst_sel:DWORD dst_unused:UNUSED_PAD src0_sel:WORD_1
	v_cvt_f32_u32_sdwa v38, v10 dst_sel:DWORD dst_unused:UNUSED_PAD src0_sel:WORD_0
	v_cvt_f32_u32_sdwa v11, v12 dst_sel:DWORD dst_unused:UNUSED_PAD src0_sel:WORD_1
	v_cvt_f32_u32_sdwa v10, v12 dst_sel:DWORD dst_unused:UNUSED_PAD src0_sel:WORD_0
	s_add_u32 s0, s8, s0
	v_cvt_f32_u32_sdwa v43, v13 dst_sel:DWORD dst_unused:UNUSED_PAD src0_sel:WORD_1
	v_cvt_f32_u32_sdwa v42, v13 dst_sel:DWORD dst_unused:UNUSED_PAD src0_sel:WORD_0
	;;#ASMSTART
	v_pk_mul_f32 v[12:13], v[20:21], v[38:39]
	;;#ASMEND
	;;#ASMSTART
	v_pk_mul_f32 v[16:17], v[16:17], v[40:41]
	;;#ASMEND
	;; [unrolled: 3-line block ×4, first 2 shown]
	s_waitcnt vmcnt(4)
	v_cvt_f32_u32_sdwa v19, v6 dst_sel:DWORD dst_unused:UNUSED_PAD src0_sel:WORD_1
	v_cvt_f32_u32_sdwa v18, v6 dst_sel:DWORD dst_unused:UNUSED_PAD src0_sel:WORD_0
	v_cvt_f32_u32_sdwa v21, v7 dst_sel:DWORD dst_unused:UNUSED_PAD src0_sel:WORD_1
	v_cvt_f32_u32_sdwa v20, v7 dst_sel:DWORD dst_unused:UNUSED_PAD src0_sel:WORD_0
	;; [unrolled: 2-line block ×3, first 2 shown]
	s_addc_u32 s1, s9, s1
	v_cvt_f32_u32_sdwa v39, v9 dst_sel:DWORD dst_unused:UNUSED_PAD src0_sel:WORD_1
	v_cvt_f32_u32_sdwa v38, v9 dst_sel:DWORD dst_unused:UNUSED_PAD src0_sel:WORD_0
	;;#ASMSTART
	v_pk_mul_f32 v[8:9], v[36:37], v[18:19]
	;;#ASMEND
	;;#ASMSTART
	v_pk_mul_f32 v[18:19], v[34:35], v[20:21]
	;;#ASMEND
	;; [unrolled: 3-line block ×4, first 2 shown]
	s_waitcnt vmcnt(3)
	v_cvt_f32_u32_sdwa v31, v2 dst_sel:DWORD dst_unused:UNUSED_PAD src0_sel:WORD_1
	v_cvt_f32_u32_sdwa v30, v2 dst_sel:DWORD dst_unused:UNUSED_PAD src0_sel:WORD_0
	v_cvt_f32_u32_sdwa v33, v3 dst_sel:DWORD dst_unused:UNUSED_PAD src0_sel:WORD_1
	v_cvt_f32_u32_sdwa v32, v3 dst_sel:DWORD dst_unused:UNUSED_PAD src0_sel:WORD_0
	;; [unrolled: 2-line block ×4, first 2 shown]
	;;#ASMSTART
	v_pk_mul_f32 v[28:29], v[28:29], v[30:31]
	;;#ASMEND
	;;#ASMSTART
	v_pk_mul_f32 v[26:27], v[26:27], v[32:33]
	;;#ASMEND
	;; [unrolled: 3-line block ×3, first 2 shown]
	s_and_b32 s1, s1, 0xffff
	v_perm_b32 v2, v13, v12, s4
	v_perm_b32 v3, v17, v16, s4
	;; [unrolled: 1-line block ×4, first 2 shown]
	;;#ASMSTART
	v_pk_mul_f32 v[22:23], v[22:23], v[34:35]
	;;#ASMEND
	buffer_store_dwordx4 v[2:5], v1, s[0:3], 0 offen
	;;#ASMSTART
	s_nop 0
	;;#ASMEND
	s_nop 0
	v_perm_b32 v2, v9, v8, s4
	v_perm_b32 v3, v19, v18, s4
	;; [unrolled: 1-line block ×4, first 2 shown]
	buffer_store_dwordx4 v[2:5], v1, s[0:3], s16 offen
	v_perm_b32 v2, v29, v28, s4
	v_perm_b32 v3, v27, v26, s4
	;; [unrolled: 1-line block ×4, first 2 shown]
	;;#ASMSTART
	s_nop 0
	;;#ASMEND
	buffer_store_dwordx4 v[2:5], v1, s[0:3], s7 offen
	;;#ASMSTART
	s_nop 0
	;;#ASMEND
.LBB130_4:
	s_endpgm
	.section	.rodata,"a",@progbits
	.p2align	6, 0x0
	.amdhsa_kernel _ZN5aiter24add_rmsnorm_quant_kernelIttLi256ELi24ELb1ELb0ELb1ELi1EEEvPT0_PT_PfS4_S4_S4_diiiiiiib
		.amdhsa_group_segment_fixed_size 16
		.amdhsa_private_segment_fixed_size 0
		.amdhsa_kernarg_size 88
		.amdhsa_user_sgpr_count 6
		.amdhsa_user_sgpr_private_segment_buffer 1
		.amdhsa_user_sgpr_dispatch_ptr 0
		.amdhsa_user_sgpr_queue_ptr 0
		.amdhsa_user_sgpr_kernarg_segment_ptr 1
		.amdhsa_user_sgpr_dispatch_id 0
		.amdhsa_user_sgpr_flat_scratch_init 0
		.amdhsa_user_sgpr_kernarg_preload_length 0
		.amdhsa_user_sgpr_kernarg_preload_offset 0
		.amdhsa_user_sgpr_private_segment_size 0
		.amdhsa_uses_dynamic_stack 0
		.amdhsa_system_sgpr_private_segment_wavefront_offset 0
		.amdhsa_system_sgpr_workgroup_id_x 1
		.amdhsa_system_sgpr_workgroup_id_y 0
		.amdhsa_system_sgpr_workgroup_id_z 0
		.amdhsa_system_sgpr_workgroup_info 0
		.amdhsa_system_vgpr_workitem_id 0
		.amdhsa_next_free_vgpr 64
		.amdhsa_next_free_sgpr 24
		.amdhsa_accum_offset 64
		.amdhsa_reserve_vcc 1
		.amdhsa_reserve_flat_scratch 0
		.amdhsa_float_round_mode_32 0
		.amdhsa_float_round_mode_16_64 0
		.amdhsa_float_denorm_mode_32 3
		.amdhsa_float_denorm_mode_16_64 3
		.amdhsa_dx10_clamp 1
		.amdhsa_ieee_mode 1
		.amdhsa_fp16_overflow 0
		.amdhsa_tg_split 0
		.amdhsa_exception_fp_ieee_invalid_op 0
		.amdhsa_exception_fp_denorm_src 0
		.amdhsa_exception_fp_ieee_div_zero 0
		.amdhsa_exception_fp_ieee_overflow 0
		.amdhsa_exception_fp_ieee_underflow 0
		.amdhsa_exception_fp_ieee_inexact 0
		.amdhsa_exception_int_div_zero 0
	.end_amdhsa_kernel
	.section	.text._ZN5aiter24add_rmsnorm_quant_kernelIttLi256ELi24ELb1ELb0ELb1ELi1EEEvPT0_PT_PfS4_S4_S4_diiiiiiib,"axG",@progbits,_ZN5aiter24add_rmsnorm_quant_kernelIttLi256ELi24ELb1ELb0ELb1ELi1EEEvPT0_PT_PfS4_S4_S4_diiiiiiib,comdat
.Lfunc_end130:
	.size	_ZN5aiter24add_rmsnorm_quant_kernelIttLi256ELi24ELb1ELb0ELb1ELi1EEEvPT0_PT_PfS4_S4_S4_diiiiiiib, .Lfunc_end130-_ZN5aiter24add_rmsnorm_quant_kernelIttLi256ELi24ELb1ELb0ELb1ELi1EEEvPT0_PT_PfS4_S4_S4_diiiiiiib
                                        ; -- End function
	.section	.AMDGPU.csdata,"",@progbits
; Kernel info:
; codeLenInByte = 2096
; NumSgprs: 28
; NumVgprs: 64
; NumAgprs: 0
; TotalNumVgprs: 64
; ScratchSize: 0
; MemoryBound: 0
; FloatMode: 240
; IeeeMode: 1
; LDSByteSize: 16 bytes/workgroup (compile time only)
; SGPRBlocks: 3
; VGPRBlocks: 7
; NumSGPRsForWavesPerEU: 28
; NumVGPRsForWavesPerEU: 64
; AccumOffset: 64
; Occupancy: 8
; WaveLimiterHint : 0
; COMPUTE_PGM_RSRC2:SCRATCH_EN: 0
; COMPUTE_PGM_RSRC2:USER_SGPR: 6
; COMPUTE_PGM_RSRC2:TRAP_HANDLER: 0
; COMPUTE_PGM_RSRC2:TGID_X_EN: 1
; COMPUTE_PGM_RSRC2:TGID_Y_EN: 0
; COMPUTE_PGM_RSRC2:TGID_Z_EN: 0
; COMPUTE_PGM_RSRC2:TIDIG_COMP_CNT: 0
; COMPUTE_PGM_RSRC3_GFX90A:ACCUM_OFFSET: 15
; COMPUTE_PGM_RSRC3_GFX90A:TG_SPLIT: 0
	.section	.text._ZN5aiter24add_rmsnorm_quant_kernelIDF16_DF16_Li256ELi24ELb1ELb0ELb0ELi1EEEvPT0_PT_PfS4_S4_S4_diiiiiiib,"axG",@progbits,_ZN5aiter24add_rmsnorm_quant_kernelIDF16_DF16_Li256ELi24ELb1ELb0ELb0ELi1EEEvPT0_PT_PfS4_S4_S4_diiiiiiib,comdat
	.protected	_ZN5aiter24add_rmsnorm_quant_kernelIDF16_DF16_Li256ELi24ELb1ELb0ELb0ELi1EEEvPT0_PT_PfS4_S4_S4_diiiiiiib ; -- Begin function _ZN5aiter24add_rmsnorm_quant_kernelIDF16_DF16_Li256ELi24ELb1ELb0ELb0ELi1EEEvPT0_PT_PfS4_S4_S4_diiiiiiib
	.globl	_ZN5aiter24add_rmsnorm_quant_kernelIDF16_DF16_Li256ELi24ELb1ELb0ELb0ELi1EEEvPT0_PT_PfS4_S4_S4_diiiiiiib
	.p2align	8
	.type	_ZN5aiter24add_rmsnorm_quant_kernelIDF16_DF16_Li256ELi24ELb1ELb0ELb0ELi1EEEvPT0_PT_PfS4_S4_S4_diiiiiiib,@function
_ZN5aiter24add_rmsnorm_quant_kernelIDF16_DF16_Li256ELi24ELb1ELb0ELb0ELi1EEEvPT0_PT_PfS4_S4_S4_diiiiiiib: ; @_ZN5aiter24add_rmsnorm_quant_kernelIDF16_DF16_Li256ELi24ELb1ELb0ELb0ELi1EEEvPT0_PT_PfS4_S4_S4_diiiiiiib
; %bb.0:
	s_load_dwordx4 s[16:19], s[4:5], 0x38
	s_mov_b32 s7, 0
	s_waitcnt lgkmcnt(0)
	s_ashr_i32 s0, s16, 31
	v_mov_b32_e32 v2, s16
	v_mov_b32_e32 v3, s0
	v_cmp_ge_i64_e32 vcc, s[6:7], v[2:3]
	s_cbranch_vccnz .LBB131_4
; %bb.1:
	s_load_dwordx8 s[8:15], s[4:5], 0x18
	s_ashr_i32 s0, s18, 31
	s_mul_hi_u32 s1, s18, s6
	s_mul_i32 s0, s0, s6
	s_add_i32 s1, s1, s0
	s_mul_i32 s0, s18, s6
	s_lshl_b64 s[0:1], s[0:1], 1
	s_waitcnt lgkmcnt(0)
	s_add_u32 s0, s8, s0
	s_addc_u32 s1, s9, s1
	s_add_i32 s2, s17, 1
	s_lshr_b32 s3, s2, 31
	s_add_i32 s2, s2, s3
	s_lshl_b32 s2, s2, 1
	s_and_b32 s2, s2, -4
	s_and_b32 s1, s1, 0xffff
	s_mov_b32 s3, 0x20000
	v_mul_u32_u24_e32 v1, 48, v0
	buffer_load_dwordx4 v[34:37], v1, s[0:3], 16 offen
	buffer_load_dwordx4 v[14:17], v1, s[0:3], 0 offen
	;; [unrolled: 1-line block ×3, first 2 shown]
	s_ashr_i32 s0, s19, 31
	s_mul_hi_u32 s1, s19, s6
	s_mul_i32 s0, s0, s6
	s_add_i32 s1, s1, s0
	s_mul_i32 s0, s19, s6
	s_and_b32 s21, s13, 0xffff
	s_lshl_b64 s[0:1], s[0:1], 1
	s_add_u32 s0, s10, s0
	s_addc_u32 s1, s11, s1
	s_and_b32 s1, s1, 0xffff
	buffer_load_dwordx4 v[30:33], v1, s[0:3], 16 offen
	buffer_load_dwordx4 v[22:25], v1, s[0:3], 32 offen
	;; [unrolled: 1-line block ×3, first 2 shown]
	s_mov_b32 s23, s3
	s_mov_b32 s20, s12
	;; [unrolled: 1-line block ×3, first 2 shown]
	s_load_dwordx2 s[18:19], s[4:5], 0x48
	s_load_dwordx4 s[8:11], s[4:5], 0x0
	buffer_load_dwordx4 v[10:13], v1, s[20:23], 0 offen
	buffer_load_dwordx4 v[6:9], v1, s[20:23], 16 offen
	;; [unrolled: 1-line block ×3, first 2 shown]
	s_waitcnt lgkmcnt(0)
	s_ashr_i32 s4, s18, 31
	s_mul_hi_u32 s1, s18, s6
	s_mul_i32 s4, s4, s6
	s_mul_i32 s0, s18, s6
	s_add_i32 s1, s1, s4
	s_lshl_b64 s[0:1], s[0:1], 1
	s_add_u32 s0, s10, s0
	s_addc_u32 s1, s11, s1
	s_and_b32 s1, s1, 0xffff
	s_waitcnt vmcnt(8)
	v_cvt_f32_f16_e32 v38, v34
	v_cvt_f32_f16_sdwa v39, v34 dst_sel:DWORD dst_unused:UNUSED_PAD src0_sel:WORD_1
	s_waitcnt vmcnt(6)
	v_cvt_f32_f16_e32 v42, v26
	v_cvt_f32_f16_sdwa v43, v26 dst_sel:DWORD dst_unused:UNUSED_PAD src0_sel:WORD_1
	v_cvt_f32_f16_e32 v44, v27
	v_cvt_f32_f16_sdwa v45, v27 dst_sel:DWORD dst_unused:UNUSED_PAD src0_sel:WORD_1
	;; [unrolled: 2-line block ×4, first 2 shown]
	v_cvt_f32_f16_e32 v36, v37
	s_waitcnt vmcnt(5)
	v_cvt_f32_f16_e32 v26, v30
	v_cvt_f32_f16_sdwa v27, v30 dst_sel:DWORD dst_unused:UNUSED_PAD src0_sel:WORD_1
	v_cvt_f32_f16_sdwa v37, v37 dst_sel:DWORD dst_unused:UNUSED_PAD src0_sel:WORD_1
	v_cvt_f32_f16_e32 v46, v28
	v_cvt_f32_f16_sdwa v47, v28 dst_sel:DWORD dst_unused:UNUSED_PAD src0_sel:WORD_1
	v_cvt_f32_f16_e32 v48, v29
	;; [unrolled: 2-line block ×5, first 2 shown]
	v_cvt_f32_f16_sdwa v53, v33 dst_sel:DWORD dst_unused:UNUSED_PAD src0_sel:WORD_1
	s_waitcnt vmcnt(4)
	v_cvt_f32_f16_e32 v54, v22
	v_cvt_f32_f16_sdwa v55, v22 dst_sel:DWORD dst_unused:UNUSED_PAD src0_sel:WORD_1
	v_cvt_f32_f16_e32 v56, v24
	v_cvt_f32_f16_sdwa v57, v24 dst_sel:DWORD dst_unused:UNUSED_PAD src0_sel:WORD_1
	;; [unrolled: 2-line block ×4, first 2 shown]
	v_pk_add_f32 v[24:25], v[38:39], v[26:27]
	s_waitcnt vmcnt(3)
	v_cvt_f32_f16_e32 v38, v19
	v_cvt_f32_f16_sdwa v39, v19 dst_sel:DWORD dst_unused:UNUSED_PAD src0_sel:WORD_1
	v_cvt_f32_f16_e32 v50, v14
	v_cvt_f32_f16_sdwa v51, v14 dst_sel:DWORD dst_unused:UNUSED_PAD src0_sel:WORD_1
	;; [unrolled: 2-line block ×3, first 2 shown]
	v_pk_add_f32 v[32:33], v[34:35], v[28:29]
	v_pk_add_f32 v[30:31], v[40:41], v[30:31]
	v_pk_add_f32 v[28:29], v[36:37], v[52:53]
	v_pk_add_f32 v[26:27], v[42:43], v[54:55]
	v_pk_add_f32 v[36:37], v[60:61], v[38:39]
	v_cvt_f32_f16_e32 v38, v16
	v_cvt_f32_f16_sdwa v39, v16 dst_sel:DWORD dst_unused:UNUSED_PAD src0_sel:WORD_1
	v_cvt_f32_f16_e32 v40, v20
	v_cvt_f32_f16_sdwa v41, v20 dst_sel:DWORD dst_unused:UNUSED_PAD src0_sel:WORD_1
	;; [unrolled: 2-line block ×5, first 2 shown]
	v_pk_add_f32 v[34:35], v[50:51], v[62:63]
	v_pk_add_f32 v[16:17], v[38:39], v[40:41]
	;; [unrolled: 1-line block ×5, first 2 shown]
	v_cvt_f16_f32_e32 v44, v35
	v_cvt_f16_f32_e32 v45, v37
	v_cvt_f16_f32_e32 v38, v17
	v_cvt_f16_f32_e32 v39, v21
	v_cvt_f16_f32_e32 v40, v20
	v_cvt_f16_f32_e32 v42, v16
	v_cvt_f16_f32_e32 v43, v36
	v_cvt_f16_f32_e32 v46, v34
	v_pack_b32_f16 v41, v40, v39
	v_pack_b32_f16 v40, v42, v38
	;; [unrolled: 1-line block ×4, first 2 shown]
	buffer_store_dwordx4 v[38:41], v1, s[0:3], 0 offen
	v_cvt_f16_f32_e32 v42, v29
	v_cvt_f16_f32_e32 v38, v24
	;; [unrolled: 1-line block ×8, first 2 shown]
	v_pk_add_f32 v[14:15], v[48:49], v[58:59]
	v_pack_b32_f16 v41, v41, v42
	v_pack_b32_f16 v40, v40, v43
	;; [unrolled: 1-line block ×4, first 2 shown]
	;;#ASMSTART
	s_nop 0
	;;#ASMEND
	buffer_store_dwordx4 v[38:41], v1, s[0:3], 16 offen
	v_cvt_f16_f32_e32 v42, v15
	v_cvt_f16_f32_e32 v38, v26
	;; [unrolled: 1-line block ×8, first 2 shown]
	v_pack_b32_f16 v41, v41, v42
	v_pack_b32_f16 v40, v40, v43
	;; [unrolled: 1-line block ×4, first 2 shown]
	;;#ASMSTART
	s_nop 0
	;;#ASMEND
	buffer_store_dwordx4 v[38:41], v1, s[0:3], 32 offen
	v_pk_mul_f32 v[42:43], v[16:17], v[16:17]
	v_pk_mul_f32 v[38:39], v[34:35], v[34:35]
	;; [unrolled: 1-line block ×3, first 2 shown]
	v_add_f32_e32 v38, v38, v39
	v_add_f32_e32 v38, v40, v38
	;; [unrolled: 1-line block ×4, first 2 shown]
	v_pk_mul_f32 v[44:45], v[20:21], v[20:21]
	v_add_f32_e32 v40, v43, v40
	v_add_f32_e32 v40, v44, v40
	v_pk_mul_f32 v[46:47], v[24:25], v[24:25]
	v_add_f32_e32 v40, v45, v40
	v_add_f32_e32 v40, v46, v40
	;; [unrolled: 3-line block ×9, first 2 shown]
	v_add_f32_e32 v38, v39, v38
	v_and_b32_e32 v40, 63, v0
	v_cmp_eq_u32_e32 vcc, 63, v40
	v_mov_b32_dpp v39, v38 quad_perm:[1,0,3,2] row_mask:0xf bank_mask:0xf
	v_add_f32_e32 v38, v38, v39
	;;#ASMSTART
	s_nop 0
	;;#ASMEND
	s_nop 1
	v_mov_b32_dpp v39, v38 quad_perm:[2,3,0,1] row_mask:0xf bank_mask:0xf
	v_add_f32_e32 v38, v38, v39
	s_nop 1
	v_mov_b32_dpp v39, v38 row_half_mirror row_mask:0xf bank_mask:0xf
	v_add_f32_e32 v38, v38, v39
	s_nop 1
	v_mov_b32_dpp v39, v38 row_mirror row_mask:0xf bank_mask:0xf
	v_add_f32_e32 v38, v38, v39
	s_nop 1
	v_mov_b32_dpp v39, v38 row_bcast:15 row_mask:0xf bank_mask:0xf
	v_add_f32_e32 v38, v38, v39
	s_nop 1
	v_mov_b32_dpp v39, v38 row_bcast:31 row_mask:0xf bank_mask:0xf
	s_and_saveexec_b64 s[0:1], vcc
	s_cbranch_execz .LBB131_3
; %bb.2:
	v_lshrrev_b32_e32 v40, 4, v0
	v_and_b32_e32 v40, 60, v40
	v_add_f32_e32 v38, v38, v39
	ds_write_b32 v40, v38
.LBB131_3:
	s_or_b64 exec, exec, s[0:1]
	v_and_b32_e32 v0, 3, v0
	v_lshlrev_b32_e32 v0, 2, v0
	s_waitcnt lgkmcnt(0)
	s_barrier
	ds_read_b32 v0, v0
	s_ashr_i32 s4, s19, 31
	s_mul_hi_u32 s5, s19, s6
	s_mul_i32 s4, s4, s6
	s_waitcnt lgkmcnt(0)
	v_mov_b32_dpp v38, v0 quad_perm:[1,0,3,2] row_mask:0xf bank_mask:0xf
	v_add_f32_e32 v0, v0, v38
	v_cvt_f32_i32_e32 v38, s17
	s_nop 0
	v_mov_b32_dpp v39, v0 quad_perm:[2,3,0,1] row_mask:0xf bank_mask:0xf
	v_add_f32_e32 v0, v0, v39
	v_div_scale_f32 v39, s[0:1], v38, v38, v0
	v_rcp_f32_e32 v40, v39
	s_add_i32 s1, s5, s4
	s_mov_b32 s4, 0x800000
	s_mul_i32 s0, s19, s6
	v_fma_f32 v41, -v39, v40, 1.0
	v_fmac_f32_e32 v40, v41, v40
	v_div_scale_f32 v41, vcc, v0, v38, v0
	v_mul_f32_e32 v42, v41, v40
	v_fma_f32 v43, -v39, v42, v41
	v_fmac_f32_e32 v42, v43, v40
	v_fma_f32 v39, -v39, v42, v41
	v_div_fmas_f32 v39, v39, v40, v42
	v_div_fixup_f32 v0, v39, v38, v0
	v_cvt_f64_f32_e32 v[38:39], v0
	v_add_f64 v[38:39], v[38:39], s[14:15]
	v_cvt_f32_f64_e32 v0, v[38:39]
	v_mul_f32_e32 v38, 0x4b800000, v0
	v_cmp_gt_f32_e32 vcc, s4, v0
	v_cndmask_b32_e32 v0, v0, v38, vcc
	v_rsq_f32_e32 v0, v0
	s_waitcnt vmcnt(5)
	v_cvt_f32_f16_sdwa v41, v11 dst_sel:DWORD dst_unused:UNUSED_PAD src0_sel:WORD_1
	v_cvt_f32_f16_e32 v40, v11
	v_cvt_f32_f16_sdwa v11, v12 dst_sel:DWORD dst_unused:UNUSED_PAD src0_sel:WORD_1
	v_mul_f32_e32 v38, 0x45800000, v0
	v_cndmask_b32_e32 v38, v0, v38, vcc
	v_mov_b32_e32 v39, v38
	;;#ASMSTART
	v_pk_mul_f32 v[34:35], v[34:35], v[38:39]
	;;#ASMEND
	;;#ASMSTART
	v_pk_mul_f32 v[36:37], v[36:37], v[38:39]
	;;#ASMEND
	;;#ASMSTART
	v_pk_mul_f32 v[16:17], v[16:17], v[38:39]
	;;#ASMEND
	;;#ASMSTART
	v_pk_mul_f32 v[20:21], v[20:21], v[38:39]
	;;#ASMEND
	;;#ASMSTART
	v_pk_mul_f32 v[24:25], v[24:25], v[38:39]
	;;#ASMEND
	;;#ASMSTART
	v_pk_mul_f32 v[32:33], v[32:33], v[38:39]
	;;#ASMEND
	;;#ASMSTART
	v_pk_mul_f32 v[30:31], v[30:31], v[38:39]
	;;#ASMEND
	;;#ASMSTART
	v_pk_mul_f32 v[28:29], v[28:29], v[38:39]
	;;#ASMEND
	;;#ASMSTART
	v_pk_mul_f32 v[26:27], v[26:27], v[38:39]
	;;#ASMEND
	;;#ASMSTART
	v_pk_mul_f32 v[22:23], v[22:23], v[38:39]
	;;#ASMEND
	;;#ASMSTART
	v_pk_mul_f32 v[18:19], v[18:19], v[38:39]
	;;#ASMEND
	;;#ASMSTART
	v_pk_mul_f32 v[14:15], v[14:15], v[38:39]
	;;#ASMEND
	v_cvt_f32_f16_sdwa v39, v10 dst_sel:DWORD dst_unused:UNUSED_PAD src0_sel:WORD_1
	v_cvt_f32_f16_e32 v38, v10
	v_cvt_f32_f16_e32 v10, v12
	v_cvt_f32_f16_sdwa v43, v13 dst_sel:DWORD dst_unused:UNUSED_PAD src0_sel:WORD_1
	v_cvt_f32_f16_e32 v42, v13
	;;#ASMSTART
	v_pk_mul_f32 v[12:13], v[34:35], v[38:39]
	;;#ASMEND
	;;#ASMSTART
	v_pk_mul_f32 v[34:35], v[36:37], v[40:41]
	;;#ASMEND
	;; [unrolled: 3-line block ×4, first 2 shown]
	s_waitcnt vmcnt(4)
	v_cvt_f32_f16_sdwa v21, v6 dst_sel:DWORD dst_unused:UNUSED_PAD src0_sel:WORD_1
	v_cvt_f32_f16_e32 v20, v6
	v_cvt_f32_f16_sdwa v37, v7 dst_sel:DWORD dst_unused:UNUSED_PAD src0_sel:WORD_1
	v_cvt_f32_f16_e32 v36, v7
	;; [unrolled: 2-line block ×4, first 2 shown]
	;;#ASMSTART
	v_pk_mul_f32 v[8:9], v[24:25], v[20:21]
	;;#ASMEND
	;;#ASMSTART
	v_pk_mul_f32 v[20:21], v[32:33], v[36:37]
	;;#ASMEND
	;; [unrolled: 3-line block ×4, first 2 shown]
	s_waitcnt vmcnt(3)
	v_cvt_f32_f16_sdwa v29, v2 dst_sel:DWORD dst_unused:UNUSED_PAD src0_sel:WORD_1
	v_cvt_f32_f16_e32 v28, v2
	v_cvt_f32_f16_sdwa v31, v3 dst_sel:DWORD dst_unused:UNUSED_PAD src0_sel:WORD_1
	v_cvt_f32_f16_e32 v30, v3
	;; [unrolled: 2-line block ×4, first 2 shown]
	;;#ASMSTART
	v_pk_mul_f32 v[26:27], v[26:27], v[28:29]
	;;#ASMEND
	;;#ASMSTART
	v_pk_mul_f32 v[22:23], v[22:23], v[30:31]
	;;#ASMEND
	;; [unrolled: 3-line block ×3, first 2 shown]
	v_cvt_f16_f32_e32 v0, v12
	v_cvt_f16_f32_e32 v2, v13
	;; [unrolled: 1-line block ×8, first 2 shown]
	s_lshl_b64 s[0:1], s[0:1], 1
	s_add_u32 s0, s8, s0
	s_addc_u32 s1, s9, s1
	s_and_b32 s1, s1, 0xffff
	v_pack_b32_f16 v2, v0, v2
	v_pack_b32_f16 v3, v3, v4
	;; [unrolled: 1-line block ×4, first 2 shown]
	;;#ASMSTART
	v_pk_mul_f32 v[14:15], v[14:15], v[32:33]
	;;#ASMEND
	buffer_store_dwordx4 v[2:5], v1, s[0:3], 0 offen
	v_cvt_f16_f32_e32 v0, v8
	v_cvt_f16_f32_e32 v2, v9
	v_cvt_f16_f32_e32 v3, v20
	v_cvt_f16_f32_e32 v4, v21
	v_cvt_f16_f32_e32 v5, v6
	v_cvt_f16_f32_e32 v6, v7
	v_cvt_f16_f32_e32 v7, v24
	v_cvt_f16_f32_e32 v8, v25
	v_pack_b32_f16 v2, v0, v2
	v_pack_b32_f16 v3, v3, v4
	;; [unrolled: 1-line block ×4, first 2 shown]
	;;#ASMSTART
	s_nop 0
	;;#ASMEND
	buffer_store_dwordx4 v[2:5], v1, s[0:3], 16 offen
	v_cvt_f16_f32_e32 v0, v26
	v_cvt_f16_f32_e32 v2, v27
	;; [unrolled: 1-line block ×8, first 2 shown]
	v_pack_b32_f16 v2, v0, v2
	v_pack_b32_f16 v3, v3, v4
	;; [unrolled: 1-line block ×4, first 2 shown]
	;;#ASMSTART
	s_nop 0
	;;#ASMEND
	buffer_store_dwordx4 v[2:5], v1, s[0:3], 32 offen
	;;#ASMSTART
	s_nop 0
	;;#ASMEND
.LBB131_4:
	s_endpgm
	.section	.rodata,"a",@progbits
	.p2align	6, 0x0
	.amdhsa_kernel _ZN5aiter24add_rmsnorm_quant_kernelIDF16_DF16_Li256ELi24ELb1ELb0ELb0ELi1EEEvPT0_PT_PfS4_S4_S4_diiiiiiib
		.amdhsa_group_segment_fixed_size 16
		.amdhsa_private_segment_fixed_size 0
		.amdhsa_kernarg_size 88
		.amdhsa_user_sgpr_count 6
		.amdhsa_user_sgpr_private_segment_buffer 1
		.amdhsa_user_sgpr_dispatch_ptr 0
		.amdhsa_user_sgpr_queue_ptr 0
		.amdhsa_user_sgpr_kernarg_segment_ptr 1
		.amdhsa_user_sgpr_dispatch_id 0
		.amdhsa_user_sgpr_flat_scratch_init 0
		.amdhsa_user_sgpr_kernarg_preload_length 0
		.amdhsa_user_sgpr_kernarg_preload_offset 0
		.amdhsa_user_sgpr_private_segment_size 0
		.amdhsa_uses_dynamic_stack 0
		.amdhsa_system_sgpr_private_segment_wavefront_offset 0
		.amdhsa_system_sgpr_workgroup_id_x 1
		.amdhsa_system_sgpr_workgroup_id_y 0
		.amdhsa_system_sgpr_workgroup_id_z 0
		.amdhsa_system_sgpr_workgroup_info 0
		.amdhsa_system_vgpr_workitem_id 0
		.amdhsa_next_free_vgpr 64
		.amdhsa_next_free_sgpr 24
		.amdhsa_accum_offset 64
		.amdhsa_reserve_vcc 1
		.amdhsa_reserve_flat_scratch 0
		.amdhsa_float_round_mode_32 0
		.amdhsa_float_round_mode_16_64 0
		.amdhsa_float_denorm_mode_32 3
		.amdhsa_float_denorm_mode_16_64 3
		.amdhsa_dx10_clamp 1
		.amdhsa_ieee_mode 1
		.amdhsa_fp16_overflow 0
		.amdhsa_tg_split 0
		.amdhsa_exception_fp_ieee_invalid_op 0
		.amdhsa_exception_fp_denorm_src 0
		.amdhsa_exception_fp_ieee_div_zero 0
		.amdhsa_exception_fp_ieee_overflow 0
		.amdhsa_exception_fp_ieee_underflow 0
		.amdhsa_exception_fp_ieee_inexact 0
		.amdhsa_exception_int_div_zero 0
	.end_amdhsa_kernel
	.section	.text._ZN5aiter24add_rmsnorm_quant_kernelIDF16_DF16_Li256ELi24ELb1ELb0ELb0ELi1EEEvPT0_PT_PfS4_S4_S4_diiiiiiib,"axG",@progbits,_ZN5aiter24add_rmsnorm_quant_kernelIDF16_DF16_Li256ELi24ELb1ELb0ELb0ELi1EEEvPT0_PT_PfS4_S4_S4_diiiiiiib,comdat
.Lfunc_end131:
	.size	_ZN5aiter24add_rmsnorm_quant_kernelIDF16_DF16_Li256ELi24ELb1ELb0ELb0ELi1EEEvPT0_PT_PfS4_S4_S4_diiiiiiib, .Lfunc_end131-_ZN5aiter24add_rmsnorm_quant_kernelIDF16_DF16_Li256ELi24ELb1ELb0ELb0ELi1EEEvPT0_PT_PfS4_S4_S4_diiiiiiib
                                        ; -- End function
	.section	.AMDGPU.csdata,"",@progbits
; Kernel info:
; codeLenInByte = 2096
; NumSgprs: 28
; NumVgprs: 64
; NumAgprs: 0
; TotalNumVgprs: 64
; ScratchSize: 0
; MemoryBound: 0
; FloatMode: 240
; IeeeMode: 1
; LDSByteSize: 16 bytes/workgroup (compile time only)
; SGPRBlocks: 3
; VGPRBlocks: 7
; NumSGPRsForWavesPerEU: 28
; NumVGPRsForWavesPerEU: 64
; AccumOffset: 64
; Occupancy: 8
; WaveLimiterHint : 0
; COMPUTE_PGM_RSRC2:SCRATCH_EN: 0
; COMPUTE_PGM_RSRC2:USER_SGPR: 6
; COMPUTE_PGM_RSRC2:TRAP_HANDLER: 0
; COMPUTE_PGM_RSRC2:TGID_X_EN: 1
; COMPUTE_PGM_RSRC2:TGID_Y_EN: 0
; COMPUTE_PGM_RSRC2:TGID_Z_EN: 0
; COMPUTE_PGM_RSRC2:TIDIG_COMP_CNT: 0
; COMPUTE_PGM_RSRC3_GFX90A:ACCUM_OFFSET: 15
; COMPUTE_PGM_RSRC3_GFX90A:TG_SPLIT: 0
	.section	.text._ZN5aiter24add_rmsnorm_quant_kernelIttLi256ELi24ELb1ELb0ELb0ELi1EEEvPT0_PT_PfS4_S4_S4_diiiiiiib,"axG",@progbits,_ZN5aiter24add_rmsnorm_quant_kernelIttLi256ELi24ELb1ELb0ELb0ELi1EEEvPT0_PT_PfS4_S4_S4_diiiiiiib,comdat
	.protected	_ZN5aiter24add_rmsnorm_quant_kernelIttLi256ELi24ELb1ELb0ELb0ELi1EEEvPT0_PT_PfS4_S4_S4_diiiiiiib ; -- Begin function _ZN5aiter24add_rmsnorm_quant_kernelIttLi256ELi24ELb1ELb0ELb0ELi1EEEvPT0_PT_PfS4_S4_S4_diiiiiiib
	.globl	_ZN5aiter24add_rmsnorm_quant_kernelIttLi256ELi24ELb1ELb0ELb0ELi1EEEvPT0_PT_PfS4_S4_S4_diiiiiiib
	.p2align	8
	.type	_ZN5aiter24add_rmsnorm_quant_kernelIttLi256ELi24ELb1ELb0ELb0ELi1EEEvPT0_PT_PfS4_S4_S4_diiiiiiib,@function
_ZN5aiter24add_rmsnorm_quant_kernelIttLi256ELi24ELb1ELb0ELb0ELi1EEEvPT0_PT_PfS4_S4_S4_diiiiiiib: ; @_ZN5aiter24add_rmsnorm_quant_kernelIttLi256ELi24ELb1ELb0ELb0ELi1EEEvPT0_PT_PfS4_S4_S4_diiiiiiib
; %bb.0:
	s_load_dwordx4 s[16:19], s[4:5], 0x38
	s_mov_b32 s7, 0
	s_waitcnt lgkmcnt(0)
	s_ashr_i32 s0, s16, 31
	v_mov_b32_e32 v2, s16
	v_mov_b32_e32 v3, s0
	v_cmp_ge_i64_e32 vcc, s[6:7], v[2:3]
	s_cbranch_vccnz .LBB132_4
; %bb.1:
	s_load_dwordx8 s[8:15], s[4:5], 0x18
	s_ashr_i32 s0, s18, 31
	s_mul_hi_u32 s1, s18, s6
	s_mul_i32 s0, s0, s6
	s_add_i32 s1, s1, s0
	s_mul_i32 s0, s18, s6
	s_lshl_b64 s[0:1], s[0:1], 1
	s_waitcnt lgkmcnt(0)
	s_add_u32 s0, s8, s0
	s_addc_u32 s1, s9, s1
	s_add_i32 s2, s17, 1
	s_lshr_b32 s3, s2, 31
	s_add_i32 s2, s2, s3
	s_lshl_b32 s2, s2, 1
	s_and_b32 s2, s2, -4
	s_and_b32 s1, s1, 0xffff
	s_mov_b32 s3, 0x20000
	v_mul_u32_u24_e32 v1, 48, v0
	buffer_load_dwordx4 v[34:37], v1, s[0:3], 16 offen
	buffer_load_dwordx4 v[14:17], v1, s[0:3], 0 offen
	;; [unrolled: 1-line block ×3, first 2 shown]
	s_ashr_i32 s0, s19, 31
	s_mul_hi_u32 s1, s19, s6
	s_mul_i32 s0, s0, s6
	s_add_i32 s1, s1, s0
	s_mul_i32 s0, s19, s6
	s_and_b32 s21, s13, 0xffff
	s_lshl_b64 s[0:1], s[0:1], 1
	s_add_u32 s0, s10, s0
	s_addc_u32 s1, s11, s1
	s_and_b32 s1, s1, 0xffff
	buffer_load_dwordx4 v[30:33], v1, s[0:3], 16 offen
	buffer_load_dwordx4 v[22:25], v1, s[0:3], 32 offen
	;; [unrolled: 1-line block ×3, first 2 shown]
	s_mov_b32 s23, s3
	s_mov_b32 s20, s12
	;; [unrolled: 1-line block ×3, first 2 shown]
	s_load_dwordx2 s[18:19], s[4:5], 0x48
	s_load_dwordx4 s[8:11], s[4:5], 0x0
	buffer_load_dwordx4 v[10:13], v1, s[20:23], 0 offen
	buffer_load_dwordx4 v[6:9], v1, s[20:23], 16 offen
	;; [unrolled: 1-line block ×3, first 2 shown]
	s_waitcnt lgkmcnt(0)
	s_ashr_i32 s4, s18, 31
	s_mul_hi_u32 s1, s18, s6
	s_mul_i32 s4, s4, s6
	s_mul_i32 s0, s18, s6
	s_add_i32 s1, s1, s4
	s_lshl_b64 s[0:1], s[0:1], 1
	s_add_u32 s0, s10, s0
	s_addc_u32 s1, s11, s1
	s_mov_b32 s4, 0x7060302
	s_and_b32 s1, s1, 0xffff
	s_waitcnt vmcnt(8)
	v_cvt_f32_u32_sdwa v39, v34 dst_sel:DWORD dst_unused:UNUSED_PAD src0_sel:WORD_1
	v_cvt_f32_u32_sdwa v38, v34 dst_sel:DWORD dst_unused:UNUSED_PAD src0_sel:WORD_0
	v_cvt_f32_u32_sdwa v41, v35 dst_sel:DWORD dst_unused:UNUSED_PAD src0_sel:WORD_1
	v_cvt_f32_u32_sdwa v40, v35 dst_sel:DWORD dst_unused:UNUSED_PAD src0_sel:WORD_0
	v_cvt_f32_u32_sdwa v35, v36 dst_sel:DWORD dst_unused:UNUSED_PAD src0_sel:WORD_1
	v_cvt_f32_u32_sdwa v34, v36 dst_sel:DWORD dst_unused:UNUSED_PAD src0_sel:WORD_0
	v_cvt_f32_u32_sdwa v43, v37 dst_sel:DWORD dst_unused:UNUSED_PAD src0_sel:WORD_1
	v_cvt_f32_u32_sdwa v42, v37 dst_sel:DWORD dst_unused:UNUSED_PAD src0_sel:WORD_0
	s_waitcnt vmcnt(6)
	v_cvt_f32_u32_sdwa v37, v26 dst_sel:DWORD dst_unused:UNUSED_PAD src0_sel:WORD_1
	v_cvt_f32_u32_sdwa v36, v26 dst_sel:DWORD dst_unused:UNUSED_PAD src0_sel:WORD_0
	v_cvt_f32_u32_sdwa v45, v27 dst_sel:DWORD dst_unused:UNUSED_PAD src0_sel:WORD_1
	v_cvt_f32_u32_sdwa v44, v27 dst_sel:DWORD dst_unused:UNUSED_PAD src0_sel:WORD_0
	v_cvt_f32_u32_sdwa v47, v28 dst_sel:DWORD dst_unused:UNUSED_PAD src0_sel:WORD_1
	v_cvt_f32_u32_sdwa v46, v28 dst_sel:DWORD dst_unused:UNUSED_PAD src0_sel:WORD_0
	v_cvt_f32_u32_sdwa v49, v29 dst_sel:DWORD dst_unused:UNUSED_PAD src0_sel:WORD_1
	v_cvt_f32_u32_sdwa v48, v29 dst_sel:DWORD dst_unused:UNUSED_PAD src0_sel:WORD_0
	;; [unrolled: 9-line block ×4, first 2 shown]
	v_cvt_f32_u32_sdwa v61, v25 dst_sel:DWORD dst_unused:UNUSED_PAD src0_sel:WORD_1
	v_cvt_f32_u32_sdwa v60, v25 dst_sel:DWORD dst_unused:UNUSED_PAD src0_sel:WORD_0
	v_cvt_f32_u32_sdwa v63, v15 dst_sel:DWORD dst_unused:UNUSED_PAD src0_sel:WORD_1
	v_cvt_f32_u32_sdwa v62, v15 dst_sel:DWORD dst_unused:UNUSED_PAD src0_sel:WORD_0
	v_cvt_f32_u32_sdwa v65, v16 dst_sel:DWORD dst_unused:UNUSED_PAD src0_sel:WORD_1
	v_pk_add_f32 v[24:25], v[38:39], v[26:27]
	s_waitcnt vmcnt(3)
	v_cvt_f32_u32_sdwa v39, v18 dst_sel:DWORD dst_unused:UNUSED_PAD src0_sel:WORD_1
	v_cvt_f32_u32_sdwa v38, v18 dst_sel:DWORD dst_unused:UNUSED_PAD src0_sel:WORD_0
	v_pk_add_f32 v[28:29], v[40:41], v[28:29]
	v_cvt_f32_u32_sdwa v41, v19 dst_sel:DWORD dst_unused:UNUSED_PAD src0_sel:WORD_1
	v_cvt_f32_u32_sdwa v40, v19 dst_sel:DWORD dst_unused:UNUSED_PAD src0_sel:WORD_0
	v_pk_add_f32 v[32:33], v[34:35], v[30:31]
	v_pk_add_f32 v[30:31], v[42:43], v[52:53]
	;; [unrolled: 1-line block ×3, first 2 shown]
	v_cvt_f32_u32_sdwa v64, v16 dst_sel:DWORD dst_unused:UNUSED_PAD src0_sel:WORD_0
	v_cvt_f32_u32_sdwa v35, v20 dst_sel:DWORD dst_unused:UNUSED_PAD src0_sel:WORD_1
	v_cvt_f32_u32_sdwa v34, v20 dst_sel:DWORD dst_unused:UNUSED_PAD src0_sel:WORD_0
	v_cvt_f32_u32_sdwa v43, v17 dst_sel:DWORD dst_unused:UNUSED_PAD src0_sel:WORD_1
	;; [unrolled: 2-line block ×3, first 2 shown]
	v_cvt_f32_u32_sdwa v44, v21 dst_sel:DWORD dst_unused:UNUSED_PAD src0_sel:WORD_0
	v_pk_add_f32 v[26:27], v[36:37], v[54:55]
	v_pk_add_f32 v[36:37], v[50:51], v[38:39]
	;; [unrolled: 1-line block ×5, first 2 shown]
	v_perm_b32 v41, v35, v34, s4
	v_perm_b32 v40, v17, v16, s4
	;; [unrolled: 1-line block ×4, first 2 shown]
	v_pk_add_f32 v[18:19], v[46:47], v[58:59]
	v_pk_add_f32 v[14:15], v[48:49], v[60:61]
	buffer_store_dwordx4 v[38:41], v1, s[0:3], 0 offen
	;;#ASMSTART
	s_nop 0
	;;#ASMEND
	v_pk_mul_f32 v[42:43], v[16:17], v[16:17]
	v_perm_b32 v41, v31, v30, s4
	v_perm_b32 v40, v33, v32, s4
	;; [unrolled: 1-line block ×4, first 2 shown]
	buffer_store_dwordx4 v[38:41], v1, s[0:3], 16 offen
	;;#ASMSTART
	s_nop 0
	;;#ASMEND
	v_pk_mul_f32 v[44:45], v[34:35], v[34:35]
	v_perm_b32 v41, v15, v14, s4
	v_perm_b32 v40, v19, v18, s4
	;; [unrolled: 1-line block ×4, first 2 shown]
	buffer_store_dwordx4 v[38:41], v1, s[0:3], 32 offen
	v_pk_mul_f32 v[46:47], v[24:25], v[24:25]
	v_pk_mul_f32 v[38:39], v[36:37], v[36:37]
	;; [unrolled: 1-line block ×3, first 2 shown]
	v_add_f32_e32 v38, v38, v39
	v_add_f32_e32 v38, v40, v38
	;; [unrolled: 1-line block ×8, first 2 shown]
	v_pk_mul_f32 v[48:49], v[28:29], v[28:29]
	v_add_f32_e32 v40, v47, v40
	v_add_f32_e32 v40, v48, v40
	v_pk_mul_f32 v[50:51], v[32:33], v[32:33]
	v_add_f32_e32 v40, v49, v40
	v_add_f32_e32 v40, v50, v40
	;; [unrolled: 3-line block ×7, first 2 shown]
	v_add_f32_e32 v38, v39, v38
	v_and_b32_e32 v40, 63, v0
	v_cmp_eq_u32_e32 vcc, 63, v40
	v_mov_b32_dpp v39, v38 quad_perm:[1,0,3,2] row_mask:0xf bank_mask:0xf
	v_add_f32_e32 v38, v38, v39
	;;#ASMSTART
	s_nop 0
	;;#ASMEND
	s_nop 1
	v_mov_b32_dpp v39, v38 quad_perm:[2,3,0,1] row_mask:0xf bank_mask:0xf
	v_add_f32_e32 v38, v38, v39
	s_nop 1
	v_mov_b32_dpp v39, v38 row_half_mirror row_mask:0xf bank_mask:0xf
	v_add_f32_e32 v38, v38, v39
	s_nop 1
	v_mov_b32_dpp v39, v38 row_mirror row_mask:0xf bank_mask:0xf
	v_add_f32_e32 v38, v38, v39
	s_nop 1
	v_mov_b32_dpp v39, v38 row_bcast:15 row_mask:0xf bank_mask:0xf
	v_add_f32_e32 v38, v38, v39
	s_nop 1
	v_mov_b32_dpp v39, v38 row_bcast:31 row_mask:0xf bank_mask:0xf
	s_and_saveexec_b64 s[0:1], vcc
	s_cbranch_execz .LBB132_3
; %bb.2:
	v_lshrrev_b32_e32 v40, 4, v0
	v_and_b32_e32 v40, 60, v40
	v_add_f32_e32 v38, v38, v39
	ds_write_b32 v40, v38
.LBB132_3:
	s_or_b64 exec, exec, s[0:1]
	v_and_b32_e32 v0, 3, v0
	v_lshlrev_b32_e32 v0, 2, v0
	s_waitcnt lgkmcnt(0)
	s_barrier
	ds_read_b32 v0, v0
	s_ashr_i32 s5, s19, 31
	s_mul_hi_u32 s7, s19, s6
	s_mul_i32 s5, s5, s6
	s_waitcnt lgkmcnt(0)
	v_mov_b32_dpp v38, v0 quad_perm:[1,0,3,2] row_mask:0xf bank_mask:0xf
	v_add_f32_e32 v0, v0, v38
	v_cvt_f32_i32_e32 v38, s17
	s_nop 0
	v_mov_b32_dpp v39, v0 quad_perm:[2,3,0,1] row_mask:0xf bank_mask:0xf
	v_add_f32_e32 v0, v0, v39
	v_div_scale_f32 v39, s[0:1], v38, v38, v0
	v_rcp_f32_e32 v40, v39
	s_add_i32 s1, s7, s5
	s_mov_b32 s5, 0x800000
	s_mul_i32 s0, s19, s6
	v_fma_f32 v41, -v39, v40, 1.0
	v_fmac_f32_e32 v40, v41, v40
	v_div_scale_f32 v41, vcc, v0, v38, v0
	v_mul_f32_e32 v42, v41, v40
	v_fma_f32 v43, -v39, v42, v41
	v_fmac_f32_e32 v42, v43, v40
	v_fma_f32 v39, -v39, v42, v41
	v_div_fmas_f32 v39, v39, v40, v42
	v_div_fixup_f32 v0, v39, v38, v0
	v_cvt_f64_f32_e32 v[38:39], v0
	v_add_f64 v[38:39], v[38:39], s[14:15]
	v_cvt_f32_f64_e32 v0, v[38:39]
	v_mul_f32_e32 v38, 0x4b800000, v0
	v_cmp_gt_f32_e32 vcc, s5, v0
	v_cndmask_b32_e32 v0, v0, v38, vcc
	v_rsq_f32_e32 v0, v0
	s_lshl_b64 s[0:1], s[0:1], 1
	s_waitcnt vmcnt(5)
	v_cvt_f32_u32_sdwa v41, v11 dst_sel:DWORD dst_unused:UNUSED_PAD src0_sel:WORD_1
	v_cvt_f32_u32_sdwa v40, v11 dst_sel:DWORD dst_unused:UNUSED_PAD src0_sel:WORD_0
	v_mul_f32_e32 v38, 0x45800000, v0
	v_cndmask_b32_e32 v38, v0, v38, vcc
	v_mov_b32_e32 v39, v38
	;;#ASMSTART
	v_pk_mul_f32 v[36:37], v[36:37], v[38:39]
	;;#ASMEND
	;;#ASMSTART
	v_pk_mul_f32 v[20:21], v[20:21], v[38:39]
	;;#ASMEND
	;; [unrolled: 3-line block ×12, first 2 shown]
	v_cvt_f32_u32_sdwa v39, v10 dst_sel:DWORD dst_unused:UNUSED_PAD src0_sel:WORD_1
	v_cvt_f32_u32_sdwa v38, v10 dst_sel:DWORD dst_unused:UNUSED_PAD src0_sel:WORD_0
	v_cvt_f32_u32_sdwa v11, v12 dst_sel:DWORD dst_unused:UNUSED_PAD src0_sel:WORD_1
	v_cvt_f32_u32_sdwa v10, v12 dst_sel:DWORD dst_unused:UNUSED_PAD src0_sel:WORD_0
	s_add_u32 s0, s8, s0
	v_cvt_f32_u32_sdwa v43, v13 dst_sel:DWORD dst_unused:UNUSED_PAD src0_sel:WORD_1
	v_cvt_f32_u32_sdwa v42, v13 dst_sel:DWORD dst_unused:UNUSED_PAD src0_sel:WORD_0
	;;#ASMSTART
	v_pk_mul_f32 v[12:13], v[36:37], v[38:39]
	;;#ASMEND
	;;#ASMSTART
	v_pk_mul_f32 v[20:21], v[20:21], v[40:41]
	;;#ASMEND
	;; [unrolled: 3-line block ×4, first 2 shown]
	s_waitcnt vmcnt(4)
	v_cvt_f32_u32_sdwa v35, v6 dst_sel:DWORD dst_unused:UNUSED_PAD src0_sel:WORD_1
	v_cvt_f32_u32_sdwa v34, v6 dst_sel:DWORD dst_unused:UNUSED_PAD src0_sel:WORD_0
	v_cvt_f32_u32_sdwa v37, v7 dst_sel:DWORD dst_unused:UNUSED_PAD src0_sel:WORD_1
	v_cvt_f32_u32_sdwa v36, v7 dst_sel:DWORD dst_unused:UNUSED_PAD src0_sel:WORD_0
	;; [unrolled: 2-line block ×3, first 2 shown]
	s_addc_u32 s1, s9, s1
	v_cvt_f32_u32_sdwa v39, v9 dst_sel:DWORD dst_unused:UNUSED_PAD src0_sel:WORD_1
	v_cvt_f32_u32_sdwa v38, v9 dst_sel:DWORD dst_unused:UNUSED_PAD src0_sel:WORD_0
	;;#ASMSTART
	v_pk_mul_f32 v[8:9], v[24:25], v[34:35]
	;;#ASMEND
	;;#ASMSTART
	v_pk_mul_f32 v[24:25], v[28:29], v[36:37]
	;;#ASMEND
	;; [unrolled: 3-line block ×4, first 2 shown]
	s_waitcnt vmcnt(3)
	v_cvt_f32_u32_sdwa v31, v2 dst_sel:DWORD dst_unused:UNUSED_PAD src0_sel:WORD_1
	v_cvt_f32_u32_sdwa v30, v2 dst_sel:DWORD dst_unused:UNUSED_PAD src0_sel:WORD_0
	v_cvt_f32_u32_sdwa v33, v3 dst_sel:DWORD dst_unused:UNUSED_PAD src0_sel:WORD_1
	v_cvt_f32_u32_sdwa v32, v3 dst_sel:DWORD dst_unused:UNUSED_PAD src0_sel:WORD_0
	;; [unrolled: 2-line block ×4, first 2 shown]
	;;#ASMSTART
	v_pk_mul_f32 v[26:27], v[26:27], v[30:31]
	;;#ASMEND
	;;#ASMSTART
	v_pk_mul_f32 v[22:23], v[22:23], v[32:33]
	;;#ASMEND
	;; [unrolled: 3-line block ×3, first 2 shown]
	s_and_b32 s1, s1, 0xffff
	v_perm_b32 v2, v13, v12, s4
	v_perm_b32 v3, v21, v20, s4
	;; [unrolled: 1-line block ×4, first 2 shown]
	;;#ASMSTART
	v_pk_mul_f32 v[14:15], v[14:15], v[34:35]
	;;#ASMEND
	buffer_store_dwordx4 v[2:5], v1, s[0:3], 0 offen
	;;#ASMSTART
	s_nop 0
	;;#ASMEND
	s_nop 0
	v_perm_b32 v2, v9, v8, s4
	v_perm_b32 v3, v25, v24, s4
	;; [unrolled: 1-line block ×4, first 2 shown]
	buffer_store_dwordx4 v[2:5], v1, s[0:3], 16 offen
	;;#ASMSTART
	s_nop 0
	;;#ASMEND
	s_nop 0
	v_perm_b32 v2, v27, v26, s4
	v_perm_b32 v3, v23, v22, s4
	;; [unrolled: 1-line block ×4, first 2 shown]
	buffer_store_dwordx4 v[2:5], v1, s[0:3], 32 offen
	;;#ASMSTART
	s_nop 0
	;;#ASMEND
.LBB132_4:
	s_endpgm
	.section	.rodata,"a",@progbits
	.p2align	6, 0x0
	.amdhsa_kernel _ZN5aiter24add_rmsnorm_quant_kernelIttLi256ELi24ELb1ELb0ELb0ELi1EEEvPT0_PT_PfS4_S4_S4_diiiiiiib
		.amdhsa_group_segment_fixed_size 16
		.amdhsa_private_segment_fixed_size 0
		.amdhsa_kernarg_size 88
		.amdhsa_user_sgpr_count 6
		.amdhsa_user_sgpr_private_segment_buffer 1
		.amdhsa_user_sgpr_dispatch_ptr 0
		.amdhsa_user_sgpr_queue_ptr 0
		.amdhsa_user_sgpr_kernarg_segment_ptr 1
		.amdhsa_user_sgpr_dispatch_id 0
		.amdhsa_user_sgpr_flat_scratch_init 0
		.amdhsa_user_sgpr_kernarg_preload_length 0
		.amdhsa_user_sgpr_kernarg_preload_offset 0
		.amdhsa_user_sgpr_private_segment_size 0
		.amdhsa_uses_dynamic_stack 0
		.amdhsa_system_sgpr_private_segment_wavefront_offset 0
		.amdhsa_system_sgpr_workgroup_id_x 1
		.amdhsa_system_sgpr_workgroup_id_y 0
		.amdhsa_system_sgpr_workgroup_id_z 0
		.amdhsa_system_sgpr_workgroup_info 0
		.amdhsa_system_vgpr_workitem_id 0
		.amdhsa_next_free_vgpr 66
		.amdhsa_next_free_sgpr 24
		.amdhsa_accum_offset 68
		.amdhsa_reserve_vcc 1
		.amdhsa_reserve_flat_scratch 0
		.amdhsa_float_round_mode_32 0
		.amdhsa_float_round_mode_16_64 0
		.amdhsa_float_denorm_mode_32 3
		.amdhsa_float_denorm_mode_16_64 3
		.amdhsa_dx10_clamp 1
		.amdhsa_ieee_mode 1
		.amdhsa_fp16_overflow 0
		.amdhsa_tg_split 0
		.amdhsa_exception_fp_ieee_invalid_op 0
		.amdhsa_exception_fp_denorm_src 0
		.amdhsa_exception_fp_ieee_div_zero 0
		.amdhsa_exception_fp_ieee_overflow 0
		.amdhsa_exception_fp_ieee_underflow 0
		.amdhsa_exception_fp_ieee_inexact 0
		.amdhsa_exception_int_div_zero 0
	.end_amdhsa_kernel
	.section	.text._ZN5aiter24add_rmsnorm_quant_kernelIttLi256ELi24ELb1ELb0ELb0ELi1EEEvPT0_PT_PfS4_S4_S4_diiiiiiib,"axG",@progbits,_ZN5aiter24add_rmsnorm_quant_kernelIttLi256ELi24ELb1ELb0ELb0ELi1EEEvPT0_PT_PfS4_S4_S4_diiiiiiib,comdat
.Lfunc_end132:
	.size	_ZN5aiter24add_rmsnorm_quant_kernelIttLi256ELi24ELb1ELb0ELb0ELi1EEEvPT0_PT_PfS4_S4_S4_diiiiiiib, .Lfunc_end132-_ZN5aiter24add_rmsnorm_quant_kernelIttLi256ELi24ELb1ELb0ELb0ELi1EEEvPT0_PT_PfS4_S4_S4_diiiiiiib
                                        ; -- End function
	.section	.AMDGPU.csdata,"",@progbits
; Kernel info:
; codeLenInByte = 2064
; NumSgprs: 28
; NumVgprs: 66
; NumAgprs: 0
; TotalNumVgprs: 66
; ScratchSize: 0
; MemoryBound: 0
; FloatMode: 240
; IeeeMode: 1
; LDSByteSize: 16 bytes/workgroup (compile time only)
; SGPRBlocks: 3
; VGPRBlocks: 8
; NumSGPRsForWavesPerEU: 28
; NumVGPRsForWavesPerEU: 66
; AccumOffset: 68
; Occupancy: 7
; WaveLimiterHint : 0
; COMPUTE_PGM_RSRC2:SCRATCH_EN: 0
; COMPUTE_PGM_RSRC2:USER_SGPR: 6
; COMPUTE_PGM_RSRC2:TRAP_HANDLER: 0
; COMPUTE_PGM_RSRC2:TGID_X_EN: 1
; COMPUTE_PGM_RSRC2:TGID_Y_EN: 0
; COMPUTE_PGM_RSRC2:TGID_Z_EN: 0
; COMPUTE_PGM_RSRC2:TIDIG_COMP_CNT: 0
; COMPUTE_PGM_RSRC3_GFX90A:ACCUM_OFFSET: 16
; COMPUTE_PGM_RSRC3_GFX90A:TG_SPLIT: 0
	.section	.text._ZN5aiter24add_rmsnorm_quant_kernelIDF16_DF16_Li256ELi32ELb1ELb0ELb1ELi1EEEvPT0_PT_PfS4_S4_S4_diiiiiiib,"axG",@progbits,_ZN5aiter24add_rmsnorm_quant_kernelIDF16_DF16_Li256ELi32ELb1ELb0ELb1ELi1EEEvPT0_PT_PfS4_S4_S4_diiiiiiib,comdat
	.protected	_ZN5aiter24add_rmsnorm_quant_kernelIDF16_DF16_Li256ELi32ELb1ELb0ELb1ELi1EEEvPT0_PT_PfS4_S4_S4_diiiiiiib ; -- Begin function _ZN5aiter24add_rmsnorm_quant_kernelIDF16_DF16_Li256ELi32ELb1ELb0ELb1ELi1EEEvPT0_PT_PfS4_S4_S4_diiiiiiib
	.globl	_ZN5aiter24add_rmsnorm_quant_kernelIDF16_DF16_Li256ELi32ELb1ELb0ELb1ELi1EEEvPT0_PT_PfS4_S4_S4_diiiiiiib
	.p2align	8
	.type	_ZN5aiter24add_rmsnorm_quant_kernelIDF16_DF16_Li256ELi32ELb1ELb0ELb1ELi1EEEvPT0_PT_PfS4_S4_S4_diiiiiiib,@function
_ZN5aiter24add_rmsnorm_quant_kernelIDF16_DF16_Li256ELi32ELb1ELb0ELb1ELi1EEEvPT0_PT_PfS4_S4_S4_diiiiiiib: ; @_ZN5aiter24add_rmsnorm_quant_kernelIDF16_DF16_Li256ELi32ELb1ELb0ELb1ELi1EEEvPT0_PT_PfS4_S4_S4_diiiiiiib
; %bb.0:
	s_load_dwordx4 s[16:19], s[4:5], 0x38
	s_mov_b32 s7, 0
	s_waitcnt lgkmcnt(0)
	s_ashr_i32 s0, s16, 31
	v_mov_b32_e32 v2, s16
	v_mov_b32_e32 v3, s0
	v_cmp_ge_i64_e32 vcc, s[6:7], v[2:3]
	s_cbranch_vccnz .LBB133_4
; %bb.1:
	s_load_dwordx8 s[8:15], s[4:5], 0x18
	s_ashr_i32 s0, s18, 31
	s_mul_hi_u32 s1, s18, s6
	s_mul_i32 s0, s0, s6
	s_add_i32 s1, s1, s0
	s_mul_i32 s0, s18, s6
	s_lshl_b64 s[0:1], s[0:1], 1
	s_waitcnt lgkmcnt(0)
	s_add_u32 s0, s8, s0
	s_addc_u32 s1, s9, s1
	s_add_i32 s2, s17, 1
	s_lshr_b32 s3, s2, 31
	s_add_i32 s2, s2, s3
	v_lshlrev_b32_e32 v2, 6, v0
	s_lshl_b32 s2, s2, 1
	v_lshlrev_b32_e32 v1, 4, v0
	v_and_b32_e32 v2, 0xf000, v2
	s_movk_i32 s7, 0x3f0
	s_and_b32 s2, s2, -4
	s_and_b32 s1, s1, 0xffff
	s_mov_b32 s3, 0x20000
	v_and_or_b32 v1, v1, s7, v2
	s_movk_i32 s16, 0x400
	s_and_b32 s21, s13, 0xffff
	s_movk_i32 s13, 0x800
	buffer_load_dwordx4 v[6:9], v1, s[0:3], s16 offen glc slc
	buffer_load_dwordx4 v[18:21], v1, s[0:3], 0 offen glc slc
	s_movk_i32 s7, 0xc00
	buffer_load_dwordx4 v[14:17], v1, s[0:3], s13 offen glc slc
	buffer_load_dwordx4 v[2:5], v1, s[0:3], s7 offen glc slc
	s_ashr_i32 s0, s19, 31
	s_mul_hi_u32 s1, s19, s6
	s_mul_i32 s0, s0, s6
	s_add_i32 s1, s1, s0
	s_mul_i32 s0, s19, s6
	s_lshl_b64 s[0:1], s[0:1], 1
	s_add_u32 s0, s10, s0
	s_addc_u32 s1, s11, s1
	s_and_b32 s1, s1, 0xffff
	buffer_load_dwordx4 v[26:29], v1, s[0:3], s16 offen glc slc
	buffer_load_dwordx4 v[30:33], v1, s[0:3], s13 offen glc slc
	;; [unrolled: 1-line block ×4, first 2 shown]
	s_mov_b32 s23, s3
	s_mov_b32 s20, s12
	s_mov_b32 s22, s2
	s_load_dwordx2 s[18:19], s[4:5], 0x48
	s_load_dwordx4 s[8:11], s[4:5], 0x0
	s_waitcnt lgkmcnt(0)
	s_ashr_i32 s0, s18, 31
	s_mul_hi_u32 s1, s18, s6
	s_mul_i32 s0, s0, s6
	s_add_i32 s1, s1, s0
	s_mul_i32 s0, s18, s6
	s_lshl_b64 s[0:1], s[0:1], 1
	s_add_u32 s0, s10, s0
	s_addc_u32 s1, s11, s1
	s_and_b32 s1, s1, 0xffff
	s_waitcnt vmcnt(7)
	v_cvt_f32_f16_e32 v34, v6
	v_cvt_f32_f16_sdwa v35, v6 dst_sel:DWORD dst_unused:UNUSED_PAD src0_sel:WORD_1
	v_cvt_f32_f16_e32 v36, v7
	v_cvt_f32_f16_sdwa v37, v7 dst_sel:DWORD dst_unused:UNUSED_PAD src0_sel:WORD_1
	;; [unrolled: 2-line block ×4, first 2 shown]
	s_waitcnt vmcnt(5)
	v_cvt_f32_f16_e32 v42, v14
	v_cvt_f32_f16_sdwa v43, v14 dst_sel:DWORD dst_unused:UNUSED_PAD src0_sel:WORD_1
	v_cvt_f32_f16_e32 v44, v15
	v_cvt_f32_f16_sdwa v45, v15 dst_sel:DWORD dst_unused:UNUSED_PAD src0_sel:WORD_1
	s_waitcnt vmcnt(3)
	v_cvt_f32_f16_e32 v50, v26
	v_cvt_f32_f16_sdwa v51, v26 dst_sel:DWORD dst_unused:UNUSED_PAD src0_sel:WORD_1
	v_cvt_f32_f16_e32 v52, v27
	v_cvt_f32_f16_sdwa v53, v27 dst_sel:DWORD dst_unused:UNUSED_PAD src0_sel:WORD_1
	;; [unrolled: 2-line block ×4, first 2 shown]
	s_waitcnt vmcnt(2)
	v_cvt_f32_f16_e32 v58, v30
	v_cvt_f32_f16_sdwa v59, v30 dst_sel:DWORD dst_unused:UNUSED_PAD src0_sel:WORD_1
	v_cvt_f32_f16_e32 v60, v31
	v_cvt_f32_f16_sdwa v61, v31 dst_sel:DWORD dst_unused:UNUSED_PAD src0_sel:WORD_1
	;; [unrolled: 2-line block ×6, first 2 shown]
	buffer_load_dwordx4 v[14:17], v1, s[20:23], 0 offen
	buffer_load_dwordx4 v[6:9], v1, s[20:23], s16 offen
	v_cvt_f32_f16_e32 v66, v2
	v_cvt_f32_f16_sdwa v67, v2 dst_sel:DWORD dst_unused:UNUSED_PAD src0_sel:WORD_1
	v_pk_add_f32 v[26:27], v[34:35], v[50:51]
	v_cvt_f32_f16_e32 v50, v3
	v_cvt_f32_f16_sdwa v51, v3 dst_sel:DWORD dst_unused:UNUSED_PAD src0_sel:WORD_1
	v_pk_add_f32 v[28:29], v[36:37], v[52:53]
	;; [unrolled: 3-line block ×3, first 2 shown]
	s_waitcnt vmcnt(3)
	v_cvt_f32_f16_e32 v54, v10
	v_cvt_f32_f16_sdwa v55, v10 dst_sel:DWORD dst_unused:UNUSED_PAD src0_sel:WORD_1
	v_pk_add_f32 v[32:33], v[40:41], v[56:57]
	v_cvt_f32_f16_e32 v40, v11
	v_cvt_f32_f16_sdwa v41, v11 dst_sel:DWORD dst_unused:UNUSED_PAD src0_sel:WORD_1
	v_pk_add_f32 v[34:35], v[42:43], v[58:59]
	v_cvt_f32_f16_e32 v56, v12
	v_pk_add_f32 v[38:39], v[44:45], v[60:61]
	v_cvt_f32_f16_sdwa v57, v12 dst_sel:DWORD dst_unused:UNUSED_PAD src0_sel:WORD_1
	v_cvt_f32_f16_e32 v44, v5
	v_cvt_f32_f16_sdwa v45, v5 dst_sel:DWORD dst_unused:UNUSED_PAD src0_sel:WORD_1
	v_cvt_f32_f16_e32 v58, v13
	v_cvt_f32_f16_sdwa v59, v13 dst_sel:DWORD dst_unused:UNUSED_PAD src0_sel:WORD_1
	buffer_load_dwordx4 v[10:13], v1, s[20:23], s13 offen
	buffer_load_dwordx4 v[2:5], v1, s[20:23], s7 offen
	v_pk_add_f32 v[42:43], v[50:51], v[40:41]
	v_pk_add_f32 v[40:41], v[52:53], v[56:57]
	v_cvt_f32_f16_e32 v50, v18
	v_cvt_f32_f16_sdwa v51, v18 dst_sel:DWORD dst_unused:UNUSED_PAD src0_sel:WORD_1
	s_waitcnt vmcnt(4)
	v_cvt_f32_f16_e32 v52, v22
	v_cvt_f32_f16_sdwa v53, v22 dst_sel:DWORD dst_unused:UNUSED_PAD src0_sel:WORD_1
	v_pk_add_f32 v[36:37], v[46:47], v[62:63]
	v_pk_add_f32 v[46:47], v[66:67], v[54:55]
	v_cvt_f32_f16_e32 v54, v19
	v_cvt_f32_f16_sdwa v55, v19 dst_sel:DWORD dst_unused:UNUSED_PAD src0_sel:WORD_1
	v_cvt_f32_f16_e32 v22, v23
	v_cvt_f32_f16_sdwa v23, v23 dst_sel:DWORD dst_unused:UNUSED_PAD src0_sel:WORD_1
	v_pk_add_f32 v[18:19], v[50:51], v[52:53]
	v_cvt_f32_f16_e32 v50, v20
	v_cvt_f32_f16_sdwa v51, v20 dst_sel:DWORD dst_unused:UNUSED_PAD src0_sel:WORD_1
	v_cvt_f32_f16_e32 v52, v21
	v_cvt_f32_f16_sdwa v53, v21 dst_sel:DWORD dst_unused:UNUSED_PAD src0_sel:WORD_1
	;; [unrolled: 2-line block ×4, first 2 shown]
	v_pk_add_f32 v[22:23], v[54:55], v[22:23]
	v_pk_add_f32 v[20:21], v[50:51], v[20:21]
	;; [unrolled: 1-line block ×4, first 2 shown]
	v_cvt_f16_f32_e32 v56, v19
	v_cvt_f16_f32_e32 v54, v23
	;; [unrolled: 1-line block ×8, first 2 shown]
	v_pack_b32_f16 v53, v52, v51
	v_pack_b32_f16 v52, v55, v50
	;; [unrolled: 1-line block ×4, first 2 shown]
	buffer_store_dwordx4 v[50:53], v1, s[0:3], 0 offen glc slc
	v_cvt_f16_f32_e32 v54, v33
	v_cvt_f16_f32_e32 v50, v26
	v_cvt_f16_f32_e32 v51, v28
	v_cvt_f16_f32_e32 v52, v30
	v_cvt_f16_f32_e32 v53, v32
	v_cvt_f16_f32_e32 v55, v31
	v_cvt_f16_f32_e32 v56, v29
	v_cvt_f16_f32_e32 v57, v27
	v_pk_add_f32 v[48:49], v[48:49], v[64:65]
	v_pack_b32_f16 v53, v53, v54
	v_pack_b32_f16 v52, v52, v55
	;; [unrolled: 1-line block ×4, first 2 shown]
	;;#ASMSTART
	s_nop 0
	;;#ASMEND
	buffer_store_dwordx4 v[50:53], v1, s[0:3], s16 offen glc slc
	v_cvt_f16_f32_e32 v50, v34
	v_cvt_f16_f32_e32 v51, v38
	;; [unrolled: 1-line block ×8, first 2 shown]
	v_pack_b32_f16 v53, v53, v54
	v_pack_b32_f16 v52, v52, v55
	;; [unrolled: 1-line block ×4, first 2 shown]
	;;#ASMSTART
	s_nop 0
	;;#ASMEND
	buffer_store_dwordx4 v[50:53], v1, s[0:3], s13 offen glc slc
	v_cvt_f16_f32_e32 v50, v46
	v_cvt_f16_f32_e32 v51, v42
	;; [unrolled: 1-line block ×8, first 2 shown]
	v_pack_b32_f16 v53, v53, v54
	v_pack_b32_f16 v52, v52, v55
	;; [unrolled: 1-line block ×4, first 2 shown]
	;;#ASMSTART
	s_nop 0
	;;#ASMEND
	buffer_store_dwordx4 v[50:53], v1, s[0:3], s7 offen glc slc
	v_pk_mul_f32 v[50:51], v[18:19], v[18:19]
	v_pk_mul_f32 v[52:53], v[22:23], v[22:23]
	v_add_f32_e32 v50, v50, v51
	v_add_f32_e32 v50, v52, v50
	v_pk_mul_f32 v[54:55], v[20:21], v[20:21]
	v_add_f32_e32 v52, v53, v50
	v_add_f32_e32 v52, v54, v52
	;; [unrolled: 3-line block ×15, first 2 shown]
	v_add_f32_e32 v50, v55, v50
	v_and_b32_e32 v52, 63, v0
	v_cmp_eq_u32_e32 vcc, 63, v52
	v_mov_b32_dpp v51, v50 quad_perm:[1,0,3,2] row_mask:0xf bank_mask:0xf
	v_add_f32_e32 v50, v50, v51
	;;#ASMSTART
	s_nop 0
	;;#ASMEND
	s_nop 1
	v_mov_b32_dpp v51, v50 quad_perm:[2,3,0,1] row_mask:0xf bank_mask:0xf
	v_add_f32_e32 v50, v50, v51
	s_nop 1
	v_mov_b32_dpp v51, v50 row_half_mirror row_mask:0xf bank_mask:0xf
	v_add_f32_e32 v50, v50, v51
	s_nop 1
	v_mov_b32_dpp v51, v50 row_mirror row_mask:0xf bank_mask:0xf
	v_add_f32_e32 v50, v50, v51
	s_nop 1
	v_mov_b32_dpp v51, v50 row_bcast:15 row_mask:0xf bank_mask:0xf
	v_add_f32_e32 v50, v50, v51
	s_nop 1
	v_mov_b32_dpp v51, v50 row_bcast:31 row_mask:0xf bank_mask:0xf
	s_and_saveexec_b64 s[0:1], vcc
	s_cbranch_execz .LBB133_3
; %bb.2:
	v_lshrrev_b32_e32 v52, 4, v0
	v_and_b32_e32 v52, 60, v52
	v_add_f32_e32 v50, v50, v51
	ds_write_b32 v52, v50
.LBB133_3:
	s_or_b64 exec, exec, s[0:1]
	v_and_b32_e32 v0, 3, v0
	v_lshlrev_b32_e32 v0, 2, v0
	s_waitcnt lgkmcnt(0)
	s_barrier
	ds_read_b32 v0, v0
	s_ashr_i32 s4, s19, 31
	s_mul_hi_u32 s5, s19, s6
	s_mul_i32 s4, s4, s6
	s_waitcnt lgkmcnt(0)
	v_mov_b32_dpp v50, v0 quad_perm:[1,0,3,2] row_mask:0xf bank_mask:0xf
	v_add_f32_e32 v0, v0, v50
	v_cvt_f32_i32_e32 v50, s17
	s_nop 0
	v_mov_b32_dpp v51, v0 quad_perm:[2,3,0,1] row_mask:0xf bank_mask:0xf
	v_add_f32_e32 v0, v0, v51
	v_div_scale_f32 v51, s[0:1], v50, v50, v0
	v_rcp_f32_e32 v52, v51
	s_add_i32 s1, s5, s4
	s_mov_b32 s4, 0x800000
	s_mul_i32 s0, s19, s6
	v_fma_f32 v53, -v51, v52, 1.0
	v_fmac_f32_e32 v52, v53, v52
	v_div_scale_f32 v53, vcc, v0, v50, v0
	v_mul_f32_e32 v54, v53, v52
	v_fma_f32 v55, -v51, v54, v53
	v_fmac_f32_e32 v54, v55, v52
	v_fma_f32 v51, -v51, v54, v53
	v_div_fmas_f32 v51, v51, v52, v54
	v_div_fixup_f32 v0, v51, v50, v0
	v_cvt_f64_f32_e32 v[50:51], v0
	v_add_f64 v[50:51], v[50:51], s[14:15]
	v_cvt_f32_f64_e32 v0, v[50:51]
	v_mul_f32_e32 v50, 0x4b800000, v0
	v_cmp_gt_f32_e32 vcc, s4, v0
	v_cndmask_b32_e32 v0, v0, v50, vcc
	v_rsq_f32_e32 v0, v0
	s_waitcnt vmcnt(7)
	v_cvt_f32_f16_sdwa v53, v15 dst_sel:DWORD dst_unused:UNUSED_PAD src0_sel:WORD_1
	v_cvt_f32_f16_e32 v52, v15
	v_cvt_f32_f16_sdwa v15, v16 dst_sel:DWORD dst_unused:UNUSED_PAD src0_sel:WORD_1
	v_mul_f32_e32 v50, 0x45800000, v0
	v_cndmask_b32_e32 v50, v0, v50, vcc
	v_mov_b32_e32 v51, v50
	;;#ASMSTART
	v_pk_mul_f32 v[18:19], v[18:19], v[50:51]
	;;#ASMEND
	;;#ASMSTART
	v_pk_mul_f32 v[22:23], v[22:23], v[50:51]
	;;#ASMEND
	;; [unrolled: 3-line block ×16, first 2 shown]
	v_cvt_f32_f16_sdwa v51, v14 dst_sel:DWORD dst_unused:UNUSED_PAD src0_sel:WORD_1
	v_cvt_f32_f16_e32 v50, v14
	v_cvt_f32_f16_e32 v14, v16
	v_cvt_f32_f16_sdwa v55, v17 dst_sel:DWORD dst_unused:UNUSED_PAD src0_sel:WORD_1
	v_cvt_f32_f16_e32 v54, v17
	;;#ASMSTART
	v_pk_mul_f32 v[16:17], v[18:19], v[50:51]
	;;#ASMEND
	;;#ASMSTART
	v_pk_mul_f32 v[18:19], v[22:23], v[52:53]
	;;#ASMEND
	;;#ASMSTART
	v_pk_mul_f32 v[14:15], v[20:21], v[14:15]
	;;#ASMEND
	;;#ASMSTART
	v_pk_mul_f32 v[20:21], v[24:25], v[54:55]
	;;#ASMEND
	s_waitcnt vmcnt(6)
	v_cvt_f32_f16_sdwa v23, v6 dst_sel:DWORD dst_unused:UNUSED_PAD src0_sel:WORD_1
	v_cvt_f32_f16_e32 v22, v6
	v_cvt_f32_f16_sdwa v25, v7 dst_sel:DWORD dst_unused:UNUSED_PAD src0_sel:WORD_1
	v_cvt_f32_f16_e32 v24, v7
	;; [unrolled: 2-line block ×4, first 2 shown]
	;;#ASMSTART
	v_pk_mul_f32 v[8:9], v[26:27], v[22:23]
	;;#ASMEND
	;;#ASMSTART
	v_pk_mul_f32 v[22:23], v[28:29], v[24:25]
	;;#ASMEND
	;;#ASMSTART
	v_pk_mul_f32 v[6:7], v[30:31], v[6:7]
	;;#ASMEND
	s_waitcnt vmcnt(5)
	v_cvt_f32_f16_sdwa v27, v10 dst_sel:DWORD dst_unused:UNUSED_PAD src0_sel:WORD_1
	v_cvt_f32_f16_e32 v26, v10
	v_cvt_f32_f16_sdwa v29, v11 dst_sel:DWORD dst_unused:UNUSED_PAD src0_sel:WORD_1
	v_cvt_f32_f16_e32 v28, v11
	;; [unrolled: 2-line block ×4, first 2 shown]
	;;#ASMSTART
	v_pk_mul_f32 v[24:25], v[32:33], v[50:51]
	;;#ASMEND
	;;#ASMSTART
	v_pk_mul_f32 v[12:13], v[34:35], v[26:27]
	;;#ASMEND
	;; [unrolled: 3-line block ×5, first 2 shown]
	s_waitcnt vmcnt(4)
	v_cvt_f32_f16_sdwa v31, v2 dst_sel:DWORD dst_unused:UNUSED_PAD src0_sel:WORD_1
	v_cvt_f32_f16_e32 v30, v2
	v_cvt_f32_f16_sdwa v33, v3 dst_sel:DWORD dst_unused:UNUSED_PAD src0_sel:WORD_1
	v_cvt_f32_f16_e32 v32, v3
	;; [unrolled: 2-line block ×4, first 2 shown]
	;;#ASMSTART
	v_pk_mul_f32 v[30:31], v[46:47], v[30:31]
	;;#ASMEND
	;;#ASMSTART
	v_pk_mul_f32 v[32:33], v[42:43], v[32:33]
	;;#ASMEND
	;; [unrolled: 3-line block ×3, first 2 shown]
	v_cvt_f16_f32_e32 v0, v16
	v_cvt_f16_f32_e32 v2, v17
	v_cvt_f16_f32_e32 v3, v18
	v_cvt_f16_f32_e32 v4, v19
	v_cvt_f16_f32_e32 v5, v14
	v_cvt_f16_f32_e32 v14, v15
	v_cvt_f16_f32_e32 v15, v20
	v_cvt_f16_f32_e32 v16, v21
	s_lshl_b64 s[0:1], s[0:1], 1
	s_add_u32 s0, s8, s0
	s_addc_u32 s1, s9, s1
	s_and_b32 s1, s1, 0xffff
	v_pack_b32_f16 v2, v0, v2
	v_pack_b32_f16 v3, v3, v4
	;; [unrolled: 1-line block ×4, first 2 shown]
	;;#ASMSTART
	v_pk_mul_f32 v[34:35], v[44:45], v[34:35]
	;;#ASMEND
	buffer_store_dwordx4 v[2:5], v1, s[0:3], 0 offen
	v_cvt_f16_f32_e32 v0, v8
	v_cvt_f16_f32_e32 v2, v9
	v_cvt_f16_f32_e32 v3, v22
	v_cvt_f16_f32_e32 v4, v23
	v_cvt_f16_f32_e32 v5, v6
	v_cvt_f16_f32_e32 v6, v7
	v_cvt_f16_f32_e32 v7, v24
	v_cvt_f16_f32_e32 v8, v25
	v_pack_b32_f16 v2, v0, v2
	v_pack_b32_f16 v3, v3, v4
	v_pack_b32_f16 v4, v5, v6
	v_pack_b32_f16 v5, v7, v8
	;;#ASMSTART
	s_nop 0
	;;#ASMEND
	buffer_store_dwordx4 v[2:5], v1, s[0:3], s16 offen
	v_cvt_f16_f32_e32 v0, v12
	v_cvt_f16_f32_e32 v2, v13
	v_cvt_f16_f32_e32 v3, v26
	v_cvt_f16_f32_e32 v4, v27
	v_cvt_f16_f32_e32 v5, v10
	v_cvt_f16_f32_e32 v6, v11
	v_cvt_f16_f32_e32 v7, v28
	v_cvt_f16_f32_e32 v8, v29
	v_pack_b32_f16 v2, v0, v2
	v_pack_b32_f16 v3, v3, v4
	v_pack_b32_f16 v4, v5, v6
	v_pack_b32_f16 v5, v7, v8
	;;#ASMSTART
	s_nop 0
	;;#ASMEND
	buffer_store_dwordx4 v[2:5], v1, s[0:3], s13 offen
	v_cvt_f16_f32_e32 v0, v30
	v_cvt_f16_f32_e32 v2, v31
	v_cvt_f16_f32_e32 v3, v32
	v_cvt_f16_f32_e32 v4, v33
	v_cvt_f16_f32_e32 v5, v36
	v_cvt_f16_f32_e32 v6, v37
	v_cvt_f16_f32_e32 v7, v34
	v_cvt_f16_f32_e32 v8, v35
	v_pack_b32_f16 v2, v0, v2
	v_pack_b32_f16 v3, v3, v4
	v_pack_b32_f16 v4, v5, v6
	v_pack_b32_f16 v5, v7, v8
	;;#ASMSTART
	s_nop 0
	;;#ASMEND
	buffer_store_dwordx4 v[2:5], v1, s[0:3], s7 offen
	;;#ASMSTART
	s_nop 0
	;;#ASMEND
.LBB133_4:
	s_endpgm
	.section	.rodata,"a",@progbits
	.p2align	6, 0x0
	.amdhsa_kernel _ZN5aiter24add_rmsnorm_quant_kernelIDF16_DF16_Li256ELi32ELb1ELb0ELb1ELi1EEEvPT0_PT_PfS4_S4_S4_diiiiiiib
		.amdhsa_group_segment_fixed_size 16
		.amdhsa_private_segment_fixed_size 0
		.amdhsa_kernarg_size 88
		.amdhsa_user_sgpr_count 6
		.amdhsa_user_sgpr_private_segment_buffer 1
		.amdhsa_user_sgpr_dispatch_ptr 0
		.amdhsa_user_sgpr_queue_ptr 0
		.amdhsa_user_sgpr_kernarg_segment_ptr 1
		.amdhsa_user_sgpr_dispatch_id 0
		.amdhsa_user_sgpr_flat_scratch_init 0
		.amdhsa_user_sgpr_kernarg_preload_length 0
		.amdhsa_user_sgpr_kernarg_preload_offset 0
		.amdhsa_user_sgpr_private_segment_size 0
		.amdhsa_uses_dynamic_stack 0
		.amdhsa_system_sgpr_private_segment_wavefront_offset 0
		.amdhsa_system_sgpr_workgroup_id_x 1
		.amdhsa_system_sgpr_workgroup_id_y 0
		.amdhsa_system_sgpr_workgroup_id_z 0
		.amdhsa_system_sgpr_workgroup_info 0
		.amdhsa_system_vgpr_workitem_id 0
		.amdhsa_next_free_vgpr 68
		.amdhsa_next_free_sgpr 24
		.amdhsa_accum_offset 68
		.amdhsa_reserve_vcc 1
		.amdhsa_reserve_flat_scratch 0
		.amdhsa_float_round_mode_32 0
		.amdhsa_float_round_mode_16_64 0
		.amdhsa_float_denorm_mode_32 3
		.amdhsa_float_denorm_mode_16_64 3
		.amdhsa_dx10_clamp 1
		.amdhsa_ieee_mode 1
		.amdhsa_fp16_overflow 0
		.amdhsa_tg_split 0
		.amdhsa_exception_fp_ieee_invalid_op 0
		.amdhsa_exception_fp_denorm_src 0
		.amdhsa_exception_fp_ieee_div_zero 0
		.amdhsa_exception_fp_ieee_overflow 0
		.amdhsa_exception_fp_ieee_underflow 0
		.amdhsa_exception_fp_ieee_inexact 0
		.amdhsa_exception_int_div_zero 0
	.end_amdhsa_kernel
	.section	.text._ZN5aiter24add_rmsnorm_quant_kernelIDF16_DF16_Li256ELi32ELb1ELb0ELb1ELi1EEEvPT0_PT_PfS4_S4_S4_diiiiiiib,"axG",@progbits,_ZN5aiter24add_rmsnorm_quant_kernelIDF16_DF16_Li256ELi32ELb1ELb0ELb1ELi1EEEvPT0_PT_PfS4_S4_S4_diiiiiiib,comdat
.Lfunc_end133:
	.size	_ZN5aiter24add_rmsnorm_quant_kernelIDF16_DF16_Li256ELi32ELb1ELb0ELb1ELi1EEEvPT0_PT_PfS4_S4_S4_diiiiiiib, .Lfunc_end133-_ZN5aiter24add_rmsnorm_quant_kernelIDF16_DF16_Li256ELi32ELb1ELb0ELb1ELi1EEEvPT0_PT_PfS4_S4_S4_diiiiiiib
                                        ; -- End function
	.section	.AMDGPU.csdata,"",@progbits
; Kernel info:
; codeLenInByte = 2628
; NumSgprs: 28
; NumVgprs: 68
; NumAgprs: 0
; TotalNumVgprs: 68
; ScratchSize: 0
; MemoryBound: 0
; FloatMode: 240
; IeeeMode: 1
; LDSByteSize: 16 bytes/workgroup (compile time only)
; SGPRBlocks: 3
; VGPRBlocks: 8
; NumSGPRsForWavesPerEU: 28
; NumVGPRsForWavesPerEU: 68
; AccumOffset: 68
; Occupancy: 7
; WaveLimiterHint : 0
; COMPUTE_PGM_RSRC2:SCRATCH_EN: 0
; COMPUTE_PGM_RSRC2:USER_SGPR: 6
; COMPUTE_PGM_RSRC2:TRAP_HANDLER: 0
; COMPUTE_PGM_RSRC2:TGID_X_EN: 1
; COMPUTE_PGM_RSRC2:TGID_Y_EN: 0
; COMPUTE_PGM_RSRC2:TGID_Z_EN: 0
; COMPUTE_PGM_RSRC2:TIDIG_COMP_CNT: 0
; COMPUTE_PGM_RSRC3_GFX90A:ACCUM_OFFSET: 16
; COMPUTE_PGM_RSRC3_GFX90A:TG_SPLIT: 0
	.section	.text._ZN5aiter24add_rmsnorm_quant_kernelIttLi256ELi32ELb1ELb0ELb1ELi1EEEvPT0_PT_PfS4_S4_S4_diiiiiiib,"axG",@progbits,_ZN5aiter24add_rmsnorm_quant_kernelIttLi256ELi32ELb1ELb0ELb1ELi1EEEvPT0_PT_PfS4_S4_S4_diiiiiiib,comdat
	.protected	_ZN5aiter24add_rmsnorm_quant_kernelIttLi256ELi32ELb1ELb0ELb1ELi1EEEvPT0_PT_PfS4_S4_S4_diiiiiiib ; -- Begin function _ZN5aiter24add_rmsnorm_quant_kernelIttLi256ELi32ELb1ELb0ELb1ELi1EEEvPT0_PT_PfS4_S4_S4_diiiiiiib
	.globl	_ZN5aiter24add_rmsnorm_quant_kernelIttLi256ELi32ELb1ELb0ELb1ELi1EEEvPT0_PT_PfS4_S4_S4_diiiiiiib
	.p2align	8
	.type	_ZN5aiter24add_rmsnorm_quant_kernelIttLi256ELi32ELb1ELb0ELb1ELi1EEEvPT0_PT_PfS4_S4_S4_diiiiiiib,@function
_ZN5aiter24add_rmsnorm_quant_kernelIttLi256ELi32ELb1ELb0ELb1ELi1EEEvPT0_PT_PfS4_S4_S4_diiiiiiib: ; @_ZN5aiter24add_rmsnorm_quant_kernelIttLi256ELi32ELb1ELb0ELb1ELi1EEEvPT0_PT_PfS4_S4_S4_diiiiiiib
; %bb.0:
	s_load_dwordx4 s[16:19], s[4:5], 0x38
	s_mov_b32 s7, 0
	s_waitcnt lgkmcnt(0)
	s_ashr_i32 s0, s16, 31
	v_mov_b32_e32 v2, s16
	v_mov_b32_e32 v3, s0
	v_cmp_ge_i64_e32 vcc, s[6:7], v[2:3]
	s_cbranch_vccnz .LBB134_4
; %bb.1:
	s_load_dwordx8 s[8:15], s[4:5], 0x18
	s_ashr_i32 s0, s18, 31
	s_mul_hi_u32 s1, s18, s6
	s_mul_i32 s0, s0, s6
	s_add_i32 s1, s1, s0
	s_mul_i32 s0, s18, s6
	s_lshl_b64 s[0:1], s[0:1], 1
	s_waitcnt lgkmcnt(0)
	s_add_u32 s0, s8, s0
	s_addc_u32 s1, s9, s1
	s_add_i32 s2, s17, 1
	s_lshr_b32 s3, s2, 31
	s_add_i32 s2, s2, s3
	v_lshlrev_b32_e32 v2, 6, v0
	s_lshl_b32 s2, s2, 1
	v_lshlrev_b32_e32 v1, 4, v0
	v_and_b32_e32 v2, 0xf000, v2
	s_movk_i32 s7, 0x3f0
	s_and_b32 s2, s2, -4
	s_and_b32 s1, s1, 0xffff
	s_mov_b32 s3, 0x20000
	v_and_or_b32 v1, v1, s7, v2
	s_movk_i32 s16, 0x400
	s_and_b32 s21, s13, 0xffff
	s_movk_i32 s13, 0x800
	buffer_load_dwordx4 v[2:5], v1, s[0:3], s16 offen glc slc
	buffer_load_dwordx4 v[10:13], v1, s[0:3], 0 offen glc slc
	s_movk_i32 s7, 0xc00
	buffer_load_dwordx4 v[6:9], v1, s[0:3], s13 offen glc slc
	buffer_load_dwordx4 v[18:21], v1, s[0:3], s7 offen glc slc
	s_ashr_i32 s0, s19, 31
	s_mul_hi_u32 s1, s19, s6
	s_mul_i32 s0, s0, s6
	s_add_i32 s1, s1, s0
	s_mul_i32 s0, s19, s6
	s_lshl_b64 s[0:1], s[0:1], 1
	s_add_u32 s0, s10, s0
	s_addc_u32 s1, s11, s1
	s_and_b32 s1, s1, 0xffff
	buffer_load_dwordx4 v[26:29], v1, s[0:3], s16 offen glc slc
	buffer_load_dwordx4 v[30:33], v1, s[0:3], s13 offen glc slc
	;; [unrolled: 1-line block ×4, first 2 shown]
	s_mov_b32 s23, s3
	s_mov_b32 s20, s12
	;; [unrolled: 1-line block ×3, first 2 shown]
	s_load_dwordx2 s[18:19], s[4:5], 0x48
	s_load_dwordx4 s[8:11], s[4:5], 0x0
	s_mov_b32 s4, 0x7060302
	s_waitcnt lgkmcnt(0)
	s_ashr_i32 s0, s18, 31
	s_mul_hi_u32 s1, s18, s6
	s_mul_i32 s0, s0, s6
	s_add_i32 s1, s1, s0
	s_mul_i32 s0, s18, s6
	s_lshl_b64 s[0:1], s[0:1], 1
	s_add_u32 s0, s10, s0
	s_addc_u32 s1, s11, s1
	s_and_b32 s1, s1, 0xffff
	s_waitcnt vmcnt(7)
	v_cvt_f32_u32_sdwa v35, v2 dst_sel:DWORD dst_unused:UNUSED_PAD src0_sel:WORD_1
	v_cvt_f32_u32_sdwa v34, v2 dst_sel:DWORD dst_unused:UNUSED_PAD src0_sel:WORD_0
	v_cvt_f32_u32_sdwa v37, v3 dst_sel:DWORD dst_unused:UNUSED_PAD src0_sel:WORD_1
	v_cvt_f32_u32_sdwa v36, v3 dst_sel:DWORD dst_unused:UNUSED_PAD src0_sel:WORD_0
	;; [unrolled: 2-line block ×4, first 2 shown]
	s_waitcnt vmcnt(5)
	v_cvt_f32_u32_sdwa v43, v6 dst_sel:DWORD dst_unused:UNUSED_PAD src0_sel:WORD_1
	v_cvt_f32_u32_sdwa v42, v6 dst_sel:DWORD dst_unused:UNUSED_PAD src0_sel:WORD_0
	s_waitcnt vmcnt(3)
	v_cvt_f32_u32_sdwa v51, v26 dst_sel:DWORD dst_unused:UNUSED_PAD src0_sel:WORD_1
	v_cvt_f32_u32_sdwa v50, v26 dst_sel:DWORD dst_unused:UNUSED_PAD src0_sel:WORD_0
	v_cvt_f32_u32_sdwa v53, v27 dst_sel:DWORD dst_unused:UNUSED_PAD src0_sel:WORD_1
	v_cvt_f32_u32_sdwa v52, v27 dst_sel:DWORD dst_unused:UNUSED_PAD src0_sel:WORD_0
	;; [unrolled: 2-line block ×6, first 2 shown]
	s_waitcnt vmcnt(2)
	v_cvt_f32_u32_sdwa v59, v30 dst_sel:DWORD dst_unused:UNUSED_PAD src0_sel:WORD_1
	v_cvt_f32_u32_sdwa v58, v30 dst_sel:DWORD dst_unused:UNUSED_PAD src0_sel:WORD_0
	v_cvt_f32_u32_sdwa v61, v31 dst_sel:DWORD dst_unused:UNUSED_PAD src0_sel:WORD_1
	v_cvt_f32_u32_sdwa v60, v31 dst_sel:DWORD dst_unused:UNUSED_PAD src0_sel:WORD_0
	;; [unrolled: 2-line block ×4, first 2 shown]
	v_pk_add_f32 v[26:27], v[34:35], v[50:51]
	v_cvt_f32_u32_sdwa v51, v19 dst_sel:DWORD dst_unused:UNUSED_PAD src0_sel:WORD_1
	v_cvt_f32_u32_sdwa v50, v19 dst_sel:DWORD dst_unused:UNUSED_PAD src0_sel:WORD_0
	v_pk_add_f32 v[18:19], v[36:37], v[52:53]
	v_cvt_f32_u32_sdwa v37, v20 dst_sel:DWORD dst_unused:UNUSED_PAD src0_sel:WORD_1
	v_cvt_f32_u32_sdwa v36, v20 dst_sel:DWORD dst_unused:UNUSED_PAD src0_sel:WORD_0
	v_pk_add_f32 v[28:29], v[38:39], v[54:55]
	s_waitcnt vmcnt(1)
	v_cvt_f32_u32_sdwa v53, v23 dst_sel:DWORD dst_unused:UNUSED_PAD src0_sel:WORD_1
	v_cvt_f32_u32_sdwa v52, v23 dst_sel:DWORD dst_unused:UNUSED_PAD src0_sel:WORD_0
	v_cvt_f32_u32_sdwa v55, v24 dst_sel:DWORD dst_unused:UNUSED_PAD src0_sel:WORD_1
	v_cvt_f32_u32_sdwa v54, v24 dst_sel:DWORD dst_unused:UNUSED_PAD src0_sel:WORD_0
	;; [unrolled: 2-line block ×4, first 2 shown]
	buffer_load_dwordx4 v[6:9], v1, s[20:23], 0 offen
	buffer_load_dwordx4 v[2:5], v1, s[20:23], s16 offen
	v_cvt_f32_u32_sdwa v35, v22 dst_sel:DWORD dst_unused:UNUSED_PAD src0_sel:WORD_1
	v_cvt_f32_u32_sdwa v34, v22 dst_sel:DWORD dst_unused:UNUSED_PAD src0_sel:WORD_0
	v_pk_add_f32 v[30:31], v[40:41], v[56:57]
	v_pk_add_f32 v[32:33], v[42:43], v[58:59]
	;; [unrolled: 1-line block ×6, first 2 shown]
	v_cvt_f32_u32_sdwa v45, v21 dst_sel:DWORD dst_unused:UNUSED_PAD src0_sel:WORD_1
	v_cvt_f32_u32_sdwa v44, v21 dst_sel:DWORD dst_unused:UNUSED_PAD src0_sel:WORD_0
	v_cvt_f32_u32_sdwa v21, v25 dst_sel:DWORD dst_unused:UNUSED_PAD src0_sel:WORD_1
	v_cvt_f32_u32_sdwa v20, v25 dst_sel:DWORD dst_unused:UNUSED_PAD src0_sel:WORD_0
	;; [unrolled: 2-line block ×3, first 2 shown]
	s_waitcnt vmcnt(2)
	v_cvt_f32_u32_sdwa v47, v14 dst_sel:DWORD dst_unused:UNUSED_PAD src0_sel:WORD_1
	v_cvt_f32_u32_sdwa v46, v14 dst_sel:DWORD dst_unused:UNUSED_PAD src0_sel:WORD_0
	v_cvt_f32_u32_sdwa v51, v11 dst_sel:DWORD dst_unused:UNUSED_PAD src0_sel:WORD_1
	v_cvt_f32_u32_sdwa v50, v11 dst_sel:DWORD dst_unused:UNUSED_PAD src0_sel:WORD_0
	;; [unrolled: 2-line block ×7, first 2 shown]
	buffer_load_dwordx4 v[14:17], v1, s[20:23], s13 offen
	buffer_load_dwordx4 v[10:13], v1, s[20:23], s7 offen
	v_pk_add_f32 v[40:41], v[48:49], v[64:65]
	v_pk_add_f32 v[20:21], v[44:45], v[20:21]
	;; [unrolled: 1-line block ×6, first 2 shown]
	v_perm_b32 v53, v47, v46, s4
	v_perm_b32 v52, v25, v24, s4
	;; [unrolled: 1-line block ×4, first 2 shown]
	buffer_store_dwordx4 v[50:53], v1, s[0:3], 0 offen glc slc
	v_pk_add_f32 v[34:35], v[66:67], v[34:35]
	v_perm_b32 v53, v31, v30, s4
	v_perm_b32 v52, v29, v28, s4
	v_perm_b32 v51, v19, v18, s4
	v_perm_b32 v50, v27, v26, s4
	;;#ASMSTART
	s_nop 0
	;;#ASMEND
	buffer_store_dwordx4 v[50:53], v1, s[0:3], s16 offen glc slc
	v_perm_b32 v53, v41, v40, s4
	v_perm_b32 v52, v39, v38, s4
	v_perm_b32 v51, v43, v42, s4
	v_perm_b32 v50, v33, v32, s4
	;;#ASMSTART
	s_nop 0
	;;#ASMEND
	buffer_store_dwordx4 v[50:53], v1, s[0:3], s13 offen glc slc
	;; [unrolled: 8-line block ×3, first 2 shown]
	v_pk_mul_f32 v[50:51], v[48:49], v[48:49]
	v_pk_mul_f32 v[52:53], v[44:45], v[44:45]
	v_add_f32_e32 v50, v50, v51
	v_add_f32_e32 v50, v52, v50
	v_pk_mul_f32 v[54:55], v[24:25], v[24:25]
	v_add_f32_e32 v52, v53, v50
	v_add_f32_e32 v52, v54, v52
	;; [unrolled: 3-line block ×15, first 2 shown]
	v_add_f32_e32 v50, v55, v50
	v_and_b32_e32 v52, 63, v0
	v_cmp_eq_u32_e32 vcc, 63, v52
	v_mov_b32_dpp v51, v50 quad_perm:[1,0,3,2] row_mask:0xf bank_mask:0xf
	v_add_f32_e32 v50, v50, v51
	;;#ASMSTART
	s_nop 0
	;;#ASMEND
	s_nop 1
	v_mov_b32_dpp v51, v50 quad_perm:[2,3,0,1] row_mask:0xf bank_mask:0xf
	v_add_f32_e32 v50, v50, v51
	s_nop 1
	v_mov_b32_dpp v51, v50 row_half_mirror row_mask:0xf bank_mask:0xf
	v_add_f32_e32 v50, v50, v51
	s_nop 1
	v_mov_b32_dpp v51, v50 row_mirror row_mask:0xf bank_mask:0xf
	v_add_f32_e32 v50, v50, v51
	s_nop 1
	v_mov_b32_dpp v51, v50 row_bcast:15 row_mask:0xf bank_mask:0xf
	v_add_f32_e32 v50, v50, v51
	s_nop 1
	v_mov_b32_dpp v51, v50 row_bcast:31 row_mask:0xf bank_mask:0xf
	s_and_saveexec_b64 s[0:1], vcc
	s_cbranch_execz .LBB134_3
; %bb.2:
	v_lshrrev_b32_e32 v52, 4, v0
	v_and_b32_e32 v52, 60, v52
	v_add_f32_e32 v50, v50, v51
	ds_write_b32 v52, v50
.LBB134_3:
	s_or_b64 exec, exec, s[0:1]
	v_and_b32_e32 v0, 3, v0
	v_lshlrev_b32_e32 v0, 2, v0
	s_waitcnt lgkmcnt(0)
	s_barrier
	ds_read_b32 v0, v0
	s_ashr_i32 s5, s19, 31
	s_mul_hi_u32 s10, s19, s6
	s_mul_i32 s5, s5, s6
	s_waitcnt lgkmcnt(0)
	v_mov_b32_dpp v50, v0 quad_perm:[1,0,3,2] row_mask:0xf bank_mask:0xf
	v_add_f32_e32 v0, v0, v50
	v_cvt_f32_i32_e32 v50, s17
	s_nop 0
	v_mov_b32_dpp v51, v0 quad_perm:[2,3,0,1] row_mask:0xf bank_mask:0xf
	v_add_f32_e32 v0, v0, v51
	v_div_scale_f32 v51, s[0:1], v50, v50, v0
	v_rcp_f32_e32 v52, v51
	s_add_i32 s1, s10, s5
	s_mov_b32 s5, 0x800000
	s_mul_i32 s0, s19, s6
	v_fma_f32 v53, -v51, v52, 1.0
	v_fmac_f32_e32 v52, v53, v52
	v_div_scale_f32 v53, vcc, v0, v50, v0
	v_mul_f32_e32 v54, v53, v52
	v_fma_f32 v55, -v51, v54, v53
	v_fmac_f32_e32 v54, v55, v52
	v_fma_f32 v51, -v51, v54, v53
	v_div_fmas_f32 v51, v51, v52, v54
	v_div_fixup_f32 v0, v51, v50, v0
	v_cvt_f64_f32_e32 v[50:51], v0
	v_add_f64 v[50:51], v[50:51], s[14:15]
	v_cvt_f32_f64_e32 v0, v[50:51]
	v_mul_f32_e32 v50, 0x4b800000, v0
	v_cmp_gt_f32_e32 vcc, s5, v0
	v_cndmask_b32_e32 v0, v0, v50, vcc
	v_rsq_f32_e32 v0, v0
	s_waitcnt vmcnt(7)
	v_cvt_f32_u32_sdwa v53, v7 dst_sel:DWORD dst_unused:UNUSED_PAD src0_sel:WORD_1
	v_cvt_f32_u32_sdwa v52, v7 dst_sel:DWORD dst_unused:UNUSED_PAD src0_sel:WORD_0
	v_cvt_f32_u32_sdwa v7, v8 dst_sel:DWORD dst_unused:UNUSED_PAD src0_sel:WORD_1
	v_mul_f32_e32 v50, 0x45800000, v0
	v_cndmask_b32_e32 v50, v0, v50, vcc
	v_mov_b32_e32 v51, v50
	;;#ASMSTART
	v_pk_mul_f32 v[48:49], v[48:49], v[50:51]
	;;#ASMEND
	;;#ASMSTART
	v_pk_mul_f32 v[44:45], v[44:45], v[50:51]
	;;#ASMEND
	;; [unrolled: 3-line block ×16, first 2 shown]
	v_cvt_f32_u32_sdwa v51, v6 dst_sel:DWORD dst_unused:UNUSED_PAD src0_sel:WORD_1
	v_cvt_f32_u32_sdwa v50, v6 dst_sel:DWORD dst_unused:UNUSED_PAD src0_sel:WORD_0
	v_cvt_f32_u32_sdwa v6, v8 dst_sel:DWORD dst_unused:UNUSED_PAD src0_sel:WORD_0
	s_lshl_b64 s[0:1], s[0:1], 1
	v_cvt_f32_u32_sdwa v55, v9 dst_sel:DWORD dst_unused:UNUSED_PAD src0_sel:WORD_1
	v_cvt_f32_u32_sdwa v54, v9 dst_sel:DWORD dst_unused:UNUSED_PAD src0_sel:WORD_0
	;;#ASMSTART
	v_pk_mul_f32 v[8:9], v[48:49], v[50:51]
	;;#ASMEND
	;;#ASMSTART
	v_pk_mul_f32 v[44:45], v[44:45], v[52:53]
	;;#ASMEND
	;; [unrolled: 3-line block ×4, first 2 shown]
	s_waitcnt vmcnt(6)
	v_cvt_f32_u32_sdwa v47, v2 dst_sel:DWORD dst_unused:UNUSED_PAD src0_sel:WORD_1
	v_cvt_f32_u32_sdwa v46, v2 dst_sel:DWORD dst_unused:UNUSED_PAD src0_sel:WORD_0
	v_cvt_f32_u32_sdwa v49, v3 dst_sel:DWORD dst_unused:UNUSED_PAD src0_sel:WORD_1
	v_cvt_f32_u32_sdwa v48, v3 dst_sel:DWORD dst_unused:UNUSED_PAD src0_sel:WORD_0
	;; [unrolled: 2-line block ×3, first 2 shown]
	s_add_u32 s0, s8, s0
	v_cvt_f32_u32_sdwa v51, v5 dst_sel:DWORD dst_unused:UNUSED_PAD src0_sel:WORD_1
	v_cvt_f32_u32_sdwa v50, v5 dst_sel:DWORD dst_unused:UNUSED_PAD src0_sel:WORD_0
	;;#ASMSTART
	v_pk_mul_f32 v[26:27], v[26:27], v[46:47]
	;;#ASMEND
	;;#ASMSTART
	v_pk_mul_f32 v[18:19], v[18:19], v[48:49]
	;;#ASMEND
	;;#ASMSTART
	v_pk_mul_f32 v[28:29], v[28:29], v[2:3]
	;;#ASMEND
	s_waitcnt vmcnt(5)
	v_cvt_f32_u32_sdwa v3, v14 dst_sel:DWORD dst_unused:UNUSED_PAD src0_sel:WORD_1
	v_cvt_f32_u32_sdwa v2, v14 dst_sel:DWORD dst_unused:UNUSED_PAD src0_sel:WORD_0
	v_cvt_f32_u32_sdwa v5, v15 dst_sel:DWORD dst_unused:UNUSED_PAD src0_sel:WORD_1
	v_cvt_f32_u32_sdwa v4, v15 dst_sel:DWORD dst_unused:UNUSED_PAD src0_sel:WORD_0
	s_addc_u32 s1, s9, s1
	;;#ASMSTART
	v_pk_mul_f32 v[30:31], v[30:31], v[50:51]
	;;#ASMEND
	v_cvt_f32_u32_sdwa v15, v16 dst_sel:DWORD dst_unused:UNUSED_PAD src0_sel:WORD_1
	v_cvt_f32_u32_sdwa v14, v16 dst_sel:DWORD dst_unused:UNUSED_PAD src0_sel:WORD_0
	v_cvt_f32_u32_sdwa v47, v17 dst_sel:DWORD dst_unused:UNUSED_PAD src0_sel:WORD_1
	v_cvt_f32_u32_sdwa v46, v17 dst_sel:DWORD dst_unused:UNUSED_PAD src0_sel:WORD_0
	;;#ASMSTART
	v_pk_mul_f32 v[16:17], v[32:33], v[2:3]
	;;#ASMEND
	;;#ASMSTART
	v_pk_mul_f32 v[32:33], v[42:43], v[4:5]
	;;#ASMEND
	s_waitcnt vmcnt(4)
	v_cvt_f32_u32_sdwa v3, v10 dst_sel:DWORD dst_unused:UNUSED_PAD src0_sel:WORD_1
	v_cvt_f32_u32_sdwa v2, v10 dst_sel:DWORD dst_unused:UNUSED_PAD src0_sel:WORD_0
	v_cvt_f32_u32_sdwa v5, v11 dst_sel:DWORD dst_unused:UNUSED_PAD src0_sel:WORD_1
	v_cvt_f32_u32_sdwa v4, v11 dst_sel:DWORD dst_unused:UNUSED_PAD src0_sel:WORD_0
	;;#ASMSTART
	v_pk_mul_f32 v[14:15], v[38:39], v[14:15]
	;;#ASMEND
	;;#ASMSTART
	v_pk_mul_f32 v[38:39], v[40:41], v[46:47]
	;;#ASMEND
	v_cvt_f32_u32_sdwa v11, v12 dst_sel:DWORD dst_unused:UNUSED_PAD src0_sel:WORD_1
	v_cvt_f32_u32_sdwa v10, v12 dst_sel:DWORD dst_unused:UNUSED_PAD src0_sel:WORD_0
	v_cvt_f32_u32_sdwa v41, v13 dst_sel:DWORD dst_unused:UNUSED_PAD src0_sel:WORD_1
	v_cvt_f32_u32_sdwa v40, v13 dst_sel:DWORD dst_unused:UNUSED_PAD src0_sel:WORD_0
	;;#ASMSTART
	v_pk_mul_f32 v[12:13], v[34:35], v[2:3]
	;;#ASMEND
	;;#ASMSTART
	v_pk_mul_f32 v[22:23], v[22:23], v[4:5]
	;;#ASMEND
	s_and_b32 s1, s1, 0xffff
	v_perm_b32 v2, v9, v8, s4
	v_perm_b32 v3, v45, v44, s4
	;; [unrolled: 1-line block ×4, first 2 shown]
	;;#ASMSTART
	v_pk_mul_f32 v[10:11], v[36:37], v[10:11]
	;;#ASMEND
	;;#ASMSTART
	v_pk_mul_f32 v[20:21], v[20:21], v[40:41]
	;;#ASMEND
	buffer_store_dwordx4 v[2:5], v1, s[0:3], 0 offen
	;;#ASMSTART
	s_nop 0
	;;#ASMEND
	s_nop 0
	v_perm_b32 v2, v27, v26, s4
	v_perm_b32 v3, v19, v18, s4
	;; [unrolled: 1-line block ×4, first 2 shown]
	buffer_store_dwordx4 v[2:5], v1, s[0:3], s16 offen
	v_perm_b32 v2, v17, v16, s4
	v_perm_b32 v3, v33, v32, s4
	;; [unrolled: 1-line block ×4, first 2 shown]
	;;#ASMSTART
	s_nop 0
	;;#ASMEND
	buffer_store_dwordx4 v[2:5], v1, s[0:3], s13 offen
	v_perm_b32 v2, v13, v12, s4
	v_perm_b32 v3, v23, v22, s4
	;; [unrolled: 1-line block ×4, first 2 shown]
	;;#ASMSTART
	s_nop 0
	;;#ASMEND
	buffer_store_dwordx4 v[2:5], v1, s[0:3], s7 offen
	;;#ASMSTART
	s_nop 0
	;;#ASMEND
.LBB134_4:
	s_endpgm
	.section	.rodata,"a",@progbits
	.p2align	6, 0x0
	.amdhsa_kernel _ZN5aiter24add_rmsnorm_quant_kernelIttLi256ELi32ELb1ELb0ELb1ELi1EEEvPT0_PT_PfS4_S4_S4_diiiiiiib
		.amdhsa_group_segment_fixed_size 16
		.amdhsa_private_segment_fixed_size 0
		.amdhsa_kernarg_size 88
		.amdhsa_user_sgpr_count 6
		.amdhsa_user_sgpr_private_segment_buffer 1
		.amdhsa_user_sgpr_dispatch_ptr 0
		.amdhsa_user_sgpr_queue_ptr 0
		.amdhsa_user_sgpr_kernarg_segment_ptr 1
		.amdhsa_user_sgpr_dispatch_id 0
		.amdhsa_user_sgpr_flat_scratch_init 0
		.amdhsa_user_sgpr_kernarg_preload_length 0
		.amdhsa_user_sgpr_kernarg_preload_offset 0
		.amdhsa_user_sgpr_private_segment_size 0
		.amdhsa_uses_dynamic_stack 0
		.amdhsa_system_sgpr_private_segment_wavefront_offset 0
		.amdhsa_system_sgpr_workgroup_id_x 1
		.amdhsa_system_sgpr_workgroup_id_y 0
		.amdhsa_system_sgpr_workgroup_id_z 0
		.amdhsa_system_sgpr_workgroup_info 0
		.amdhsa_system_vgpr_workitem_id 0
		.amdhsa_next_free_vgpr 68
		.amdhsa_next_free_sgpr 24
		.amdhsa_accum_offset 68
		.amdhsa_reserve_vcc 1
		.amdhsa_reserve_flat_scratch 0
		.amdhsa_float_round_mode_32 0
		.amdhsa_float_round_mode_16_64 0
		.amdhsa_float_denorm_mode_32 3
		.amdhsa_float_denorm_mode_16_64 3
		.amdhsa_dx10_clamp 1
		.amdhsa_ieee_mode 1
		.amdhsa_fp16_overflow 0
		.amdhsa_tg_split 0
		.amdhsa_exception_fp_ieee_invalid_op 0
		.amdhsa_exception_fp_denorm_src 0
		.amdhsa_exception_fp_ieee_div_zero 0
		.amdhsa_exception_fp_ieee_overflow 0
		.amdhsa_exception_fp_ieee_underflow 0
		.amdhsa_exception_fp_ieee_inexact 0
		.amdhsa_exception_int_div_zero 0
	.end_amdhsa_kernel
	.section	.text._ZN5aiter24add_rmsnorm_quant_kernelIttLi256ELi32ELb1ELb0ELb1ELi1EEEvPT0_PT_PfS4_S4_S4_diiiiiiib,"axG",@progbits,_ZN5aiter24add_rmsnorm_quant_kernelIttLi256ELi32ELb1ELb0ELb1ELi1EEEvPT0_PT_PfS4_S4_S4_diiiiiiib,comdat
.Lfunc_end134:
	.size	_ZN5aiter24add_rmsnorm_quant_kernelIttLi256ELi32ELb1ELb0ELb1ELi1EEEvPT0_PT_PfS4_S4_S4_diiiiiiib, .Lfunc_end134-_ZN5aiter24add_rmsnorm_quant_kernelIttLi256ELi32ELb1ELb0ELb1ELi1EEEvPT0_PT_PfS4_S4_S4_diiiiiiib
                                        ; -- End function
	.section	.AMDGPU.csdata,"",@progbits
; Kernel info:
; codeLenInByte = 2576
; NumSgprs: 28
; NumVgprs: 68
; NumAgprs: 0
; TotalNumVgprs: 68
; ScratchSize: 0
; MemoryBound: 0
; FloatMode: 240
; IeeeMode: 1
; LDSByteSize: 16 bytes/workgroup (compile time only)
; SGPRBlocks: 3
; VGPRBlocks: 8
; NumSGPRsForWavesPerEU: 28
; NumVGPRsForWavesPerEU: 68
; AccumOffset: 68
; Occupancy: 7
; WaveLimiterHint : 0
; COMPUTE_PGM_RSRC2:SCRATCH_EN: 0
; COMPUTE_PGM_RSRC2:USER_SGPR: 6
; COMPUTE_PGM_RSRC2:TRAP_HANDLER: 0
; COMPUTE_PGM_RSRC2:TGID_X_EN: 1
; COMPUTE_PGM_RSRC2:TGID_Y_EN: 0
; COMPUTE_PGM_RSRC2:TGID_Z_EN: 0
; COMPUTE_PGM_RSRC2:TIDIG_COMP_CNT: 0
; COMPUTE_PGM_RSRC3_GFX90A:ACCUM_OFFSET: 16
; COMPUTE_PGM_RSRC3_GFX90A:TG_SPLIT: 0
	.section	.text._ZN5aiter24add_rmsnorm_quant_kernelIDF16_DF16_Li256ELi32ELb1ELb0ELb0ELi1EEEvPT0_PT_PfS4_S4_S4_diiiiiiib,"axG",@progbits,_ZN5aiter24add_rmsnorm_quant_kernelIDF16_DF16_Li256ELi32ELb1ELb0ELb0ELi1EEEvPT0_PT_PfS4_S4_S4_diiiiiiib,comdat
	.protected	_ZN5aiter24add_rmsnorm_quant_kernelIDF16_DF16_Li256ELi32ELb1ELb0ELb0ELi1EEEvPT0_PT_PfS4_S4_S4_diiiiiiib ; -- Begin function _ZN5aiter24add_rmsnorm_quant_kernelIDF16_DF16_Li256ELi32ELb1ELb0ELb0ELi1EEEvPT0_PT_PfS4_S4_S4_diiiiiiib
	.globl	_ZN5aiter24add_rmsnorm_quant_kernelIDF16_DF16_Li256ELi32ELb1ELb0ELb0ELi1EEEvPT0_PT_PfS4_S4_S4_diiiiiiib
	.p2align	8
	.type	_ZN5aiter24add_rmsnorm_quant_kernelIDF16_DF16_Li256ELi32ELb1ELb0ELb0ELi1EEEvPT0_PT_PfS4_S4_S4_diiiiiiib,@function
_ZN5aiter24add_rmsnorm_quant_kernelIDF16_DF16_Li256ELi32ELb1ELb0ELb0ELi1EEEvPT0_PT_PfS4_S4_S4_diiiiiiib: ; @_ZN5aiter24add_rmsnorm_quant_kernelIDF16_DF16_Li256ELi32ELb1ELb0ELb0ELi1EEEvPT0_PT_PfS4_S4_S4_diiiiiiib
; %bb.0:
	s_load_dwordx4 s[16:19], s[4:5], 0x38
	s_mov_b32 s7, 0
	s_waitcnt lgkmcnt(0)
	s_ashr_i32 s0, s16, 31
	v_mov_b32_e32 v2, s16
	v_mov_b32_e32 v3, s0
	v_cmp_ge_i64_e32 vcc, s[6:7], v[2:3]
	s_cbranch_vccnz .LBB135_4
; %bb.1:
	s_load_dwordx8 s[8:15], s[4:5], 0x18
	s_ashr_i32 s0, s18, 31
	s_mul_hi_u32 s1, s18, s6
	s_mul_i32 s0, s0, s6
	s_add_i32 s1, s1, s0
	s_mul_i32 s0, s18, s6
	s_lshl_b64 s[0:1], s[0:1], 1
	s_waitcnt lgkmcnt(0)
	s_add_u32 s0, s8, s0
	s_addc_u32 s1, s9, s1
	s_add_i32 s2, s17, 1
	s_lshr_b32 s3, s2, 31
	s_add_i32 s2, s2, s3
	s_lshl_b32 s2, s2, 1
	s_and_b32 s2, s2, -4
	s_and_b32 s1, s1, 0xffff
	s_mov_b32 s3, 0x20000
	v_lshlrev_b32_e32 v1, 6, v0
	buffer_load_dwordx4 v[22:25], v1, s[0:3], 16 offen
	buffer_load_dwordx4 v[26:29], v1, s[0:3], 32 offen
	;; [unrolled: 1-line block ×4, first 2 shown]
	s_ashr_i32 s0, s19, 31
	s_mul_hi_u32 s7, s19, s6
	s_mul_i32 s0, s0, s6
	s_mul_i32 s8, s19, s6
	s_add_i32 s9, s7, s0
	s_and_b32 s21, s13, 0xffff
	s_lshl_b64 s[0:1], s[8:9], 1
	s_add_u32 s0, s10, s0
	s_addc_u32 s1, s11, s1
	s_and_b32 s1, s1, 0xffff
	buffer_load_dwordx4 v[30:33], v1, s[0:3], 16 offen
	buffer_load_dwordx4 v[10:13], v1, s[0:3], 32 offen
	;; [unrolled: 1-line block ×4, first 2 shown]
	s_mov_b32 s23, s3
	s_mov_b32 s20, s12
	s_mov_b32 s22, s2
	s_load_dwordx2 s[18:19], s[4:5], 0x48
	s_load_dwordx4 s[8:11], s[4:5], 0x0
	s_waitcnt lgkmcnt(0)
	s_ashr_i32 s0, s18, 31
	s_mul_hi_u32 s1, s18, s6
	s_mul_i32 s0, s0, s6
	s_add_i32 s1, s1, s0
	s_mul_i32 s0, s18, s6
	s_lshl_b64 s[0:1], s[0:1], 1
	s_add_u32 s0, s10, s0
	s_addc_u32 s1, s11, s1
	s_and_b32 s1, s1, 0xffff
	s_waitcnt vmcnt(7)
	v_cvt_f32_f16_e32 v14, v22
	v_cvt_f32_f16_sdwa v15, v22 dst_sel:DWORD dst_unused:UNUSED_PAD src0_sel:WORD_1
	v_cvt_f32_f16_e32 v16, v23
	v_cvt_f32_f16_sdwa v17, v23 dst_sel:DWORD dst_unused:UNUSED_PAD src0_sel:WORD_1
	s_waitcnt vmcnt(4)
	v_cvt_f32_f16_e32 v50, v6
	v_cvt_f32_f16_sdwa v51, v6 dst_sel:DWORD dst_unused:UNUSED_PAD src0_sel:WORD_1
	v_cvt_f32_f16_e32 v52, v7
	v_cvt_f32_f16_sdwa v53, v7 dst_sel:DWORD dst_unused:UNUSED_PAD src0_sel:WORD_1
	;; [unrolled: 2-line block ×4, first 2 shown]
	s_waitcnt vmcnt(3)
	v_cvt_f32_f16_e32 v6, v30
	v_cvt_f32_f16_sdwa v7, v30 dst_sel:DWORD dst_unused:UNUSED_PAD src0_sel:WORD_1
	v_cvt_f32_f16_e32 v8, v31
	v_cvt_f32_f16_sdwa v9, v31 dst_sel:DWORD dst_unused:UNUSED_PAD src0_sel:WORD_1
	s_waitcnt vmcnt(2)
	v_cvt_f32_f16_e32 v44, v10
	v_cvt_f32_f16_sdwa v45, v10 dst_sel:DWORD dst_unused:UNUSED_PAD src0_sel:WORD_1
	v_cvt_f32_f16_e32 v58, v11
	v_cvt_f32_f16_sdwa v59, v11 dst_sel:DWORD dst_unused:UNUSED_PAD src0_sel:WORD_1
	;; [unrolled: 2-line block ×4, first 2 shown]
	s_waitcnt vmcnt(1)
	v_cvt_f32_f16_e32 v64, v2
	v_cvt_f32_f16_sdwa v65, v2 dst_sel:DWORD dst_unused:UNUSED_PAD src0_sel:WORD_1
	v_cvt_f32_f16_e32 v66, v3
	v_cvt_f32_f16_sdwa v67, v3 dst_sel:DWORD dst_unused:UNUSED_PAD src0_sel:WORD_1
	v_cvt_f32_f16_e32 v68, v4
	v_cvt_f32_f16_sdwa v69, v4 dst_sel:DWORD dst_unused:UNUSED_PAD src0_sel:WORD_1
	v_cvt_f32_f16_e32 v70, v5
	v_cvt_f32_f16_sdwa v71, v5 dst_sel:DWORD dst_unused:UNUSED_PAD src0_sel:WORD_1
	v_pk_add_f32 v[34:35], v[14:15], v[6:7]
	v_pk_add_f32 v[30:31], v[16:17], v[8:9]
	buffer_load_dwordx4 v[14:17], v1, s[20:23], 0 offen
	buffer_load_dwordx4 v[10:13], v1, s[20:23], 16 offen
	;; [unrolled: 1-line block ×4, first 2 shown]
	v_cvt_f32_f16_e32 v22, v24
	v_cvt_f32_f16_sdwa v23, v24 dst_sel:DWORD dst_unused:UNUSED_PAD src0_sel:WORD_1
	v_cvt_f32_f16_e32 v24, v25
	v_cvt_f32_f16_sdwa v25, v25 dst_sel:DWORD dst_unused:UNUSED_PAD src0_sel:WORD_1
	v_cvt_f32_f16_e32 v36, v26
	v_cvt_f32_f16_sdwa v37, v26 dst_sel:DWORD dst_unused:UNUSED_PAD src0_sel:WORD_1
	v_cvt_f32_f16_e32 v38, v27
	v_cvt_f32_f16_sdwa v39, v27 dst_sel:DWORD dst_unused:UNUSED_PAD src0_sel:WORD_1
	v_cvt_f32_f16_e32 v40, v28
	v_cvt_f32_f16_sdwa v41, v28 dst_sel:DWORD dst_unused:UNUSED_PAD src0_sel:WORD_1
	v_cvt_f32_f16_e32 v42, v29
	v_cvt_f32_f16_sdwa v43, v29 dst_sel:DWORD dst_unused:UNUSED_PAD src0_sel:WORD_1
	v_cvt_f32_f16_e32 v28, v33
	v_cvt_f32_f16_sdwa v29, v33 dst_sel:DWORD dst_unused:UNUSED_PAD src0_sel:WORD_1
	v_cvt_f32_f16_e32 v26, v32
	v_cvt_f32_f16_sdwa v27, v32 dst_sel:DWORD dst_unused:UNUSED_PAD src0_sel:WORD_1
	v_pk_add_f32 v[32:33], v[24:25], v[28:29]
	v_pk_add_f32 v[28:29], v[36:37], v[44:45]
	;; [unrolled: 1-line block ×6, first 2 shown]
	v_cvt_f32_f16_e32 v50, v18
	v_cvt_f32_f16_sdwa v51, v18 dst_sel:DWORD dst_unused:UNUSED_PAD src0_sel:WORD_1
	s_waitcnt vmcnt(4)
	v_cvt_f32_f16_e32 v52, v46
	v_cvt_f32_f16_sdwa v53, v46 dst_sel:DWORD dst_unused:UNUSED_PAD src0_sel:WORD_1
	v_pk_add_f32 v[36:37], v[54:55], v[68:69]
	v_cvt_f32_f16_e32 v54, v19
	v_cvt_f32_f16_sdwa v55, v19 dst_sel:DWORD dst_unused:UNUSED_PAD src0_sel:WORD_1
	v_cvt_f32_f16_e32 v46, v47
	v_cvt_f32_f16_sdwa v47, v47 dst_sel:DWORD dst_unused:UNUSED_PAD src0_sel:WORD_1
	v_pk_add_f32 v[18:19], v[50:51], v[52:53]
	v_cvt_f32_f16_e32 v50, v20
	v_cvt_f32_f16_sdwa v51, v20 dst_sel:DWORD dst_unused:UNUSED_PAD src0_sel:WORD_1
	v_cvt_f32_f16_e32 v52, v21
	v_cvt_f32_f16_sdwa v53, v21 dst_sel:DWORD dst_unused:UNUSED_PAD src0_sel:WORD_1
	;; [unrolled: 2-line block ×4, first 2 shown]
	v_pk_add_f32 v[46:47], v[54:55], v[46:47]
	v_pk_add_f32 v[20:21], v[50:51], v[20:21]
	;; [unrolled: 1-line block ×6, first 2 shown]
	v_cvt_f16_f32_e32 v56, v19
	v_cvt_f16_f32_e32 v54, v47
	;; [unrolled: 1-line block ×8, first 2 shown]
	v_pack_b32_f16 v53, v52, v51
	v_pack_b32_f16 v52, v55, v50
	;; [unrolled: 1-line block ×4, first 2 shown]
	buffer_store_dwordx4 v[50:53], v1, s[0:3], 0 offen
	v_cvt_f16_f32_e32 v54, v33
	v_cvt_f16_f32_e32 v50, v34
	v_cvt_f16_f32_e32 v51, v30
	v_cvt_f16_f32_e32 v52, v26
	v_cvt_f16_f32_e32 v53, v32
	v_cvt_f16_f32_e32 v55, v27
	v_cvt_f16_f32_e32 v56, v31
	v_cvt_f16_f32_e32 v57, v35
	v_pack_b32_f16 v53, v53, v54
	v_pack_b32_f16 v52, v52, v55
	v_pack_b32_f16 v51, v51, v56
	v_pack_b32_f16 v50, v50, v57
	;;#ASMSTART
	s_nop 0
	;;#ASMEND
	buffer_store_dwordx4 v[50:53], v1, s[0:3], 16 offen
	v_cvt_f16_f32_e32 v54, v45
	v_cvt_f16_f32_e32 v50, v28
	v_cvt_f16_f32_e32 v51, v24
	v_cvt_f16_f32_e32 v52, v22
	v_cvt_f16_f32_e32 v53, v44
	v_cvt_f16_f32_e32 v55, v23
	v_cvt_f16_f32_e32 v56, v25
	v_cvt_f16_f32_e32 v57, v29
	v_pack_b32_f16 v53, v53, v54
	v_pack_b32_f16 v52, v52, v55
	v_pack_b32_f16 v51, v51, v56
	v_pack_b32_f16 v50, v50, v57
	;;#ASMSTART
	s_nop 0
	;;#ASMEND
	;; [unrolled: 16-line block ×3, first 2 shown]
	buffer_store_dwordx4 v[50:53], v1, s[0:3], 48 offen
	v_pk_mul_f32 v[54:55], v[20:21], v[20:21]
	v_pk_mul_f32 v[50:51], v[18:19], v[18:19]
	;; [unrolled: 1-line block ×3, first 2 shown]
	v_add_f32_e32 v50, v50, v51
	v_add_f32_e32 v50, v52, v50
	;; [unrolled: 1-line block ×4, first 2 shown]
	v_pk_mul_f32 v[56:57], v[48:49], v[48:49]
	v_add_f32_e32 v54, v55, v52
	v_add_f32_e32 v54, v56, v54
	v_pk_mul_f32 v[58:59], v[34:35], v[34:35]
	v_add_f32_e32 v56, v57, v54
	v_add_f32_e32 v56, v58, v56
	;; [unrolled: 3-line block ×13, first 2 shown]
	v_add_f32_e32 v50, v55, v50
	v_and_b32_e32 v52, 63, v0
	v_cmp_eq_u32_e32 vcc, 63, v52
	v_mov_b32_dpp v51, v50 quad_perm:[1,0,3,2] row_mask:0xf bank_mask:0xf
	v_add_f32_e32 v50, v50, v51
	;;#ASMSTART
	s_nop 0
	;;#ASMEND
	s_nop 1
	v_mov_b32_dpp v51, v50 quad_perm:[2,3,0,1] row_mask:0xf bank_mask:0xf
	v_add_f32_e32 v50, v50, v51
	s_nop 1
	v_mov_b32_dpp v51, v50 row_half_mirror row_mask:0xf bank_mask:0xf
	v_add_f32_e32 v50, v50, v51
	s_nop 1
	v_mov_b32_dpp v51, v50 row_mirror row_mask:0xf bank_mask:0xf
	v_add_f32_e32 v50, v50, v51
	s_nop 1
	v_mov_b32_dpp v51, v50 row_bcast:15 row_mask:0xf bank_mask:0xf
	v_add_f32_e32 v50, v50, v51
	s_nop 1
	v_mov_b32_dpp v51, v50 row_bcast:31 row_mask:0xf bank_mask:0xf
	s_and_saveexec_b64 s[0:1], vcc
	s_cbranch_execz .LBB135_3
; %bb.2:
	v_lshrrev_b32_e32 v52, 4, v0
	v_and_b32_e32 v52, 60, v52
	v_add_f32_e32 v50, v50, v51
	ds_write_b32 v52, v50
.LBB135_3:
	s_or_b64 exec, exec, s[0:1]
	v_and_b32_e32 v0, 3, v0
	v_lshlrev_b32_e32 v0, 2, v0
	s_waitcnt lgkmcnt(0)
	s_barrier
	ds_read_b32 v0, v0
	s_ashr_i32 s4, s19, 31
	s_mul_hi_u32 s5, s19, s6
	s_mul_i32 s4, s4, s6
	s_waitcnt lgkmcnt(0)
	v_mov_b32_dpp v50, v0 quad_perm:[1,0,3,2] row_mask:0xf bank_mask:0xf
	v_add_f32_e32 v0, v0, v50
	v_cvt_f32_i32_e32 v50, s17
	s_nop 0
	v_mov_b32_dpp v51, v0 quad_perm:[2,3,0,1] row_mask:0xf bank_mask:0xf
	v_add_f32_e32 v0, v0, v51
	v_div_scale_f32 v51, s[0:1], v50, v50, v0
	v_rcp_f32_e32 v52, v51
	s_add_i32 s1, s5, s4
	s_mov_b32 s4, 0x800000
	s_mul_i32 s0, s19, s6
	v_fma_f32 v53, -v51, v52, 1.0
	v_fmac_f32_e32 v52, v53, v52
	v_div_scale_f32 v53, vcc, v0, v50, v0
	v_mul_f32_e32 v54, v53, v52
	v_fma_f32 v55, -v51, v54, v53
	v_fmac_f32_e32 v54, v55, v52
	v_fma_f32 v51, -v51, v54, v53
	v_div_fmas_f32 v51, v51, v52, v54
	v_div_fixup_f32 v0, v51, v50, v0
	v_cvt_f64_f32_e32 v[50:51], v0
	v_add_f64 v[50:51], v[50:51], s[14:15]
	v_cvt_f32_f64_e32 v0, v[50:51]
	v_mul_f32_e32 v50, 0x4b800000, v0
	v_cmp_gt_f32_e32 vcc, s4, v0
	v_cndmask_b32_e32 v0, v0, v50, vcc
	v_rsq_f32_e32 v0, v0
	s_waitcnt vmcnt(7)
	v_cvt_f32_f16_sdwa v53, v15 dst_sel:DWORD dst_unused:UNUSED_PAD src0_sel:WORD_1
	v_cvt_f32_f16_e32 v52, v15
	v_cvt_f32_f16_sdwa v15, v16 dst_sel:DWORD dst_unused:UNUSED_PAD src0_sel:WORD_1
	v_mul_f32_e32 v50, 0x45800000, v0
	v_cndmask_b32_e32 v50, v0, v50, vcc
	v_mov_b32_e32 v51, v50
	;;#ASMSTART
	v_pk_mul_f32 v[18:19], v[18:19], v[50:51]
	;;#ASMEND
	;;#ASMSTART
	v_pk_mul_f32 v[46:47], v[46:47], v[50:51]
	;;#ASMEND
	;; [unrolled: 3-line block ×16, first 2 shown]
	v_cvt_f32_f16_sdwa v51, v14 dst_sel:DWORD dst_unused:UNUSED_PAD src0_sel:WORD_1
	v_cvt_f32_f16_e32 v50, v14
	v_cvt_f32_f16_e32 v14, v16
	v_cvt_f32_f16_sdwa v55, v17 dst_sel:DWORD dst_unused:UNUSED_PAD src0_sel:WORD_1
	v_cvt_f32_f16_e32 v54, v17
	;;#ASMSTART
	v_pk_mul_f32 v[16:17], v[18:19], v[50:51]
	;;#ASMEND
	;;#ASMSTART
	v_pk_mul_f32 v[18:19], v[46:47], v[52:53]
	;;#ASMEND
	;; [unrolled: 3-line block ×4, first 2 shown]
	s_waitcnt vmcnt(6)
	v_cvt_f32_f16_sdwa v47, v10 dst_sel:DWORD dst_unused:UNUSED_PAD src0_sel:WORD_1
	v_cvt_f32_f16_e32 v46, v10
	v_cvt_f32_f16_sdwa v49, v11 dst_sel:DWORD dst_unused:UNUSED_PAD src0_sel:WORD_1
	v_cvt_f32_f16_e32 v48, v11
	;; [unrolled: 2-line block ×4, first 2 shown]
	;;#ASMSTART
	v_pk_mul_f32 v[12:13], v[34:35], v[46:47]
	;;#ASMEND
	;;#ASMSTART
	v_pk_mul_f32 v[30:31], v[30:31], v[48:49]
	;;#ASMEND
	;;#ASMSTART
	v_pk_mul_f32 v[10:11], v[26:27], v[10:11]
	;;#ASMEND
	;;#ASMSTART
	v_pk_mul_f32 v[26:27], v[32:33], v[50:51]
	;;#ASMEND
	s_waitcnt vmcnt(5)
	v_cvt_f32_f16_sdwa v33, v6 dst_sel:DWORD dst_unused:UNUSED_PAD src0_sel:WORD_1
	v_cvt_f32_f16_e32 v32, v6
	v_cvt_f32_f16_sdwa v35, v7 dst_sel:DWORD dst_unused:UNUSED_PAD src0_sel:WORD_1
	v_cvt_f32_f16_e32 v34, v7
	;; [unrolled: 2-line block ×4, first 2 shown]
	;;#ASMSTART
	v_pk_mul_f32 v[8:9], v[28:29], v[32:33]
	;;#ASMEND
	s_waitcnt vmcnt(4)
	v_cvt_f32_f16_sdwa v29, v2 dst_sel:DWORD dst_unused:UNUSED_PAD src0_sel:WORD_1
	v_cvt_f32_f16_e32 v28, v2
	v_cvt_f32_f16_sdwa v33, v3 dst_sel:DWORD dst_unused:UNUSED_PAD src0_sel:WORD_1
	v_cvt_f32_f16_e32 v32, v3
	;; [unrolled: 2-line block ×3, first 2 shown]
	;;#ASMSTART
	v_pk_mul_f32 v[24:25], v[24:25], v[34:35]
	;;#ASMEND
	;;#ASMSTART
	v_pk_mul_f32 v[6:7], v[22:23], v[6:7]
	;;#ASMEND
	;; [unrolled: 3-line block ×3, first 2 shown]
	v_cvt_f32_f16_sdwa v35, v5 dst_sel:DWORD dst_unused:UNUSED_PAD src0_sel:WORD_1
	v_cvt_f32_f16_e32 v34, v5
	;;#ASMSTART
	v_pk_mul_f32 v[28:29], v[42:43], v[28:29]
	;;#ASMEND
	;;#ASMSTART
	v_pk_mul_f32 v[32:33], v[38:39], v[32:33]
	;;#ASMEND
	;; [unrolled: 3-line block ×3, first 2 shown]
	v_cvt_f16_f32_e32 v0, v16
	v_cvt_f16_f32_e32 v2, v17
	;; [unrolled: 1-line block ×8, first 2 shown]
	s_lshl_b64 s[0:1], s[0:1], 1
	s_add_u32 s0, s8, s0
	s_addc_u32 s1, s9, s1
	s_and_b32 s1, s1, 0xffff
	v_pack_b32_f16 v2, v0, v2
	v_pack_b32_f16 v3, v3, v4
	;; [unrolled: 1-line block ×4, first 2 shown]
	;;#ASMSTART
	v_pk_mul_f32 v[34:35], v[40:41], v[34:35]
	;;#ASMEND
	buffer_store_dwordx4 v[2:5], v1, s[0:3], 0 offen
	v_cvt_f16_f32_e32 v0, v12
	v_cvt_f16_f32_e32 v2, v13
	v_cvt_f16_f32_e32 v3, v30
	v_cvt_f16_f32_e32 v4, v31
	v_cvt_f16_f32_e32 v5, v10
	v_cvt_f16_f32_e32 v10, v11
	v_cvt_f16_f32_e32 v11, v26
	v_cvt_f16_f32_e32 v12, v27
	v_pack_b32_f16 v2, v0, v2
	v_pack_b32_f16 v3, v3, v4
	v_pack_b32_f16 v4, v5, v10
	v_pack_b32_f16 v5, v11, v12
	;;#ASMSTART
	s_nop 0
	;;#ASMEND
	buffer_store_dwordx4 v[2:5], v1, s[0:3], 16 offen
	v_cvt_f16_f32_e32 v0, v8
	v_cvt_f16_f32_e32 v2, v9
	v_cvt_f16_f32_e32 v3, v24
	v_cvt_f16_f32_e32 v4, v25
	v_cvt_f16_f32_e32 v5, v6
	v_cvt_f16_f32_e32 v6, v7
	v_cvt_f16_f32_e32 v7, v22
	v_cvt_f16_f32_e32 v8, v23
	v_pack_b32_f16 v2, v0, v2
	v_pack_b32_f16 v3, v3, v4
	v_pack_b32_f16 v4, v5, v6
	v_pack_b32_f16 v5, v7, v8
	;;#ASMSTART
	s_nop 0
	;;#ASMEND
	buffer_store_dwordx4 v[2:5], v1, s[0:3], 32 offen
	v_cvt_f16_f32_e32 v0, v28
	v_cvt_f16_f32_e32 v2, v29
	v_cvt_f16_f32_e32 v3, v32
	v_cvt_f16_f32_e32 v4, v33
	v_cvt_f16_f32_e32 v5, v36
	v_cvt_f16_f32_e32 v6, v37
	v_cvt_f16_f32_e32 v7, v34
	v_cvt_f16_f32_e32 v8, v35
	v_pack_b32_f16 v2, v0, v2
	v_pack_b32_f16 v3, v3, v4
	v_pack_b32_f16 v4, v5, v6
	v_pack_b32_f16 v5, v7, v8
	;;#ASMSTART
	s_nop 0
	;;#ASMEND
	buffer_store_dwordx4 v[2:5], v1, s[0:3], 48 offen
	;;#ASMSTART
	s_nop 0
	;;#ASMEND
.LBB135_4:
	s_endpgm
	.section	.rodata,"a",@progbits
	.p2align	6, 0x0
	.amdhsa_kernel _ZN5aiter24add_rmsnorm_quant_kernelIDF16_DF16_Li256ELi32ELb1ELb0ELb0ELi1EEEvPT0_PT_PfS4_S4_S4_diiiiiiib
		.amdhsa_group_segment_fixed_size 16
		.amdhsa_private_segment_fixed_size 0
		.amdhsa_kernarg_size 88
		.amdhsa_user_sgpr_count 6
		.amdhsa_user_sgpr_private_segment_buffer 1
		.amdhsa_user_sgpr_dispatch_ptr 0
		.amdhsa_user_sgpr_queue_ptr 0
		.amdhsa_user_sgpr_kernarg_segment_ptr 1
		.amdhsa_user_sgpr_dispatch_id 0
		.amdhsa_user_sgpr_flat_scratch_init 0
		.amdhsa_user_sgpr_kernarg_preload_length 0
		.amdhsa_user_sgpr_kernarg_preload_offset 0
		.amdhsa_user_sgpr_private_segment_size 0
		.amdhsa_uses_dynamic_stack 0
		.amdhsa_system_sgpr_private_segment_wavefront_offset 0
		.amdhsa_system_sgpr_workgroup_id_x 1
		.amdhsa_system_sgpr_workgroup_id_y 0
		.amdhsa_system_sgpr_workgroup_id_z 0
		.amdhsa_system_sgpr_workgroup_info 0
		.amdhsa_system_vgpr_workitem_id 0
		.amdhsa_next_free_vgpr 72
		.amdhsa_next_free_sgpr 24
		.amdhsa_accum_offset 72
		.amdhsa_reserve_vcc 1
		.amdhsa_reserve_flat_scratch 0
		.amdhsa_float_round_mode_32 0
		.amdhsa_float_round_mode_16_64 0
		.amdhsa_float_denorm_mode_32 3
		.amdhsa_float_denorm_mode_16_64 3
		.amdhsa_dx10_clamp 1
		.amdhsa_ieee_mode 1
		.amdhsa_fp16_overflow 0
		.amdhsa_tg_split 0
		.amdhsa_exception_fp_ieee_invalid_op 0
		.amdhsa_exception_fp_denorm_src 0
		.amdhsa_exception_fp_ieee_div_zero 0
		.amdhsa_exception_fp_ieee_overflow 0
		.amdhsa_exception_fp_ieee_underflow 0
		.amdhsa_exception_fp_ieee_inexact 0
		.amdhsa_exception_int_div_zero 0
	.end_amdhsa_kernel
	.section	.text._ZN5aiter24add_rmsnorm_quant_kernelIDF16_DF16_Li256ELi32ELb1ELb0ELb0ELi1EEEvPT0_PT_PfS4_S4_S4_diiiiiiib,"axG",@progbits,_ZN5aiter24add_rmsnorm_quant_kernelIDF16_DF16_Li256ELi32ELb1ELb0ELb0ELi1EEEvPT0_PT_PfS4_S4_S4_diiiiiiib,comdat
.Lfunc_end135:
	.size	_ZN5aiter24add_rmsnorm_quant_kernelIDF16_DF16_Li256ELi32ELb1ELb0ELb0ELi1EEEvPT0_PT_PfS4_S4_S4_diiiiiiib, .Lfunc_end135-_ZN5aiter24add_rmsnorm_quant_kernelIDF16_DF16_Li256ELi32ELb1ELb0ELb0ELi1EEEvPT0_PT_PfS4_S4_S4_diiiiiiib
                                        ; -- End function
	.section	.AMDGPU.csdata,"",@progbits
; Kernel info:
; codeLenInByte = 2592
; NumSgprs: 28
; NumVgprs: 72
; NumAgprs: 0
; TotalNumVgprs: 72
; ScratchSize: 0
; MemoryBound: 0
; FloatMode: 240
; IeeeMode: 1
; LDSByteSize: 16 bytes/workgroup (compile time only)
; SGPRBlocks: 3
; VGPRBlocks: 8
; NumSGPRsForWavesPerEU: 28
; NumVGPRsForWavesPerEU: 72
; AccumOffset: 72
; Occupancy: 7
; WaveLimiterHint : 0
; COMPUTE_PGM_RSRC2:SCRATCH_EN: 0
; COMPUTE_PGM_RSRC2:USER_SGPR: 6
; COMPUTE_PGM_RSRC2:TRAP_HANDLER: 0
; COMPUTE_PGM_RSRC2:TGID_X_EN: 1
; COMPUTE_PGM_RSRC2:TGID_Y_EN: 0
; COMPUTE_PGM_RSRC2:TGID_Z_EN: 0
; COMPUTE_PGM_RSRC2:TIDIG_COMP_CNT: 0
; COMPUTE_PGM_RSRC3_GFX90A:ACCUM_OFFSET: 17
; COMPUTE_PGM_RSRC3_GFX90A:TG_SPLIT: 0
	.section	.text._ZN5aiter24add_rmsnorm_quant_kernelIttLi256ELi32ELb1ELb0ELb0ELi1EEEvPT0_PT_PfS4_S4_S4_diiiiiiib,"axG",@progbits,_ZN5aiter24add_rmsnorm_quant_kernelIttLi256ELi32ELb1ELb0ELb0ELi1EEEvPT0_PT_PfS4_S4_S4_diiiiiiib,comdat
	.protected	_ZN5aiter24add_rmsnorm_quant_kernelIttLi256ELi32ELb1ELb0ELb0ELi1EEEvPT0_PT_PfS4_S4_S4_diiiiiiib ; -- Begin function _ZN5aiter24add_rmsnorm_quant_kernelIttLi256ELi32ELb1ELb0ELb0ELi1EEEvPT0_PT_PfS4_S4_S4_diiiiiiib
	.globl	_ZN5aiter24add_rmsnorm_quant_kernelIttLi256ELi32ELb1ELb0ELb0ELi1EEEvPT0_PT_PfS4_S4_S4_diiiiiiib
	.p2align	8
	.type	_ZN5aiter24add_rmsnorm_quant_kernelIttLi256ELi32ELb1ELb0ELb0ELi1EEEvPT0_PT_PfS4_S4_S4_diiiiiiib,@function
_ZN5aiter24add_rmsnorm_quant_kernelIttLi256ELi32ELb1ELb0ELb0ELi1EEEvPT0_PT_PfS4_S4_S4_diiiiiiib: ; @_ZN5aiter24add_rmsnorm_quant_kernelIttLi256ELi32ELb1ELb0ELb0ELi1EEEvPT0_PT_PfS4_S4_S4_diiiiiiib
; %bb.0:
	s_load_dwordx4 s[16:19], s[4:5], 0x38
	s_mov_b32 s7, 0
	s_waitcnt lgkmcnt(0)
	s_ashr_i32 s0, s16, 31
	v_mov_b32_e32 v2, s16
	v_mov_b32_e32 v3, s0
	v_cmp_ge_i64_e32 vcc, s[6:7], v[2:3]
	s_cbranch_vccnz .LBB136_4
; %bb.1:
	s_load_dwordx8 s[8:15], s[4:5], 0x18
	s_ashr_i32 s0, s18, 31
	s_mul_hi_u32 s1, s18, s6
	s_mul_i32 s0, s0, s6
	s_add_i32 s1, s1, s0
	s_mul_i32 s0, s18, s6
	s_lshl_b64 s[0:1], s[0:1], 1
	s_waitcnt lgkmcnt(0)
	s_add_u32 s0, s8, s0
	s_addc_u32 s1, s9, s1
	s_add_i32 s2, s17, 1
	s_lshr_b32 s3, s2, 31
	s_add_i32 s2, s2, s3
	s_lshl_b32 s2, s2, 1
	s_and_b32 s2, s2, -4
	s_and_b32 s1, s1, 0xffff
	s_mov_b32 s3, 0x20000
	v_lshlrev_b32_e32 v1, 6, v0
	buffer_load_dwordx4 v[26:29], v1, s[0:3], 16 offen
	buffer_load_dwordx4 v[30:33], v1, s[0:3], 32 offen
	buffer_load_dwordx4 v[6:9], v1, s[0:3], 0 offen
	buffer_load_dwordx4 v[2:5], v1, s[0:3], 48 offen
	s_ashr_i32 s0, s19, 31
	s_mul_hi_u32 s7, s19, s6
	s_mul_i32 s0, s0, s6
	s_mul_i32 s8, s19, s6
	s_add_i32 s9, s7, s0
	s_and_b32 s21, s13, 0xffff
	s_lshl_b64 s[0:1], s[8:9], 1
	s_add_u32 s0, s10, s0
	s_addc_u32 s1, s11, s1
	s_and_b32 s1, s1, 0xffff
	buffer_load_dwordx4 v[22:25], v1, s[0:3], 16 offen
	buffer_load_dwordx4 v[10:13], v1, s[0:3], 32 offen
	buffer_load_dwordx4 v[18:21], v1, s[0:3], 48 offen
	buffer_load_dwordx4 v[14:17], v1, s[0:3], 0 offen
	s_mov_b32 s23, s3
	s_mov_b32 s20, s12
	s_mov_b32 s22, s2
	s_load_dwordx2 s[18:19], s[4:5], 0x48
	s_load_dwordx4 s[8:11], s[4:5], 0x0
	s_mov_b32 s4, 0x7060302
	s_waitcnt lgkmcnt(0)
	s_ashr_i32 s0, s18, 31
	s_mul_hi_u32 s1, s18, s6
	s_mul_i32 s0, s0, s6
	s_add_i32 s1, s1, s0
	s_mul_i32 s0, s18, s6
	s_lshl_b64 s[0:1], s[0:1], 1
	s_add_u32 s0, s10, s0
	s_addc_u32 s1, s11, s1
	s_and_b32 s1, s1, 0xffff
	s_waitcnt vmcnt(7)
	v_cvt_f32_u32_sdwa v35, v26 dst_sel:DWORD dst_unused:UNUSED_PAD src0_sel:WORD_1
	v_cvt_f32_u32_sdwa v34, v26 dst_sel:DWORD dst_unused:UNUSED_PAD src0_sel:WORD_0
	v_cvt_f32_u32_sdwa v37, v27 dst_sel:DWORD dst_unused:UNUSED_PAD src0_sel:WORD_1
	v_cvt_f32_u32_sdwa v36, v27 dst_sel:DWORD dst_unused:UNUSED_PAD src0_sel:WORD_0
	;; [unrolled: 2-line block ×4, first 2 shown]
	s_waitcnt vmcnt(4)
	v_cvt_f32_u32_sdwa v47, v2 dst_sel:DWORD dst_unused:UNUSED_PAD src0_sel:WORD_1
	v_cvt_f32_u32_sdwa v46, v2 dst_sel:DWORD dst_unused:UNUSED_PAD src0_sel:WORD_0
	v_cvt_f32_u32_sdwa v49, v3 dst_sel:DWORD dst_unused:UNUSED_PAD src0_sel:WORD_1
	v_cvt_f32_u32_sdwa v48, v3 dst_sel:DWORD dst_unused:UNUSED_PAD src0_sel:WORD_0
	s_waitcnt vmcnt(3)
	v_cvt_f32_u32_sdwa v3, v22 dst_sel:DWORD dst_unused:UNUSED_PAD src0_sel:WORD_1
	v_cvt_f32_u32_sdwa v2, v22 dst_sel:DWORD dst_unused:UNUSED_PAD src0_sel:WORD_0
	v_cvt_f32_u32_sdwa v29, v23 dst_sel:DWORD dst_unused:UNUSED_PAD src0_sel:WORD_1
	v_cvt_f32_u32_sdwa v28, v23 dst_sel:DWORD dst_unused:UNUSED_PAD src0_sel:WORD_0
	;; [unrolled: 2-line block ×9, first 2 shown]
	s_waitcnt vmcnt(2)
	v_cvt_f32_u32_sdwa v57, v10 dst_sel:DWORD dst_unused:UNUSED_PAD src0_sel:WORD_1
	v_cvt_f32_u32_sdwa v56, v10 dst_sel:DWORD dst_unused:UNUSED_PAD src0_sel:WORD_0
	v_cvt_f32_u32_sdwa v59, v11 dst_sel:DWORD dst_unused:UNUSED_PAD src0_sel:WORD_1
	v_cvt_f32_u32_sdwa v58, v11 dst_sel:DWORD dst_unused:UNUSED_PAD src0_sel:WORD_0
	;; [unrolled: 2-line block ×4, first 2 shown]
	s_waitcnt vmcnt(1)
	v_cvt_f32_u32_sdwa v65, v18 dst_sel:DWORD dst_unused:UNUSED_PAD src0_sel:WORD_1
	v_cvt_f32_u32_sdwa v64, v18 dst_sel:DWORD dst_unused:UNUSED_PAD src0_sel:WORD_0
	v_pk_add_f32 v[32:33], v[26:27], v[22:23]
	v_cvt_f32_u32_sdwa v23, v19 dst_sel:DWORD dst_unused:UNUSED_PAD src0_sel:WORD_1
	v_cvt_f32_u32_sdwa v22, v19 dst_sel:DWORD dst_unused:UNUSED_PAD src0_sel:WORD_0
	v_cvt_f32_u32_sdwa v19, v20 dst_sel:DWORD dst_unused:UNUSED_PAD src0_sel:WORD_1
	v_cvt_f32_u32_sdwa v18, v20 dst_sel:DWORD dst_unused:UNUSED_PAD src0_sel:WORD_0
	;; [unrolled: 2-line block ×3, first 2 shown]
	v_pk_add_f32 v[24:25], v[34:35], v[2:3]
	buffer_load_dwordx4 v[10:13], v1, s[20:23], 0 offen
	buffer_load_dwordx4 v[2:5], v1, s[20:23], 16 offen
	v_pk_add_f32 v[28:29], v[36:37], v[28:29]
	v_pk_add_f32 v[36:37], v[38:39], v[54:55]
	v_pk_add_f32 v[40:41], v[40:41], v[56:57]
	v_pk_add_f32 v[38:39], v[42:43], v[58:59]
	v_pk_add_f32 v[34:35], v[30:31], v[60:61]
	v_pk_add_f32 v[30:31], v[44:45], v[62:63]
	v_pk_add_f32 v[26:27], v[46:47], v[64:65]
	v_pk_add_f32 v[18:19], v[50:51], v[18:19]
	v_cvt_f32_u32_sdwa v45, v6 dst_sel:DWORD dst_unused:UNUSED_PAD src0_sel:WORD_1
	v_cvt_f32_u32_sdwa v44, v6 dst_sel:DWORD dst_unused:UNUSED_PAD src0_sel:WORD_0
	s_waitcnt vmcnt(2)
	v_cvt_f32_u32_sdwa v47, v14 dst_sel:DWORD dst_unused:UNUSED_PAD src0_sel:WORD_1
	v_cvt_f32_u32_sdwa v46, v14 dst_sel:DWORD dst_unused:UNUSED_PAD src0_sel:WORD_0
	v_cvt_f32_u32_sdwa v51, v7 dst_sel:DWORD dst_unused:UNUSED_PAD src0_sel:WORD_1
	v_cvt_f32_u32_sdwa v50, v7 dst_sel:DWORD dst_unused:UNUSED_PAD src0_sel:WORD_0
	;; [unrolled: 2-line block ×7, first 2 shown]
	buffer_load_dwordx4 v[14:17], v1, s[20:23], 32 offen
	buffer_load_dwordx4 v[6:9], v1, s[20:23], 48 offen
	v_cvt_f32_u32_sdwa v43, v21 dst_sel:DWORD dst_unused:UNUSED_PAD src0_sel:WORD_1
	v_cvt_f32_u32_sdwa v42, v21 dst_sel:DWORD dst_unused:UNUSED_PAD src0_sel:WORD_0
	v_pk_add_f32 v[22:23], v[48:49], v[22:23]
	v_pk_add_f32 v[48:49], v[44:45], v[46:47]
	;; [unrolled: 1-line block ×6, first 2 shown]
	v_perm_b32 v53, v47, v46, s4
	v_perm_b32 v52, v43, v42, s4
	v_perm_b32 v51, v45, v44, s4
	v_perm_b32 v50, v49, v48, s4
	buffer_store_dwordx4 v[50:53], v1, s[0:3], 0 offen
	;;#ASMSTART
	s_nop 0
	;;#ASMEND
	v_pk_mul_f32 v[54:55], v[42:43], v[42:43]
	v_perm_b32 v53, v37, v36, s4
	v_perm_b32 v52, v33, v32, s4
	v_perm_b32 v51, v29, v28, s4
	v_perm_b32 v50, v25, v24, s4
	buffer_store_dwordx4 v[50:53], v1, s[0:3], 16 offen
	;;#ASMSTART
	s_nop 0
	;;#ASMEND
	v_pk_mul_f32 v[56:57], v[46:47], v[46:47]
	;; [unrolled: 9-line block ×3, first 2 shown]
	v_perm_b32 v53, v21, v20, s4
	v_perm_b32 v52, v19, v18, s4
	;; [unrolled: 1-line block ×4, first 2 shown]
	buffer_store_dwordx4 v[50:53], v1, s[0:3], 48 offen
	;;#ASMSTART
	s_nop 0
	;;#ASMEND
	s_nop 0
	v_pk_mul_f32 v[50:51], v[48:49], v[48:49]
	v_pk_mul_f32 v[52:53], v[44:45], v[44:45]
	v_add_f32_e32 v50, v50, v51
	v_add_f32_e32 v50, v52, v50
	;; [unrolled: 1-line block ×8, first 2 shown]
	v_pk_mul_f32 v[50:51], v[28:29], v[28:29]
	v_add_f32_e32 v58, v59, v56
	v_add_f32_e32 v50, v50, v58
	v_pk_mul_f32 v[52:53], v[32:33], v[32:33]
	v_add_f32_e32 v58, v51, v50
	v_add_f32_e32 v52, v52, v58
	;; [unrolled: 3-line block ×11, first 2 shown]
	v_add_f32_e32 v50, v55, v50
	v_and_b32_e32 v52, 63, v0
	v_cmp_eq_u32_e32 vcc, 63, v52
	v_mov_b32_dpp v51, v50 quad_perm:[1,0,3,2] row_mask:0xf bank_mask:0xf
	v_add_f32_e32 v50, v50, v51
	s_nop 1
	v_mov_b32_dpp v51, v50 quad_perm:[2,3,0,1] row_mask:0xf bank_mask:0xf
	v_add_f32_e32 v50, v50, v51
	s_nop 1
	v_mov_b32_dpp v51, v50 row_half_mirror row_mask:0xf bank_mask:0xf
	v_add_f32_e32 v50, v50, v51
	s_nop 1
	v_mov_b32_dpp v51, v50 row_mirror row_mask:0xf bank_mask:0xf
	v_add_f32_e32 v50, v50, v51
	s_nop 1
	v_mov_b32_dpp v51, v50 row_bcast:15 row_mask:0xf bank_mask:0xf
	v_add_f32_e32 v50, v50, v51
	s_nop 1
	v_mov_b32_dpp v51, v50 row_bcast:31 row_mask:0xf bank_mask:0xf
	s_and_saveexec_b64 s[0:1], vcc
	s_cbranch_execz .LBB136_3
; %bb.2:
	v_lshrrev_b32_e32 v52, 4, v0
	v_and_b32_e32 v52, 60, v52
	v_add_f32_e32 v50, v50, v51
	ds_write_b32 v52, v50
.LBB136_3:
	s_or_b64 exec, exec, s[0:1]
	v_and_b32_e32 v0, 3, v0
	v_lshlrev_b32_e32 v0, 2, v0
	s_waitcnt lgkmcnt(0)
	s_barrier
	ds_read_b32 v0, v0
	s_ashr_i32 s5, s19, 31
	s_mul_hi_u32 s7, s19, s6
	s_mul_i32 s5, s5, s6
	s_waitcnt lgkmcnt(0)
	v_mov_b32_dpp v50, v0 quad_perm:[1,0,3,2] row_mask:0xf bank_mask:0xf
	v_add_f32_e32 v0, v0, v50
	v_cvt_f32_i32_e32 v50, s17
	s_nop 0
	v_mov_b32_dpp v51, v0 quad_perm:[2,3,0,1] row_mask:0xf bank_mask:0xf
	v_add_f32_e32 v0, v0, v51
	v_div_scale_f32 v51, s[0:1], v50, v50, v0
	v_rcp_f32_e32 v52, v51
	s_add_i32 s1, s7, s5
	s_mov_b32 s5, 0x800000
	s_mul_i32 s0, s19, s6
	v_fma_f32 v53, -v51, v52, 1.0
	v_fmac_f32_e32 v52, v53, v52
	v_div_scale_f32 v53, vcc, v0, v50, v0
	v_mul_f32_e32 v54, v53, v52
	v_fma_f32 v55, -v51, v54, v53
	v_fmac_f32_e32 v54, v55, v52
	v_fma_f32 v51, -v51, v54, v53
	v_div_fmas_f32 v51, v51, v52, v54
	v_div_fixup_f32 v0, v51, v50, v0
	v_cvt_f64_f32_e32 v[50:51], v0
	v_add_f64 v[50:51], v[50:51], s[14:15]
	v_cvt_f32_f64_e32 v0, v[50:51]
	v_mul_f32_e32 v50, 0x4b800000, v0
	v_cmp_gt_f32_e32 vcc, s5, v0
	v_cndmask_b32_e32 v0, v0, v50, vcc
	v_rsq_f32_e32 v0, v0
	s_waitcnt vmcnt(7)
	v_cvt_f32_u32_sdwa v53, v11 dst_sel:DWORD dst_unused:UNUSED_PAD src0_sel:WORD_1
	v_cvt_f32_u32_sdwa v52, v11 dst_sel:DWORD dst_unused:UNUSED_PAD src0_sel:WORD_0
	v_cvt_f32_u32_sdwa v11, v12 dst_sel:DWORD dst_unused:UNUSED_PAD src0_sel:WORD_1
	v_mul_f32_e32 v50, 0x45800000, v0
	v_cndmask_b32_e32 v50, v0, v50, vcc
	v_mov_b32_e32 v51, v50
	;;#ASMSTART
	v_pk_mul_f32 v[48:49], v[48:49], v[50:51]
	;;#ASMEND
	;;#ASMSTART
	v_pk_mul_f32 v[44:45], v[44:45], v[50:51]
	;;#ASMEND
	;; [unrolled: 3-line block ×16, first 2 shown]
	v_cvt_f32_u32_sdwa v51, v10 dst_sel:DWORD dst_unused:UNUSED_PAD src0_sel:WORD_1
	v_cvt_f32_u32_sdwa v50, v10 dst_sel:DWORD dst_unused:UNUSED_PAD src0_sel:WORD_0
	v_cvt_f32_u32_sdwa v10, v12 dst_sel:DWORD dst_unused:UNUSED_PAD src0_sel:WORD_0
	s_lshl_b64 s[0:1], s[0:1], 1
	v_cvt_f32_u32_sdwa v55, v13 dst_sel:DWORD dst_unused:UNUSED_PAD src0_sel:WORD_1
	v_cvt_f32_u32_sdwa v54, v13 dst_sel:DWORD dst_unused:UNUSED_PAD src0_sel:WORD_0
	;;#ASMSTART
	v_pk_mul_f32 v[12:13], v[48:49], v[50:51]
	;;#ASMEND
	;;#ASMSTART
	v_pk_mul_f32 v[44:45], v[44:45], v[52:53]
	;;#ASMEND
	;;#ASMSTART
	v_pk_mul_f32 v[10:11], v[42:43], v[10:11]
	;;#ASMEND
	;;#ASMSTART
	v_pk_mul_f32 v[42:43], v[46:47], v[54:55]
	;;#ASMEND
	s_waitcnt vmcnt(6)
	v_cvt_f32_u32_sdwa v47, v2 dst_sel:DWORD dst_unused:UNUSED_PAD src0_sel:WORD_1
	v_cvt_f32_u32_sdwa v46, v2 dst_sel:DWORD dst_unused:UNUSED_PAD src0_sel:WORD_0
	v_cvt_f32_u32_sdwa v49, v3 dst_sel:DWORD dst_unused:UNUSED_PAD src0_sel:WORD_1
	v_cvt_f32_u32_sdwa v48, v3 dst_sel:DWORD dst_unused:UNUSED_PAD src0_sel:WORD_0
	v_cvt_f32_u32_sdwa v3, v4 dst_sel:DWORD dst_unused:UNUSED_PAD src0_sel:WORD_1
	v_cvt_f32_u32_sdwa v2, v4 dst_sel:DWORD dst_unused:UNUSED_PAD src0_sel:WORD_0
	s_add_u32 s0, s8, s0
	v_cvt_f32_u32_sdwa v51, v5 dst_sel:DWORD dst_unused:UNUSED_PAD src0_sel:WORD_1
	v_cvt_f32_u32_sdwa v50, v5 dst_sel:DWORD dst_unused:UNUSED_PAD src0_sel:WORD_0
	;;#ASMSTART
	v_pk_mul_f32 v[24:25], v[24:25], v[46:47]
	;;#ASMEND
	;;#ASMSTART
	v_pk_mul_f32 v[28:29], v[28:29], v[48:49]
	;;#ASMEND
	;; [unrolled: 3-line block ×3, first 2 shown]
	s_waitcnt vmcnt(5)
	v_cvt_f32_u32_sdwa v3, v14 dst_sel:DWORD dst_unused:UNUSED_PAD src0_sel:WORD_1
	v_cvt_f32_u32_sdwa v2, v14 dst_sel:DWORD dst_unused:UNUSED_PAD src0_sel:WORD_0
	v_cvt_f32_u32_sdwa v5, v15 dst_sel:DWORD dst_unused:UNUSED_PAD src0_sel:WORD_1
	v_cvt_f32_u32_sdwa v4, v15 dst_sel:DWORD dst_unused:UNUSED_PAD src0_sel:WORD_0
	s_addc_u32 s1, s9, s1
	;;#ASMSTART
	v_pk_mul_f32 v[36:37], v[36:37], v[50:51]
	;;#ASMEND
	v_cvt_f32_u32_sdwa v15, v16 dst_sel:DWORD dst_unused:UNUSED_PAD src0_sel:WORD_1
	v_cvt_f32_u32_sdwa v14, v16 dst_sel:DWORD dst_unused:UNUSED_PAD src0_sel:WORD_0
	v_cvt_f32_u32_sdwa v47, v17 dst_sel:DWORD dst_unused:UNUSED_PAD src0_sel:WORD_1
	v_cvt_f32_u32_sdwa v46, v17 dst_sel:DWORD dst_unused:UNUSED_PAD src0_sel:WORD_0
	;;#ASMSTART
	v_pk_mul_f32 v[16:17], v[40:41], v[2:3]
	;;#ASMEND
	;;#ASMSTART
	v_pk_mul_f32 v[38:39], v[38:39], v[4:5]
	;;#ASMEND
	s_waitcnt vmcnt(4)
	v_cvt_f32_u32_sdwa v3, v6 dst_sel:DWORD dst_unused:UNUSED_PAD src0_sel:WORD_1
	v_cvt_f32_u32_sdwa v2, v6 dst_sel:DWORD dst_unused:UNUSED_PAD src0_sel:WORD_0
	v_cvt_f32_u32_sdwa v5, v7 dst_sel:DWORD dst_unused:UNUSED_PAD src0_sel:WORD_1
	v_cvt_f32_u32_sdwa v4, v7 dst_sel:DWORD dst_unused:UNUSED_PAD src0_sel:WORD_0
	;;#ASMSTART
	v_pk_mul_f32 v[14:15], v[34:35], v[14:15]
	;;#ASMEND
	;;#ASMSTART
	v_pk_mul_f32 v[30:31], v[30:31], v[46:47]
	;;#ASMEND
	v_cvt_f32_u32_sdwa v7, v8 dst_sel:DWORD dst_unused:UNUSED_PAD src0_sel:WORD_1
	v_cvt_f32_u32_sdwa v6, v8 dst_sel:DWORD dst_unused:UNUSED_PAD src0_sel:WORD_0
	v_cvt_f32_u32_sdwa v35, v9 dst_sel:DWORD dst_unused:UNUSED_PAD src0_sel:WORD_1
	v_cvt_f32_u32_sdwa v34, v9 dst_sel:DWORD dst_unused:UNUSED_PAD src0_sel:WORD_0
	;;#ASMSTART
	v_pk_mul_f32 v[8:9], v[26:27], v[2:3]
	;;#ASMEND
	;;#ASMSTART
	v_pk_mul_f32 v[22:23], v[22:23], v[4:5]
	;;#ASMEND
	s_and_b32 s1, s1, 0xffff
	v_perm_b32 v2, v13, v12, s4
	v_perm_b32 v3, v45, v44, s4
	;; [unrolled: 1-line block ×4, first 2 shown]
	;;#ASMSTART
	v_pk_mul_f32 v[6:7], v[18:19], v[6:7]
	;;#ASMEND
	;;#ASMSTART
	v_pk_mul_f32 v[18:19], v[20:21], v[34:35]
	;;#ASMEND
	buffer_store_dwordx4 v[2:5], v1, s[0:3], 0 offen
	;;#ASMSTART
	s_nop 0
	;;#ASMEND
	s_nop 0
	v_perm_b32 v2, v25, v24, s4
	v_perm_b32 v3, v29, v28, s4
	v_perm_b32 v4, v33, v32, s4
	v_perm_b32 v5, v37, v36, s4
	buffer_store_dwordx4 v[2:5], v1, s[0:3], 16 offen
	;;#ASMSTART
	s_nop 0
	;;#ASMEND
	s_nop 0
	v_perm_b32 v2, v17, v16, s4
	v_perm_b32 v3, v39, v38, s4
	v_perm_b32 v4, v15, v14, s4
	v_perm_b32 v5, v31, v30, s4
	;; [unrolled: 9-line block ×3, first 2 shown]
	buffer_store_dwordx4 v[2:5], v1, s[0:3], 48 offen
	;;#ASMSTART
	s_nop 0
	;;#ASMEND
.LBB136_4:
	s_endpgm
	.section	.rodata,"a",@progbits
	.p2align	6, 0x0
	.amdhsa_kernel _ZN5aiter24add_rmsnorm_quant_kernelIttLi256ELi32ELb1ELb0ELb0ELi1EEEvPT0_PT_PfS4_S4_S4_diiiiiiib
		.amdhsa_group_segment_fixed_size 16
		.amdhsa_private_segment_fixed_size 0
		.amdhsa_kernarg_size 88
		.amdhsa_user_sgpr_count 6
		.amdhsa_user_sgpr_private_segment_buffer 1
		.amdhsa_user_sgpr_dispatch_ptr 0
		.amdhsa_user_sgpr_queue_ptr 0
		.amdhsa_user_sgpr_kernarg_segment_ptr 1
		.amdhsa_user_sgpr_dispatch_id 0
		.amdhsa_user_sgpr_flat_scratch_init 0
		.amdhsa_user_sgpr_kernarg_preload_length 0
		.amdhsa_user_sgpr_kernarg_preload_offset 0
		.amdhsa_user_sgpr_private_segment_size 0
		.amdhsa_uses_dynamic_stack 0
		.amdhsa_system_sgpr_private_segment_wavefront_offset 0
		.amdhsa_system_sgpr_workgroup_id_x 1
		.amdhsa_system_sgpr_workgroup_id_y 0
		.amdhsa_system_sgpr_workgroup_id_z 0
		.amdhsa_system_sgpr_workgroup_info 0
		.amdhsa_system_vgpr_workitem_id 0
		.amdhsa_next_free_vgpr 66
		.amdhsa_next_free_sgpr 24
		.amdhsa_accum_offset 68
		.amdhsa_reserve_vcc 1
		.amdhsa_reserve_flat_scratch 0
		.amdhsa_float_round_mode_32 0
		.amdhsa_float_round_mode_16_64 0
		.amdhsa_float_denorm_mode_32 3
		.amdhsa_float_denorm_mode_16_64 3
		.amdhsa_dx10_clamp 1
		.amdhsa_ieee_mode 1
		.amdhsa_fp16_overflow 0
		.amdhsa_tg_split 0
		.amdhsa_exception_fp_ieee_invalid_op 0
		.amdhsa_exception_fp_denorm_src 0
		.amdhsa_exception_fp_ieee_div_zero 0
		.amdhsa_exception_fp_ieee_overflow 0
		.amdhsa_exception_fp_ieee_underflow 0
		.amdhsa_exception_fp_ieee_inexact 0
		.amdhsa_exception_int_div_zero 0
	.end_amdhsa_kernel
	.section	.text._ZN5aiter24add_rmsnorm_quant_kernelIttLi256ELi32ELb1ELb0ELb0ELi1EEEvPT0_PT_PfS4_S4_S4_diiiiiiib,"axG",@progbits,_ZN5aiter24add_rmsnorm_quant_kernelIttLi256ELi32ELb1ELb0ELb0ELi1EEEvPT0_PT_PfS4_S4_S4_diiiiiiib,comdat
.Lfunc_end136:
	.size	_ZN5aiter24add_rmsnorm_quant_kernelIttLi256ELi32ELb1ELb0ELb0ELi1EEEvPT0_PT_PfS4_S4_S4_diiiiiiib, .Lfunc_end136-_ZN5aiter24add_rmsnorm_quant_kernelIttLi256ELi32ELb1ELb0ELb0ELi1EEEvPT0_PT_PfS4_S4_S4_diiiiiiib
                                        ; -- End function
	.section	.AMDGPU.csdata,"",@progbits
; Kernel info:
; codeLenInByte = 2552
; NumSgprs: 28
; NumVgprs: 66
; NumAgprs: 0
; TotalNumVgprs: 66
; ScratchSize: 0
; MemoryBound: 0
; FloatMode: 240
; IeeeMode: 1
; LDSByteSize: 16 bytes/workgroup (compile time only)
; SGPRBlocks: 3
; VGPRBlocks: 8
; NumSGPRsForWavesPerEU: 28
; NumVGPRsForWavesPerEU: 66
; AccumOffset: 68
; Occupancy: 7
; WaveLimiterHint : 0
; COMPUTE_PGM_RSRC2:SCRATCH_EN: 0
; COMPUTE_PGM_RSRC2:USER_SGPR: 6
; COMPUTE_PGM_RSRC2:TRAP_HANDLER: 0
; COMPUTE_PGM_RSRC2:TGID_X_EN: 1
; COMPUTE_PGM_RSRC2:TGID_Y_EN: 0
; COMPUTE_PGM_RSRC2:TGID_Z_EN: 0
; COMPUTE_PGM_RSRC2:TIDIG_COMP_CNT: 0
; COMPUTE_PGM_RSRC3_GFX90A:ACCUM_OFFSET: 16
; COMPUTE_PGM_RSRC3_GFX90A:TG_SPLIT: 0
	.section	.text._ZN5aiter24add_rmsnorm_quant_kernelIDF16_DF16_Li64ELi8ELb0ELb0ELb1ELi1EEEvPT0_PT_PfS4_S4_S4_diiiiiiib,"axG",@progbits,_ZN5aiter24add_rmsnorm_quant_kernelIDF16_DF16_Li64ELi8ELb0ELb0ELb1ELi1EEEvPT0_PT_PfS4_S4_S4_diiiiiiib,comdat
	.protected	_ZN5aiter24add_rmsnorm_quant_kernelIDF16_DF16_Li64ELi8ELb0ELb0ELb1ELi1EEEvPT0_PT_PfS4_S4_S4_diiiiiiib ; -- Begin function _ZN5aiter24add_rmsnorm_quant_kernelIDF16_DF16_Li64ELi8ELb0ELb0ELb1ELi1EEEvPT0_PT_PfS4_S4_S4_diiiiiiib
	.globl	_ZN5aiter24add_rmsnorm_quant_kernelIDF16_DF16_Li64ELi8ELb0ELb0ELb1ELi1EEEvPT0_PT_PfS4_S4_S4_diiiiiiib
	.p2align	8
	.type	_ZN5aiter24add_rmsnorm_quant_kernelIDF16_DF16_Li64ELi8ELb0ELb0ELb1ELi1EEEvPT0_PT_PfS4_S4_S4_diiiiiiib,@function
_ZN5aiter24add_rmsnorm_quant_kernelIDF16_DF16_Li64ELi8ELb0ELb0ELb1ELi1EEEvPT0_PT_PfS4_S4_S4_diiiiiiib: ; @_ZN5aiter24add_rmsnorm_quant_kernelIDF16_DF16_Li64ELi8ELb0ELb0ELb1ELi1EEEvPT0_PT_PfS4_S4_S4_diiiiiiib
; %bb.0:
	s_load_dwordx4 s[12:15], s[4:5], 0x38
	s_mov_b32 s7, 0
	s_waitcnt lgkmcnt(0)
	s_ashr_i32 s0, s12, 31
	v_mov_b32_e32 v2, s12
	v_mov_b32_e32 v3, s0
	v_cmp_ge_i64_e32 vcc, s[6:7], v[2:3]
	s_cbranch_vccnz .LBB137_2
; %bb.1:
	s_load_dword s7, s[4:5], 0x4c
	s_load_dwordx4 s[8:11], s[4:5], 0x28
	s_load_dwordx2 s[0:1], s[4:5], 0x18
	s_ashr_i32 s2, s14, 31
	s_mul_hi_u32 s3, s14, s6
	s_mul_i32 s2, s2, s6
	s_add_i32 s3, s3, s2
	s_mul_i32 s2, s14, s6
	s_waitcnt lgkmcnt(0)
	s_ashr_i32 s12, s7, 31
	s_lshl_b64 s[2:3], s[2:3], 1
	s_add_u32 s0, s0, s2
	s_addc_u32 s1, s1, s3
	s_add_i32 s2, s13, 1
	s_lshr_b32 s3, s2, 31
	s_add_i32 s2, s2, s3
	s_lshl_b32 s2, s2, 1
	s_and_b32 s2, s2, -4
	s_and_b32 s1, s1, 0xffff
	s_mov_b32 s3, 0x20000
	v_lshlrev_b32_e32 v22, 4, v0
	buffer_load_dwordx4 v[4:7], v22, s[0:3], 0 offen glc slc
	s_and_b32 s17, s9, 0xffff
	s_mov_b32 s16, s8
	s_mov_b32 s18, s2
	;; [unrolled: 1-line block ×3, first 2 shown]
	buffer_load_dwordx4 v[0:3], v22, s[16:19], 0 offen
	v_mbcnt_lo_u32_b32 v8, -1, 0
	v_bfrev_b32_e32 v9, 0.5
	v_mbcnt_hi_u32_b32 v8, -1, v8
	v_lshl_or_b32 v13, v8, 2, v9
	s_load_dwordx2 s[0:1], s[4:5], 0x0
	v_cvt_f32_i32_e32 v23, s13
	s_mul_hi_u32 s5, s7, s6
	s_mul_i32 s12, s12, s6
	s_mul_i32 s4, s7, s6
	s_add_i32 s5, s5, s12
	s_lshl_b64 s[4:5], s[4:5], 1
	s_waitcnt lgkmcnt(0)
	s_add_u32 s0, s0, s4
	s_addc_u32 s1, s1, s5
	s_mov_b32 s8, 0x800000
	s_and_b32 s1, s1, 0xffff
	s_waitcnt vmcnt(1)
	v_cvt_f32_f16_e32 v8, v4
	v_cvt_f32_f16_sdwa v9, v4 dst_sel:DWORD dst_unused:UNUSED_PAD src0_sel:WORD_1
	v_cvt_f32_f16_e32 v4, v5
	v_cvt_f32_f16_sdwa v5, v5 dst_sel:DWORD dst_unused:UNUSED_PAD src0_sel:WORD_1
	;; [unrolled: 2-line block ×3, first 2 shown]
	v_pk_mul_f32 v[14:15], v[8:9], v[8:9]
	v_cvt_f32_f16_e32 v6, v7
	v_cvt_f32_f16_sdwa v7, v7 dst_sel:DWORD dst_unused:UNUSED_PAD src0_sel:WORD_1
	v_pk_mul_f32 v[16:17], v[4:5], v[4:5]
	v_add_f32_e32 v14, v14, v15
	v_add_f32_e32 v14, v16, v14
	v_pk_mul_f32 v[18:19], v[10:11], v[10:11]
	v_add_f32_e32 v14, v17, v14
	v_add_f32_e32 v14, v18, v14
	;; [unrolled: 3-line block ×3, first 2 shown]
	v_add_f32_e32 v14, v21, v14
	s_waitcnt vmcnt(0)
	v_cvt_f32_f16_e32 v12, v0
	v_mov_b32_dpp v15, v14 quad_perm:[1,0,3,2] row_mask:0xf bank_mask:0xf
	v_add_f32_e32 v14, v14, v15
	s_nop 1
	v_mov_b32_dpp v15, v14 quad_perm:[2,3,0,1] row_mask:0xf bank_mask:0xf
	v_add_f32_e32 v14, v14, v15
	s_nop 1
	v_mov_b32_dpp v15, v14 row_half_mirror row_mask:0xf bank_mask:0xf
	v_add_f32_e32 v14, v14, v15
	s_nop 1
	v_mov_b32_dpp v15, v14 row_mirror row_mask:0xf bank_mask:0xf
	v_add_f32_e32 v14, v14, v15
	s_nop 1
	v_mov_b32_dpp v15, v14 row_bcast:15 row_mask:0xf bank_mask:0xf
	v_add_f32_e32 v14, v14, v15
	s_nop 1
	v_mov_b32_dpp v15, v14 row_bcast:31 row_mask:0xf bank_mask:0xf
	v_add_f32_e32 v14, v14, v15
	ds_bpermute_b32 v15, v13, v14
	v_cvt_f32_f16_sdwa v13, v0 dst_sel:DWORD dst_unused:UNUSED_PAD src0_sel:WORD_1
	v_cvt_f32_f16_e32 v0, v1
	v_cvt_f32_f16_sdwa v1, v1 dst_sel:DWORD dst_unused:UNUSED_PAD src0_sel:WORD_1
	v_cvt_f32_f16_e32 v14, v2
	s_waitcnt lgkmcnt(0)
	v_div_scale_f32 v16, s[4:5], v23, v23, v15
	v_rcp_f32_e32 v17, v16
	v_div_scale_f32 v18, vcc, v15, v23, v15
	v_fma_f32 v19, -v16, v17, 1.0
	v_fmac_f32_e32 v17, v19, v17
	v_mul_f32_e32 v19, v18, v17
	v_fma_f32 v20, -v16, v19, v18
	v_fmac_f32_e32 v19, v20, v17
	v_fma_f32 v16, -v16, v19, v18
	v_div_fmas_f32 v16, v16, v17, v19
	v_div_fixup_f32 v15, v16, v23, v15
	v_cvt_f64_f32_e32 v[16:17], v15
	v_add_f64 v[16:17], v[16:17], s[10:11]
	v_cvt_f32_f64_e32 v15, v[16:17]
	v_mul_f32_e32 v16, 0x4b800000, v15
	v_cmp_gt_f32_e32 vcc, s8, v15
	v_cndmask_b32_e32 v15, v15, v16, vcc
	v_rsq_f32_e32 v16, v15
	v_cvt_f32_f16_sdwa v15, v2 dst_sel:DWORD dst_unused:UNUSED_PAD src0_sel:WORD_1
	v_cvt_f32_f16_e32 v2, v3
	v_cvt_f32_f16_sdwa v3, v3 dst_sel:DWORD dst_unused:UNUSED_PAD src0_sel:WORD_1
	v_mul_f32_e32 v17, 0x45800000, v16
	v_cndmask_b32_e32 v16, v16, v17, vcc
	v_mov_b32_e32 v17, v16
	;;#ASMSTART
	v_pk_mul_f32 v[8:9], v[8:9], v[16:17]
	;;#ASMEND
	;;#ASMSTART
	v_pk_mul_f32 v[4:5], v[4:5], v[16:17]
	;;#ASMEND
	;;#ASMSTART
	v_pk_mul_f32 v[10:11], v[10:11], v[16:17]
	;;#ASMEND
	;;#ASMSTART
	v_pk_mul_f32 v[6:7], v[6:7], v[16:17]
	;;#ASMEND
	;;#ASMSTART
	v_pk_mul_f32 v[8:9], v[8:9], v[12:13]
	;;#ASMEND
	;;#ASMSTART
	v_pk_mul_f32 v[0:1], v[4:5], v[0:1]
	;;#ASMEND
	;;#ASMSTART
	v_pk_mul_f32 v[4:5], v[10:11], v[14:15]
	;;#ASMEND
	;;#ASMSTART
	v_pk_mul_f32 v[2:3], v[6:7], v[2:3]
	;;#ASMEND
	v_cvt_f16_f32_e32 v6, v8
	v_cvt_f16_f32_e32 v7, v9
	;; [unrolled: 1-line block ×8, first 2 shown]
	v_pack_b32_f16 v0, v6, v7
	v_pack_b32_f16 v1, v8, v1
	;; [unrolled: 1-line block ×4, first 2 shown]
	buffer_store_dwordx4 v[0:3], v22, s[0:3], 0 offen
	;;#ASMSTART
	s_nop 0
	;;#ASMEND
.LBB137_2:
	s_endpgm
	.section	.rodata,"a",@progbits
	.p2align	6, 0x0
	.amdhsa_kernel _ZN5aiter24add_rmsnorm_quant_kernelIDF16_DF16_Li64ELi8ELb0ELb0ELb1ELi1EEEvPT0_PT_PfS4_S4_S4_diiiiiiib
		.amdhsa_group_segment_fixed_size 0
		.amdhsa_private_segment_fixed_size 0
		.amdhsa_kernarg_size 88
		.amdhsa_user_sgpr_count 6
		.amdhsa_user_sgpr_private_segment_buffer 1
		.amdhsa_user_sgpr_dispatch_ptr 0
		.amdhsa_user_sgpr_queue_ptr 0
		.amdhsa_user_sgpr_kernarg_segment_ptr 1
		.amdhsa_user_sgpr_dispatch_id 0
		.amdhsa_user_sgpr_flat_scratch_init 0
		.amdhsa_user_sgpr_kernarg_preload_length 0
		.amdhsa_user_sgpr_kernarg_preload_offset 0
		.amdhsa_user_sgpr_private_segment_size 0
		.amdhsa_uses_dynamic_stack 0
		.amdhsa_system_sgpr_private_segment_wavefront_offset 0
		.amdhsa_system_sgpr_workgroup_id_x 1
		.amdhsa_system_sgpr_workgroup_id_y 0
		.amdhsa_system_sgpr_workgroup_id_z 0
		.amdhsa_system_sgpr_workgroup_info 0
		.amdhsa_system_vgpr_workitem_id 0
		.amdhsa_next_free_vgpr 24
		.amdhsa_next_free_sgpr 20
		.amdhsa_accum_offset 24
		.amdhsa_reserve_vcc 1
		.amdhsa_reserve_flat_scratch 0
		.amdhsa_float_round_mode_32 0
		.amdhsa_float_round_mode_16_64 0
		.amdhsa_float_denorm_mode_32 3
		.amdhsa_float_denorm_mode_16_64 3
		.amdhsa_dx10_clamp 1
		.amdhsa_ieee_mode 1
		.amdhsa_fp16_overflow 0
		.amdhsa_tg_split 0
		.amdhsa_exception_fp_ieee_invalid_op 0
		.amdhsa_exception_fp_denorm_src 0
		.amdhsa_exception_fp_ieee_div_zero 0
		.amdhsa_exception_fp_ieee_overflow 0
		.amdhsa_exception_fp_ieee_underflow 0
		.amdhsa_exception_fp_ieee_inexact 0
		.amdhsa_exception_int_div_zero 0
	.end_amdhsa_kernel
	.section	.text._ZN5aiter24add_rmsnorm_quant_kernelIDF16_DF16_Li64ELi8ELb0ELb0ELb1ELi1EEEvPT0_PT_PfS4_S4_S4_diiiiiiib,"axG",@progbits,_ZN5aiter24add_rmsnorm_quant_kernelIDF16_DF16_Li64ELi8ELb0ELb0ELb1ELi1EEEvPT0_PT_PfS4_S4_S4_diiiiiiib,comdat
.Lfunc_end137:
	.size	_ZN5aiter24add_rmsnorm_quant_kernelIDF16_DF16_Li64ELi8ELb0ELb0ELb1ELi1EEEvPT0_PT_PfS4_S4_S4_diiiiiiib, .Lfunc_end137-_ZN5aiter24add_rmsnorm_quant_kernelIDF16_DF16_Li64ELi8ELb0ELb0ELb1ELi1EEEvPT0_PT_PfS4_S4_S4_diiiiiiib
                                        ; -- End function
	.section	.AMDGPU.csdata,"",@progbits
; Kernel info:
; codeLenInByte = 804
; NumSgprs: 24
; NumVgprs: 24
; NumAgprs: 0
; TotalNumVgprs: 24
; ScratchSize: 0
; MemoryBound: 0
; FloatMode: 240
; IeeeMode: 1
; LDSByteSize: 0 bytes/workgroup (compile time only)
; SGPRBlocks: 2
; VGPRBlocks: 2
; NumSGPRsForWavesPerEU: 24
; NumVGPRsForWavesPerEU: 24
; AccumOffset: 24
; Occupancy: 8
; WaveLimiterHint : 0
; COMPUTE_PGM_RSRC2:SCRATCH_EN: 0
; COMPUTE_PGM_RSRC2:USER_SGPR: 6
; COMPUTE_PGM_RSRC2:TRAP_HANDLER: 0
; COMPUTE_PGM_RSRC2:TGID_X_EN: 1
; COMPUTE_PGM_RSRC2:TGID_Y_EN: 0
; COMPUTE_PGM_RSRC2:TGID_Z_EN: 0
; COMPUTE_PGM_RSRC2:TIDIG_COMP_CNT: 0
; COMPUTE_PGM_RSRC3_GFX90A:ACCUM_OFFSET: 5
; COMPUTE_PGM_RSRC3_GFX90A:TG_SPLIT: 0
	.section	.text._ZN5aiter24add_rmsnorm_quant_kernelIttLi64ELi8ELb0ELb0ELb1ELi1EEEvPT0_PT_PfS4_S4_S4_diiiiiiib,"axG",@progbits,_ZN5aiter24add_rmsnorm_quant_kernelIttLi64ELi8ELb0ELb0ELb1ELi1EEEvPT0_PT_PfS4_S4_S4_diiiiiiib,comdat
	.protected	_ZN5aiter24add_rmsnorm_quant_kernelIttLi64ELi8ELb0ELb0ELb1ELi1EEEvPT0_PT_PfS4_S4_S4_diiiiiiib ; -- Begin function _ZN5aiter24add_rmsnorm_quant_kernelIttLi64ELi8ELb0ELb0ELb1ELi1EEEvPT0_PT_PfS4_S4_S4_diiiiiiib
	.globl	_ZN5aiter24add_rmsnorm_quant_kernelIttLi64ELi8ELb0ELb0ELb1ELi1EEEvPT0_PT_PfS4_S4_S4_diiiiiiib
	.p2align	8
	.type	_ZN5aiter24add_rmsnorm_quant_kernelIttLi64ELi8ELb0ELb0ELb1ELi1EEEvPT0_PT_PfS4_S4_S4_diiiiiiib,@function
_ZN5aiter24add_rmsnorm_quant_kernelIttLi64ELi8ELb0ELb0ELb1ELi1EEEvPT0_PT_PfS4_S4_S4_diiiiiiib: ; @_ZN5aiter24add_rmsnorm_quant_kernelIttLi64ELi8ELb0ELb0ELb1ELi1EEEvPT0_PT_PfS4_S4_S4_diiiiiiib
; %bb.0:
	s_load_dwordx4 s[12:15], s[4:5], 0x38
	s_mov_b32 s7, 0
	s_waitcnt lgkmcnt(0)
	s_ashr_i32 s0, s12, 31
	v_mov_b32_e32 v2, s12
	v_mov_b32_e32 v3, s0
	v_cmp_ge_i64_e32 vcc, s[6:7], v[2:3]
	s_cbranch_vccnz .LBB138_2
; %bb.1:
	s_load_dword s7, s[4:5], 0x4c
	s_load_dwordx4 s[8:11], s[4:5], 0x28
	s_load_dwordx2 s[0:1], s[4:5], 0x18
	s_ashr_i32 s2, s14, 31
	s_mul_hi_u32 s3, s14, s6
	s_mul_i32 s2, s2, s6
	s_add_i32 s3, s3, s2
	s_mul_i32 s2, s14, s6
	s_waitcnt lgkmcnt(0)
	s_ashr_i32 s12, s7, 31
	s_lshl_b64 s[2:3], s[2:3], 1
	s_add_u32 s0, s0, s2
	s_addc_u32 s1, s1, s3
	s_add_i32 s2, s13, 1
	s_lshr_b32 s3, s2, 31
	s_add_i32 s2, s2, s3
	s_lshl_b32 s2, s2, 1
	s_and_b32 s2, s2, -4
	s_and_b32 s1, s1, 0xffff
	s_mov_b32 s3, 0x20000
	v_lshlrev_b32_e32 v22, 4, v0
	buffer_load_dwordx4 v[4:7], v22, s[0:3], 0 offen glc slc
	s_and_b32 s17, s9, 0xffff
	s_mov_b32 s16, s8
	s_mov_b32 s18, s2
	;; [unrolled: 1-line block ×3, first 2 shown]
	buffer_load_dwordx4 v[0:3], v22, s[16:19], 0 offen
	v_mbcnt_lo_u32_b32 v8, -1, 0
	v_bfrev_b32_e32 v9, 0.5
	v_mbcnt_hi_u32_b32 v8, -1, v8
	v_lshl_or_b32 v24, v8, 2, v9
	s_load_dwordx2 s[0:1], s[4:5], 0x0
	v_cvt_f32_i32_e32 v23, s13
	s_mul_hi_u32 s5, s7, s6
	s_mul_i32 s12, s12, s6
	s_mul_i32 s4, s7, s6
	s_add_i32 s5, s5, s12
	s_lshl_b64 s[4:5], s[4:5], 1
	s_waitcnt lgkmcnt(0)
	s_add_u32 s0, s0, s4
	s_addc_u32 s1, s1, s5
	s_mov_b32 s8, 0x800000
	s_mov_b32 s9, 0x7060302
	s_and_b32 s1, s1, 0xffff
	s_waitcnt vmcnt(1)
	v_cvt_f32_u32_sdwa v9, v4 dst_sel:DWORD dst_unused:UNUSED_PAD src0_sel:WORD_1
	v_cvt_f32_u32_sdwa v8, v4 dst_sel:DWORD dst_unused:UNUSED_PAD src0_sel:WORD_0
	v_cvt_f32_u32_sdwa v11, v5 dst_sel:DWORD dst_unused:UNUSED_PAD src0_sel:WORD_1
	v_cvt_f32_u32_sdwa v10, v5 dst_sel:DWORD dst_unused:UNUSED_PAD src0_sel:WORD_0
	;; [unrolled: 2-line block ×3, first 2 shown]
	v_pk_mul_f32 v[14:15], v[8:9], v[8:9]
	v_cvt_f32_u32_sdwa v13, v7 dst_sel:DWORD dst_unused:UNUSED_PAD src0_sel:WORD_1
	v_cvt_f32_u32_sdwa v12, v7 dst_sel:DWORD dst_unused:UNUSED_PAD src0_sel:WORD_0
	v_pk_mul_f32 v[16:17], v[10:11], v[10:11]
	v_add_f32_e32 v6, v14, v15
	v_add_f32_e32 v6, v16, v6
	v_pk_mul_f32 v[18:19], v[4:5], v[4:5]
	v_add_f32_e32 v6, v17, v6
	v_add_f32_e32 v6, v18, v6
	;; [unrolled: 3-line block ×3, first 2 shown]
	v_add_f32_e32 v6, v21, v6
	s_waitcnt vmcnt(0)
	v_cvt_f32_u32_sdwa v7, v0 dst_sel:DWORD dst_unused:UNUSED_PAD src0_sel:WORD_1
	v_cvt_f32_u32_sdwa v15, v1 dst_sel:DWORD dst_unused:UNUSED_PAD src0_sel:WORD_1
	v_mov_b32_dpp v14, v6 quad_perm:[1,0,3,2] row_mask:0xf bank_mask:0xf
	v_add_f32_e32 v6, v6, v14
	s_nop 1
	v_mov_b32_dpp v14, v6 quad_perm:[2,3,0,1] row_mask:0xf bank_mask:0xf
	v_add_f32_e32 v6, v6, v14
	s_nop 1
	v_mov_b32_dpp v14, v6 row_half_mirror row_mask:0xf bank_mask:0xf
	v_add_f32_e32 v6, v6, v14
	s_nop 1
	v_mov_b32_dpp v14, v6 row_mirror row_mask:0xf bank_mask:0xf
	v_add_f32_e32 v6, v6, v14
	s_nop 1
	v_mov_b32_dpp v14, v6 row_bcast:15 row_mask:0xf bank_mask:0xf
	v_add_f32_e32 v6, v6, v14
	s_nop 1
	v_mov_b32_dpp v14, v6 row_bcast:31 row_mask:0xf bank_mask:0xf
	v_add_f32_e32 v6, v6, v14
	ds_bpermute_b32 v16, v24, v6
	v_cvt_f32_u32_sdwa v6, v0 dst_sel:DWORD dst_unused:UNUSED_PAD src0_sel:WORD_0
	v_cvt_f32_u32_sdwa v14, v1 dst_sel:DWORD dst_unused:UNUSED_PAD src0_sel:WORD_0
	v_cvt_f32_u32_sdwa v1, v2 dst_sel:DWORD dst_unused:UNUSED_PAD src0_sel:WORD_1
	s_waitcnt lgkmcnt(0)
	v_div_scale_f32 v0, s[4:5], v23, v23, v16
	v_rcp_f32_e32 v17, v0
	v_div_scale_f32 v18, vcc, v16, v23, v16
	v_fma_f32 v19, -v0, v17, 1.0
	v_fmac_f32_e32 v17, v19, v17
	v_mul_f32_e32 v19, v18, v17
	v_fma_f32 v20, -v0, v19, v18
	v_fmac_f32_e32 v19, v20, v17
	v_fma_f32 v0, -v0, v19, v18
	v_div_fmas_f32 v0, v0, v17, v19
	v_div_fixup_f32 v0, v0, v23, v16
	v_cvt_f64_f32_e32 v[16:17], v0
	v_add_f64 v[16:17], v[16:17], s[10:11]
	v_cvt_f32_f64_e32 v0, v[16:17]
	v_mul_f32_e32 v16, 0x4b800000, v0
	v_cmp_gt_f32_e32 vcc, s8, v0
	v_cndmask_b32_e32 v0, v0, v16, vcc
	v_rsq_f32_e32 v18, v0
	v_cvt_f32_u32_sdwa v0, v2 dst_sel:DWORD dst_unused:UNUSED_PAD src0_sel:WORD_0
	v_cvt_f32_u32_sdwa v17, v3 dst_sel:DWORD dst_unused:UNUSED_PAD src0_sel:WORD_1
	v_cvt_f32_u32_sdwa v16, v3 dst_sel:DWORD dst_unused:UNUSED_PAD src0_sel:WORD_0
	v_mul_f32_e32 v2, 0x45800000, v18
	v_cndmask_b32_e32 v2, v18, v2, vcc
	v_mov_b32_e32 v3, v2
	;;#ASMSTART
	v_pk_mul_f32 v[8:9], v[8:9], v[2:3]
	;;#ASMEND
	;;#ASMSTART
	v_pk_mul_f32 v[10:11], v[10:11], v[2:3]
	;;#ASMEND
	;; [unrolled: 3-line block ×8, first 2 shown]
	v_perm_b32 v0, v7, v6, s9
	v_perm_b32 v1, v9, v8, s9
	v_perm_b32 v2, v5, v4, s9
	v_perm_b32 v3, v11, v10, s9
	buffer_store_dwordx4 v[0:3], v22, s[0:3], 0 offen
	;;#ASMSTART
	s_nop 0
	;;#ASMEND
.LBB138_2:
	s_endpgm
	.section	.rodata,"a",@progbits
	.p2align	6, 0x0
	.amdhsa_kernel _ZN5aiter24add_rmsnorm_quant_kernelIttLi64ELi8ELb0ELb0ELb1ELi1EEEvPT0_PT_PfS4_S4_S4_diiiiiiib
		.amdhsa_group_segment_fixed_size 0
		.amdhsa_private_segment_fixed_size 0
		.amdhsa_kernarg_size 88
		.amdhsa_user_sgpr_count 6
		.amdhsa_user_sgpr_private_segment_buffer 1
		.amdhsa_user_sgpr_dispatch_ptr 0
		.amdhsa_user_sgpr_queue_ptr 0
		.amdhsa_user_sgpr_kernarg_segment_ptr 1
		.amdhsa_user_sgpr_dispatch_id 0
		.amdhsa_user_sgpr_flat_scratch_init 0
		.amdhsa_user_sgpr_kernarg_preload_length 0
		.amdhsa_user_sgpr_kernarg_preload_offset 0
		.amdhsa_user_sgpr_private_segment_size 0
		.amdhsa_uses_dynamic_stack 0
		.amdhsa_system_sgpr_private_segment_wavefront_offset 0
		.amdhsa_system_sgpr_workgroup_id_x 1
		.amdhsa_system_sgpr_workgroup_id_y 0
		.amdhsa_system_sgpr_workgroup_id_z 0
		.amdhsa_system_sgpr_workgroup_info 0
		.amdhsa_system_vgpr_workitem_id 0
		.amdhsa_next_free_vgpr 25
		.amdhsa_next_free_sgpr 20
		.amdhsa_accum_offset 28
		.amdhsa_reserve_vcc 1
		.amdhsa_reserve_flat_scratch 0
		.amdhsa_float_round_mode_32 0
		.amdhsa_float_round_mode_16_64 0
		.amdhsa_float_denorm_mode_32 3
		.amdhsa_float_denorm_mode_16_64 3
		.amdhsa_dx10_clamp 1
		.amdhsa_ieee_mode 1
		.amdhsa_fp16_overflow 0
		.amdhsa_tg_split 0
		.amdhsa_exception_fp_ieee_invalid_op 0
		.amdhsa_exception_fp_denorm_src 0
		.amdhsa_exception_fp_ieee_div_zero 0
		.amdhsa_exception_fp_ieee_overflow 0
		.amdhsa_exception_fp_ieee_underflow 0
		.amdhsa_exception_fp_ieee_inexact 0
		.amdhsa_exception_int_div_zero 0
	.end_amdhsa_kernel
	.section	.text._ZN5aiter24add_rmsnorm_quant_kernelIttLi64ELi8ELb0ELb0ELb1ELi1EEEvPT0_PT_PfS4_S4_S4_diiiiiiib,"axG",@progbits,_ZN5aiter24add_rmsnorm_quant_kernelIttLi64ELi8ELb0ELb0ELb1ELi1EEEvPT0_PT_PfS4_S4_S4_diiiiiiib,comdat
.Lfunc_end138:
	.size	_ZN5aiter24add_rmsnorm_quant_kernelIttLi64ELi8ELb0ELb0ELb1ELi1EEEvPT0_PT_PfS4_S4_S4_diiiiiiib, .Lfunc_end138-_ZN5aiter24add_rmsnorm_quant_kernelIttLi64ELi8ELb0ELb0ELb1ELi1EEEvPT0_PT_PfS4_S4_S4_diiiiiiib
                                        ; -- End function
	.section	.AMDGPU.csdata,"",@progbits
; Kernel info:
; codeLenInByte = 812
; NumSgprs: 24
; NumVgprs: 25
; NumAgprs: 0
; TotalNumVgprs: 25
; ScratchSize: 0
; MemoryBound: 0
; FloatMode: 240
; IeeeMode: 1
; LDSByteSize: 0 bytes/workgroup (compile time only)
; SGPRBlocks: 2
; VGPRBlocks: 3
; NumSGPRsForWavesPerEU: 24
; NumVGPRsForWavesPerEU: 25
; AccumOffset: 28
; Occupancy: 8
; WaveLimiterHint : 0
; COMPUTE_PGM_RSRC2:SCRATCH_EN: 0
; COMPUTE_PGM_RSRC2:USER_SGPR: 6
; COMPUTE_PGM_RSRC2:TRAP_HANDLER: 0
; COMPUTE_PGM_RSRC2:TGID_X_EN: 1
; COMPUTE_PGM_RSRC2:TGID_Y_EN: 0
; COMPUTE_PGM_RSRC2:TGID_Z_EN: 0
; COMPUTE_PGM_RSRC2:TIDIG_COMP_CNT: 0
; COMPUTE_PGM_RSRC3_GFX90A:ACCUM_OFFSET: 6
; COMPUTE_PGM_RSRC3_GFX90A:TG_SPLIT: 0
	.section	.text._ZN5aiter24add_rmsnorm_quant_kernelIDF16_DF16_Li64ELi8ELb0ELb0ELb0ELi1EEEvPT0_PT_PfS4_S4_S4_diiiiiiib,"axG",@progbits,_ZN5aiter24add_rmsnorm_quant_kernelIDF16_DF16_Li64ELi8ELb0ELb0ELb0ELi1EEEvPT0_PT_PfS4_S4_S4_diiiiiiib,comdat
	.protected	_ZN5aiter24add_rmsnorm_quant_kernelIDF16_DF16_Li64ELi8ELb0ELb0ELb0ELi1EEEvPT0_PT_PfS4_S4_S4_diiiiiiib ; -- Begin function _ZN5aiter24add_rmsnorm_quant_kernelIDF16_DF16_Li64ELi8ELb0ELb0ELb0ELi1EEEvPT0_PT_PfS4_S4_S4_diiiiiiib
	.globl	_ZN5aiter24add_rmsnorm_quant_kernelIDF16_DF16_Li64ELi8ELb0ELb0ELb0ELi1EEEvPT0_PT_PfS4_S4_S4_diiiiiiib
	.p2align	8
	.type	_ZN5aiter24add_rmsnorm_quant_kernelIDF16_DF16_Li64ELi8ELb0ELb0ELb0ELi1EEEvPT0_PT_PfS4_S4_S4_diiiiiiib,@function
_ZN5aiter24add_rmsnorm_quant_kernelIDF16_DF16_Li64ELi8ELb0ELb0ELb0ELi1EEEvPT0_PT_PfS4_S4_S4_diiiiiiib: ; @_ZN5aiter24add_rmsnorm_quant_kernelIDF16_DF16_Li64ELi8ELb0ELb0ELb0ELi1EEEvPT0_PT_PfS4_S4_S4_diiiiiiib
; %bb.0:
	s_load_dwordx4 s[12:15], s[4:5], 0x38
	s_mov_b32 s7, 0
	s_waitcnt lgkmcnt(0)
	s_ashr_i32 s0, s12, 31
	v_mov_b32_e32 v2, s12
	v_mov_b32_e32 v3, s0
	v_cmp_ge_i64_e32 vcc, s[6:7], v[2:3]
	s_cbranch_vccnz .LBB139_2
; %bb.1:
	s_load_dword s7, s[4:5], 0x4c
	s_load_dwordx4 s[8:11], s[4:5], 0x28
	s_load_dwordx2 s[0:1], s[4:5], 0x18
	s_ashr_i32 s2, s14, 31
	s_mul_hi_u32 s3, s14, s6
	s_mul_i32 s2, s2, s6
	s_add_i32 s3, s3, s2
	s_mul_i32 s2, s14, s6
	s_waitcnt lgkmcnt(0)
	s_ashr_i32 s12, s7, 31
	s_lshl_b64 s[2:3], s[2:3], 1
	s_add_u32 s0, s0, s2
	s_addc_u32 s1, s1, s3
	s_add_i32 s2, s13, 1
	s_lshr_b32 s3, s2, 31
	s_add_i32 s2, s2, s3
	s_lshl_b32 s2, s2, 1
	s_and_b32 s2, s2, -4
	s_and_b32 s1, s1, 0xffff
	s_mov_b32 s3, 0x20000
	v_lshlrev_b32_e32 v22, 4, v0
	buffer_load_dwordx4 v[4:7], v22, s[0:3], 0 offen glc slc
	s_and_b32 s17, s9, 0xffff
	s_mov_b32 s16, s8
	s_mov_b32 s18, s2
	;; [unrolled: 1-line block ×3, first 2 shown]
	buffer_load_dwordx4 v[0:3], v22, s[16:19], 0 offen
	v_mbcnt_lo_u32_b32 v8, -1, 0
	v_bfrev_b32_e32 v9, 0.5
	v_mbcnt_hi_u32_b32 v8, -1, v8
	v_lshl_or_b32 v13, v8, 2, v9
	s_load_dwordx2 s[0:1], s[4:5], 0x0
	v_cvt_f32_i32_e32 v23, s13
	s_mul_hi_u32 s5, s7, s6
	s_mul_i32 s12, s12, s6
	s_mul_i32 s4, s7, s6
	s_add_i32 s5, s5, s12
	s_lshl_b64 s[4:5], s[4:5], 1
	s_waitcnt lgkmcnt(0)
	s_add_u32 s0, s0, s4
	s_addc_u32 s1, s1, s5
	s_mov_b32 s8, 0x800000
	s_and_b32 s1, s1, 0xffff
	s_waitcnt vmcnt(1)
	v_cvt_f32_f16_e32 v8, v4
	v_cvt_f32_f16_sdwa v9, v4 dst_sel:DWORD dst_unused:UNUSED_PAD src0_sel:WORD_1
	v_cvt_f32_f16_e32 v4, v5
	v_cvt_f32_f16_sdwa v5, v5 dst_sel:DWORD dst_unused:UNUSED_PAD src0_sel:WORD_1
	;; [unrolled: 2-line block ×3, first 2 shown]
	v_pk_mul_f32 v[14:15], v[8:9], v[8:9]
	v_cvt_f32_f16_e32 v6, v7
	v_cvt_f32_f16_sdwa v7, v7 dst_sel:DWORD dst_unused:UNUSED_PAD src0_sel:WORD_1
	v_pk_mul_f32 v[16:17], v[4:5], v[4:5]
	v_add_f32_e32 v14, v14, v15
	v_add_f32_e32 v14, v16, v14
	v_pk_mul_f32 v[18:19], v[10:11], v[10:11]
	v_add_f32_e32 v14, v17, v14
	v_add_f32_e32 v14, v18, v14
	;; [unrolled: 3-line block ×3, first 2 shown]
	v_add_f32_e32 v14, v21, v14
	s_waitcnt vmcnt(0)
	v_cvt_f32_f16_e32 v12, v0
	v_mov_b32_dpp v15, v14 quad_perm:[1,0,3,2] row_mask:0xf bank_mask:0xf
	v_add_f32_e32 v14, v14, v15
	s_nop 1
	v_mov_b32_dpp v15, v14 quad_perm:[2,3,0,1] row_mask:0xf bank_mask:0xf
	v_add_f32_e32 v14, v14, v15
	s_nop 1
	v_mov_b32_dpp v15, v14 row_half_mirror row_mask:0xf bank_mask:0xf
	v_add_f32_e32 v14, v14, v15
	s_nop 1
	v_mov_b32_dpp v15, v14 row_mirror row_mask:0xf bank_mask:0xf
	v_add_f32_e32 v14, v14, v15
	s_nop 1
	v_mov_b32_dpp v15, v14 row_bcast:15 row_mask:0xf bank_mask:0xf
	v_add_f32_e32 v14, v14, v15
	s_nop 1
	v_mov_b32_dpp v15, v14 row_bcast:31 row_mask:0xf bank_mask:0xf
	v_add_f32_e32 v14, v14, v15
	ds_bpermute_b32 v15, v13, v14
	v_cvt_f32_f16_sdwa v13, v0 dst_sel:DWORD dst_unused:UNUSED_PAD src0_sel:WORD_1
	v_cvt_f32_f16_e32 v0, v1
	v_cvt_f32_f16_sdwa v1, v1 dst_sel:DWORD dst_unused:UNUSED_PAD src0_sel:WORD_1
	v_cvt_f32_f16_e32 v14, v2
	s_waitcnt lgkmcnt(0)
	v_div_scale_f32 v16, s[4:5], v23, v23, v15
	v_rcp_f32_e32 v17, v16
	v_div_scale_f32 v18, vcc, v15, v23, v15
	v_fma_f32 v19, -v16, v17, 1.0
	v_fmac_f32_e32 v17, v19, v17
	v_mul_f32_e32 v19, v18, v17
	v_fma_f32 v20, -v16, v19, v18
	v_fmac_f32_e32 v19, v20, v17
	v_fma_f32 v16, -v16, v19, v18
	v_div_fmas_f32 v16, v16, v17, v19
	v_div_fixup_f32 v15, v16, v23, v15
	v_cvt_f64_f32_e32 v[16:17], v15
	v_add_f64 v[16:17], v[16:17], s[10:11]
	v_cvt_f32_f64_e32 v15, v[16:17]
	v_mul_f32_e32 v16, 0x4b800000, v15
	v_cmp_gt_f32_e32 vcc, s8, v15
	v_cndmask_b32_e32 v15, v15, v16, vcc
	v_rsq_f32_e32 v16, v15
	v_cvt_f32_f16_sdwa v15, v2 dst_sel:DWORD dst_unused:UNUSED_PAD src0_sel:WORD_1
	v_cvt_f32_f16_e32 v2, v3
	v_cvt_f32_f16_sdwa v3, v3 dst_sel:DWORD dst_unused:UNUSED_PAD src0_sel:WORD_1
	v_mul_f32_e32 v17, 0x45800000, v16
	v_cndmask_b32_e32 v16, v16, v17, vcc
	v_mov_b32_e32 v17, v16
	;;#ASMSTART
	v_pk_mul_f32 v[8:9], v[8:9], v[16:17]
	;;#ASMEND
	;;#ASMSTART
	v_pk_mul_f32 v[4:5], v[4:5], v[16:17]
	;;#ASMEND
	;; [unrolled: 3-line block ×8, first 2 shown]
	v_cvt_f16_f32_e32 v6, v8
	v_cvt_f16_f32_e32 v7, v9
	;; [unrolled: 1-line block ×8, first 2 shown]
	v_pack_b32_f16 v0, v6, v7
	v_pack_b32_f16 v1, v8, v1
	;; [unrolled: 1-line block ×4, first 2 shown]
	buffer_store_dwordx4 v[0:3], v22, s[0:3], 0 offen
	;;#ASMSTART
	s_nop 0
	;;#ASMEND
.LBB139_2:
	s_endpgm
	.section	.rodata,"a",@progbits
	.p2align	6, 0x0
	.amdhsa_kernel _ZN5aiter24add_rmsnorm_quant_kernelIDF16_DF16_Li64ELi8ELb0ELb0ELb0ELi1EEEvPT0_PT_PfS4_S4_S4_diiiiiiib
		.amdhsa_group_segment_fixed_size 0
		.amdhsa_private_segment_fixed_size 0
		.amdhsa_kernarg_size 88
		.amdhsa_user_sgpr_count 6
		.amdhsa_user_sgpr_private_segment_buffer 1
		.amdhsa_user_sgpr_dispatch_ptr 0
		.amdhsa_user_sgpr_queue_ptr 0
		.amdhsa_user_sgpr_kernarg_segment_ptr 1
		.amdhsa_user_sgpr_dispatch_id 0
		.amdhsa_user_sgpr_flat_scratch_init 0
		.amdhsa_user_sgpr_kernarg_preload_length 0
		.amdhsa_user_sgpr_kernarg_preload_offset 0
		.amdhsa_user_sgpr_private_segment_size 0
		.amdhsa_uses_dynamic_stack 0
		.amdhsa_system_sgpr_private_segment_wavefront_offset 0
		.amdhsa_system_sgpr_workgroup_id_x 1
		.amdhsa_system_sgpr_workgroup_id_y 0
		.amdhsa_system_sgpr_workgroup_id_z 0
		.amdhsa_system_sgpr_workgroup_info 0
		.amdhsa_system_vgpr_workitem_id 0
		.amdhsa_next_free_vgpr 24
		.amdhsa_next_free_sgpr 20
		.amdhsa_accum_offset 24
		.amdhsa_reserve_vcc 1
		.amdhsa_reserve_flat_scratch 0
		.amdhsa_float_round_mode_32 0
		.amdhsa_float_round_mode_16_64 0
		.amdhsa_float_denorm_mode_32 3
		.amdhsa_float_denorm_mode_16_64 3
		.amdhsa_dx10_clamp 1
		.amdhsa_ieee_mode 1
		.amdhsa_fp16_overflow 0
		.amdhsa_tg_split 0
		.amdhsa_exception_fp_ieee_invalid_op 0
		.amdhsa_exception_fp_denorm_src 0
		.amdhsa_exception_fp_ieee_div_zero 0
		.amdhsa_exception_fp_ieee_overflow 0
		.amdhsa_exception_fp_ieee_underflow 0
		.amdhsa_exception_fp_ieee_inexact 0
		.amdhsa_exception_int_div_zero 0
	.end_amdhsa_kernel
	.section	.text._ZN5aiter24add_rmsnorm_quant_kernelIDF16_DF16_Li64ELi8ELb0ELb0ELb0ELi1EEEvPT0_PT_PfS4_S4_S4_diiiiiiib,"axG",@progbits,_ZN5aiter24add_rmsnorm_quant_kernelIDF16_DF16_Li64ELi8ELb0ELb0ELb0ELi1EEEvPT0_PT_PfS4_S4_S4_diiiiiiib,comdat
.Lfunc_end139:
	.size	_ZN5aiter24add_rmsnorm_quant_kernelIDF16_DF16_Li64ELi8ELb0ELb0ELb0ELi1EEEvPT0_PT_PfS4_S4_S4_diiiiiiib, .Lfunc_end139-_ZN5aiter24add_rmsnorm_quant_kernelIDF16_DF16_Li64ELi8ELb0ELb0ELb0ELi1EEEvPT0_PT_PfS4_S4_S4_diiiiiiib
                                        ; -- End function
	.section	.AMDGPU.csdata,"",@progbits
; Kernel info:
; codeLenInByte = 804
; NumSgprs: 24
; NumVgprs: 24
; NumAgprs: 0
; TotalNumVgprs: 24
; ScratchSize: 0
; MemoryBound: 0
; FloatMode: 240
; IeeeMode: 1
; LDSByteSize: 0 bytes/workgroup (compile time only)
; SGPRBlocks: 2
; VGPRBlocks: 2
; NumSGPRsForWavesPerEU: 24
; NumVGPRsForWavesPerEU: 24
; AccumOffset: 24
; Occupancy: 8
; WaveLimiterHint : 0
; COMPUTE_PGM_RSRC2:SCRATCH_EN: 0
; COMPUTE_PGM_RSRC2:USER_SGPR: 6
; COMPUTE_PGM_RSRC2:TRAP_HANDLER: 0
; COMPUTE_PGM_RSRC2:TGID_X_EN: 1
; COMPUTE_PGM_RSRC2:TGID_Y_EN: 0
; COMPUTE_PGM_RSRC2:TGID_Z_EN: 0
; COMPUTE_PGM_RSRC2:TIDIG_COMP_CNT: 0
; COMPUTE_PGM_RSRC3_GFX90A:ACCUM_OFFSET: 5
; COMPUTE_PGM_RSRC3_GFX90A:TG_SPLIT: 0
	.section	.text._ZN5aiter24add_rmsnorm_quant_kernelIttLi64ELi8ELb0ELb0ELb0ELi1EEEvPT0_PT_PfS4_S4_S4_diiiiiiib,"axG",@progbits,_ZN5aiter24add_rmsnorm_quant_kernelIttLi64ELi8ELb0ELb0ELb0ELi1EEEvPT0_PT_PfS4_S4_S4_diiiiiiib,comdat
	.protected	_ZN5aiter24add_rmsnorm_quant_kernelIttLi64ELi8ELb0ELb0ELb0ELi1EEEvPT0_PT_PfS4_S4_S4_diiiiiiib ; -- Begin function _ZN5aiter24add_rmsnorm_quant_kernelIttLi64ELi8ELb0ELb0ELb0ELi1EEEvPT0_PT_PfS4_S4_S4_diiiiiiib
	.globl	_ZN5aiter24add_rmsnorm_quant_kernelIttLi64ELi8ELb0ELb0ELb0ELi1EEEvPT0_PT_PfS4_S4_S4_diiiiiiib
	.p2align	8
	.type	_ZN5aiter24add_rmsnorm_quant_kernelIttLi64ELi8ELb0ELb0ELb0ELi1EEEvPT0_PT_PfS4_S4_S4_diiiiiiib,@function
_ZN5aiter24add_rmsnorm_quant_kernelIttLi64ELi8ELb0ELb0ELb0ELi1EEEvPT0_PT_PfS4_S4_S4_diiiiiiib: ; @_ZN5aiter24add_rmsnorm_quant_kernelIttLi64ELi8ELb0ELb0ELb0ELi1EEEvPT0_PT_PfS4_S4_S4_diiiiiiib
; %bb.0:
	s_load_dwordx4 s[12:15], s[4:5], 0x38
	s_mov_b32 s7, 0
	s_waitcnt lgkmcnt(0)
	s_ashr_i32 s0, s12, 31
	v_mov_b32_e32 v2, s12
	v_mov_b32_e32 v3, s0
	v_cmp_ge_i64_e32 vcc, s[6:7], v[2:3]
	s_cbranch_vccnz .LBB140_2
; %bb.1:
	s_load_dword s7, s[4:5], 0x4c
	s_load_dwordx4 s[8:11], s[4:5], 0x28
	s_load_dwordx2 s[0:1], s[4:5], 0x18
	s_ashr_i32 s2, s14, 31
	s_mul_hi_u32 s3, s14, s6
	s_mul_i32 s2, s2, s6
	s_add_i32 s3, s3, s2
	s_mul_i32 s2, s14, s6
	s_waitcnt lgkmcnt(0)
	s_ashr_i32 s12, s7, 31
	s_lshl_b64 s[2:3], s[2:3], 1
	s_add_u32 s0, s0, s2
	s_addc_u32 s1, s1, s3
	s_add_i32 s2, s13, 1
	s_lshr_b32 s3, s2, 31
	s_add_i32 s2, s2, s3
	s_lshl_b32 s2, s2, 1
	s_and_b32 s2, s2, -4
	s_and_b32 s1, s1, 0xffff
	s_mov_b32 s3, 0x20000
	v_lshlrev_b32_e32 v22, 4, v0
	buffer_load_dwordx4 v[4:7], v22, s[0:3], 0 offen glc slc
	s_and_b32 s17, s9, 0xffff
	s_mov_b32 s16, s8
	s_mov_b32 s18, s2
	;; [unrolled: 1-line block ×3, first 2 shown]
	buffer_load_dwordx4 v[0:3], v22, s[16:19], 0 offen
	v_mbcnt_lo_u32_b32 v8, -1, 0
	v_bfrev_b32_e32 v9, 0.5
	v_mbcnt_hi_u32_b32 v8, -1, v8
	v_lshl_or_b32 v24, v8, 2, v9
	s_load_dwordx2 s[0:1], s[4:5], 0x0
	v_cvt_f32_i32_e32 v23, s13
	s_mul_hi_u32 s5, s7, s6
	s_mul_i32 s12, s12, s6
	s_mul_i32 s4, s7, s6
	s_add_i32 s5, s5, s12
	s_lshl_b64 s[4:5], s[4:5], 1
	s_waitcnt lgkmcnt(0)
	s_add_u32 s0, s0, s4
	s_addc_u32 s1, s1, s5
	s_mov_b32 s8, 0x800000
	s_mov_b32 s9, 0x7060302
	s_and_b32 s1, s1, 0xffff
	s_waitcnt vmcnt(1)
	v_cvt_f32_u32_sdwa v9, v4 dst_sel:DWORD dst_unused:UNUSED_PAD src0_sel:WORD_1
	v_cvt_f32_u32_sdwa v8, v4 dst_sel:DWORD dst_unused:UNUSED_PAD src0_sel:WORD_0
	v_cvt_f32_u32_sdwa v11, v5 dst_sel:DWORD dst_unused:UNUSED_PAD src0_sel:WORD_1
	v_cvt_f32_u32_sdwa v10, v5 dst_sel:DWORD dst_unused:UNUSED_PAD src0_sel:WORD_0
	;; [unrolled: 2-line block ×3, first 2 shown]
	v_pk_mul_f32 v[14:15], v[8:9], v[8:9]
	v_cvt_f32_u32_sdwa v13, v7 dst_sel:DWORD dst_unused:UNUSED_PAD src0_sel:WORD_1
	v_cvt_f32_u32_sdwa v12, v7 dst_sel:DWORD dst_unused:UNUSED_PAD src0_sel:WORD_0
	v_pk_mul_f32 v[16:17], v[10:11], v[10:11]
	v_add_f32_e32 v6, v14, v15
	v_add_f32_e32 v6, v16, v6
	v_pk_mul_f32 v[18:19], v[4:5], v[4:5]
	v_add_f32_e32 v6, v17, v6
	v_add_f32_e32 v6, v18, v6
	v_pk_mul_f32 v[20:21], v[12:13], v[12:13]
	v_add_f32_e32 v6, v19, v6
	v_add_f32_e32 v6, v20, v6
	v_add_f32_e32 v6, v21, v6
	s_waitcnt vmcnt(0)
	v_cvt_f32_u32_sdwa v7, v0 dst_sel:DWORD dst_unused:UNUSED_PAD src0_sel:WORD_1
	v_cvt_f32_u32_sdwa v15, v1 dst_sel:DWORD dst_unused:UNUSED_PAD src0_sel:WORD_1
	v_mov_b32_dpp v14, v6 quad_perm:[1,0,3,2] row_mask:0xf bank_mask:0xf
	v_add_f32_e32 v6, v6, v14
	s_nop 1
	v_mov_b32_dpp v14, v6 quad_perm:[2,3,0,1] row_mask:0xf bank_mask:0xf
	v_add_f32_e32 v6, v6, v14
	s_nop 1
	v_mov_b32_dpp v14, v6 row_half_mirror row_mask:0xf bank_mask:0xf
	v_add_f32_e32 v6, v6, v14
	s_nop 1
	v_mov_b32_dpp v14, v6 row_mirror row_mask:0xf bank_mask:0xf
	v_add_f32_e32 v6, v6, v14
	s_nop 1
	v_mov_b32_dpp v14, v6 row_bcast:15 row_mask:0xf bank_mask:0xf
	v_add_f32_e32 v6, v6, v14
	s_nop 1
	v_mov_b32_dpp v14, v6 row_bcast:31 row_mask:0xf bank_mask:0xf
	v_add_f32_e32 v6, v6, v14
	ds_bpermute_b32 v16, v24, v6
	v_cvt_f32_u32_sdwa v6, v0 dst_sel:DWORD dst_unused:UNUSED_PAD src0_sel:WORD_0
	v_cvt_f32_u32_sdwa v14, v1 dst_sel:DWORD dst_unused:UNUSED_PAD src0_sel:WORD_0
	v_cvt_f32_u32_sdwa v1, v2 dst_sel:DWORD dst_unused:UNUSED_PAD src0_sel:WORD_1
	s_waitcnt lgkmcnt(0)
	v_div_scale_f32 v0, s[4:5], v23, v23, v16
	v_rcp_f32_e32 v17, v0
	v_div_scale_f32 v18, vcc, v16, v23, v16
	v_fma_f32 v19, -v0, v17, 1.0
	v_fmac_f32_e32 v17, v19, v17
	v_mul_f32_e32 v19, v18, v17
	v_fma_f32 v20, -v0, v19, v18
	v_fmac_f32_e32 v19, v20, v17
	v_fma_f32 v0, -v0, v19, v18
	v_div_fmas_f32 v0, v0, v17, v19
	v_div_fixup_f32 v0, v0, v23, v16
	v_cvt_f64_f32_e32 v[16:17], v0
	v_add_f64 v[16:17], v[16:17], s[10:11]
	v_cvt_f32_f64_e32 v0, v[16:17]
	v_mul_f32_e32 v16, 0x4b800000, v0
	v_cmp_gt_f32_e32 vcc, s8, v0
	v_cndmask_b32_e32 v0, v0, v16, vcc
	v_rsq_f32_e32 v18, v0
	v_cvt_f32_u32_sdwa v0, v2 dst_sel:DWORD dst_unused:UNUSED_PAD src0_sel:WORD_0
	v_cvt_f32_u32_sdwa v17, v3 dst_sel:DWORD dst_unused:UNUSED_PAD src0_sel:WORD_1
	v_cvt_f32_u32_sdwa v16, v3 dst_sel:DWORD dst_unused:UNUSED_PAD src0_sel:WORD_0
	v_mul_f32_e32 v2, 0x45800000, v18
	v_cndmask_b32_e32 v2, v18, v2, vcc
	v_mov_b32_e32 v3, v2
	;;#ASMSTART
	v_pk_mul_f32 v[8:9], v[8:9], v[2:3]
	;;#ASMEND
	;;#ASMSTART
	v_pk_mul_f32 v[10:11], v[10:11], v[2:3]
	;;#ASMEND
	;; [unrolled: 3-line block ×8, first 2 shown]
	v_perm_b32 v0, v7, v6, s9
	v_perm_b32 v1, v9, v8, s9
	;; [unrolled: 1-line block ×4, first 2 shown]
	buffer_store_dwordx4 v[0:3], v22, s[0:3], 0 offen
	;;#ASMSTART
	s_nop 0
	;;#ASMEND
.LBB140_2:
	s_endpgm
	.section	.rodata,"a",@progbits
	.p2align	6, 0x0
	.amdhsa_kernel _ZN5aiter24add_rmsnorm_quant_kernelIttLi64ELi8ELb0ELb0ELb0ELi1EEEvPT0_PT_PfS4_S4_S4_diiiiiiib
		.amdhsa_group_segment_fixed_size 0
		.amdhsa_private_segment_fixed_size 0
		.amdhsa_kernarg_size 88
		.amdhsa_user_sgpr_count 6
		.amdhsa_user_sgpr_private_segment_buffer 1
		.amdhsa_user_sgpr_dispatch_ptr 0
		.amdhsa_user_sgpr_queue_ptr 0
		.amdhsa_user_sgpr_kernarg_segment_ptr 1
		.amdhsa_user_sgpr_dispatch_id 0
		.amdhsa_user_sgpr_flat_scratch_init 0
		.amdhsa_user_sgpr_kernarg_preload_length 0
		.amdhsa_user_sgpr_kernarg_preload_offset 0
		.amdhsa_user_sgpr_private_segment_size 0
		.amdhsa_uses_dynamic_stack 0
		.amdhsa_system_sgpr_private_segment_wavefront_offset 0
		.amdhsa_system_sgpr_workgroup_id_x 1
		.amdhsa_system_sgpr_workgroup_id_y 0
		.amdhsa_system_sgpr_workgroup_id_z 0
		.amdhsa_system_sgpr_workgroup_info 0
		.amdhsa_system_vgpr_workitem_id 0
		.amdhsa_next_free_vgpr 25
		.amdhsa_next_free_sgpr 20
		.amdhsa_accum_offset 28
		.amdhsa_reserve_vcc 1
		.amdhsa_reserve_flat_scratch 0
		.amdhsa_float_round_mode_32 0
		.amdhsa_float_round_mode_16_64 0
		.amdhsa_float_denorm_mode_32 3
		.amdhsa_float_denorm_mode_16_64 3
		.amdhsa_dx10_clamp 1
		.amdhsa_ieee_mode 1
		.amdhsa_fp16_overflow 0
		.amdhsa_tg_split 0
		.amdhsa_exception_fp_ieee_invalid_op 0
		.amdhsa_exception_fp_denorm_src 0
		.amdhsa_exception_fp_ieee_div_zero 0
		.amdhsa_exception_fp_ieee_overflow 0
		.amdhsa_exception_fp_ieee_underflow 0
		.amdhsa_exception_fp_ieee_inexact 0
		.amdhsa_exception_int_div_zero 0
	.end_amdhsa_kernel
	.section	.text._ZN5aiter24add_rmsnorm_quant_kernelIttLi64ELi8ELb0ELb0ELb0ELi1EEEvPT0_PT_PfS4_S4_S4_diiiiiiib,"axG",@progbits,_ZN5aiter24add_rmsnorm_quant_kernelIttLi64ELi8ELb0ELb0ELb0ELi1EEEvPT0_PT_PfS4_S4_S4_diiiiiiib,comdat
.Lfunc_end140:
	.size	_ZN5aiter24add_rmsnorm_quant_kernelIttLi64ELi8ELb0ELb0ELb0ELi1EEEvPT0_PT_PfS4_S4_S4_diiiiiiib, .Lfunc_end140-_ZN5aiter24add_rmsnorm_quant_kernelIttLi64ELi8ELb0ELb0ELb0ELi1EEEvPT0_PT_PfS4_S4_S4_diiiiiiib
                                        ; -- End function
	.section	.AMDGPU.csdata,"",@progbits
; Kernel info:
; codeLenInByte = 812
; NumSgprs: 24
; NumVgprs: 25
; NumAgprs: 0
; TotalNumVgprs: 25
; ScratchSize: 0
; MemoryBound: 0
; FloatMode: 240
; IeeeMode: 1
; LDSByteSize: 0 bytes/workgroup (compile time only)
; SGPRBlocks: 2
; VGPRBlocks: 3
; NumSGPRsForWavesPerEU: 24
; NumVGPRsForWavesPerEU: 25
; AccumOffset: 28
; Occupancy: 8
; WaveLimiterHint : 0
; COMPUTE_PGM_RSRC2:SCRATCH_EN: 0
; COMPUTE_PGM_RSRC2:USER_SGPR: 6
; COMPUTE_PGM_RSRC2:TRAP_HANDLER: 0
; COMPUTE_PGM_RSRC2:TGID_X_EN: 1
; COMPUTE_PGM_RSRC2:TGID_Y_EN: 0
; COMPUTE_PGM_RSRC2:TGID_Z_EN: 0
; COMPUTE_PGM_RSRC2:TIDIG_COMP_CNT: 0
; COMPUTE_PGM_RSRC3_GFX90A:ACCUM_OFFSET: 6
; COMPUTE_PGM_RSRC3_GFX90A:TG_SPLIT: 0
	.section	.text._ZN5aiter24add_rmsnorm_quant_kernelIDF16_DF16_Li128ELi8ELb0ELb0ELb1ELi1EEEvPT0_PT_PfS4_S4_S4_diiiiiiib,"axG",@progbits,_ZN5aiter24add_rmsnorm_quant_kernelIDF16_DF16_Li128ELi8ELb0ELb0ELb1ELi1EEEvPT0_PT_PfS4_S4_S4_diiiiiiib,comdat
	.protected	_ZN5aiter24add_rmsnorm_quant_kernelIDF16_DF16_Li128ELi8ELb0ELb0ELb1ELi1EEEvPT0_PT_PfS4_S4_S4_diiiiiiib ; -- Begin function _ZN5aiter24add_rmsnorm_quant_kernelIDF16_DF16_Li128ELi8ELb0ELb0ELb1ELi1EEEvPT0_PT_PfS4_S4_S4_diiiiiiib
	.globl	_ZN5aiter24add_rmsnorm_quant_kernelIDF16_DF16_Li128ELi8ELb0ELb0ELb1ELi1EEEvPT0_PT_PfS4_S4_S4_diiiiiiib
	.p2align	8
	.type	_ZN5aiter24add_rmsnorm_quant_kernelIDF16_DF16_Li128ELi8ELb0ELb0ELb1ELi1EEEvPT0_PT_PfS4_S4_S4_diiiiiiib,@function
_ZN5aiter24add_rmsnorm_quant_kernelIDF16_DF16_Li128ELi8ELb0ELb0ELb1ELi1EEEvPT0_PT_PfS4_S4_S4_diiiiiiib: ; @_ZN5aiter24add_rmsnorm_quant_kernelIDF16_DF16_Li128ELi8ELb0ELb0ELb1ELi1EEEvPT0_PT_PfS4_S4_S4_diiiiiiib
; %bb.0:
	s_load_dwordx4 s[12:15], s[4:5], 0x38
	s_mov_b32 s7, 0
	s_waitcnt lgkmcnt(0)
	s_ashr_i32 s0, s12, 31
	v_mov_b32_e32 v2, s12
	v_mov_b32_e32 v3, s0
	v_cmp_ge_i64_e32 vcc, s[6:7], v[2:3]
	s_cbranch_vccnz .LBB141_4
; %bb.1:
	s_load_dwordx2 s[0:1], s[4:5], 0x18
	s_load_dwordx4 s[8:11], s[4:5], 0x28
	s_ashr_i32 s2, s14, 31
	s_mul_hi_u32 s3, s14, s6
	s_mul_i32 s2, s2, s6
	s_add_i32 s3, s3, s2
	s_mul_i32 s2, s14, s6
	s_lshl_b64 s[2:3], s[2:3], 1
	s_waitcnt lgkmcnt(0)
	s_add_u32 s0, s0, s2
	s_addc_u32 s1, s1, s3
	s_add_i32 s2, s13, 1
	s_lshr_b32 s3, s2, 31
	s_add_i32 s2, s2, s3
	s_lshl_b32 s2, s2, 1
	s_and_b32 s2, s2, -4
	s_and_b32 s1, s1, 0xffff
	s_mov_b32 s3, 0x20000
	v_lshlrev_b32_e32 v1, 4, v0
	buffer_load_dwordx4 v[14:17], v1, s[0:3], 0 offen glc slc
	s_mov_b32 s19, s3
	s_mov_b32 s16, s8
	s_and_b32 s17, s9, 0xffff
	s_mov_b32 s18, s2
	buffer_load_dwordx4 v[2:5], v1, s[16:19], 0 offen
	v_and_b32_e32 v22, 63, v0
	v_cmp_eq_u32_e32 vcc, 63, v22
	s_waitcnt vmcnt(1)
	v_cvt_f32_f16_e32 v12, v14
	v_cvt_f32_f16_sdwa v13, v14 dst_sel:DWORD dst_unused:UNUSED_PAD src0_sel:WORD_1
	v_cvt_f32_f16_e32 v10, v15
	v_cvt_f32_f16_sdwa v11, v15 dst_sel:DWORD dst_unused:UNUSED_PAD src0_sel:WORD_1
	;; [unrolled: 2-line block ×3, first 2 shown]
	v_pk_mul_f32 v[14:15], v[12:13], v[12:13]
	v_cvt_f32_f16_e32 v6, v17
	v_cvt_f32_f16_sdwa v7, v17 dst_sel:DWORD dst_unused:UNUSED_PAD src0_sel:WORD_1
	v_pk_mul_f32 v[16:17], v[10:11], v[10:11]
	v_add_f32_e32 v14, v14, v15
	v_add_f32_e32 v14, v16, v14
	v_pk_mul_f32 v[18:19], v[8:9], v[8:9]
	v_add_f32_e32 v14, v17, v14
	v_add_f32_e32 v14, v18, v14
	;; [unrolled: 3-line block ×3, first 2 shown]
	v_add_f32_e32 v14, v21, v14
	s_nop 1
	v_mov_b32_dpp v15, v14 quad_perm:[1,0,3,2] row_mask:0xf bank_mask:0xf
	v_add_f32_e32 v14, v14, v15
	s_nop 1
	v_mov_b32_dpp v15, v14 quad_perm:[2,3,0,1] row_mask:0xf bank_mask:0xf
	v_add_f32_e32 v14, v14, v15
	s_nop 1
	v_mov_b32_dpp v15, v14 row_half_mirror row_mask:0xf bank_mask:0xf
	v_add_f32_e32 v14, v14, v15
	s_nop 1
	v_mov_b32_dpp v15, v14 row_mirror row_mask:0xf bank_mask:0xf
	v_add_f32_e32 v14, v14, v15
	s_nop 1
	v_mov_b32_dpp v15, v14 row_bcast:15 row_mask:0xf bank_mask:0xf
	v_add_f32_e32 v14, v14, v15
	s_nop 1
	v_mov_b32_dpp v15, v14 row_bcast:31 row_mask:0xf bank_mask:0xf
	s_and_saveexec_b64 s[0:1], vcc
	s_cbranch_execz .LBB141_3
; %bb.2:
	v_lshrrev_b32_e32 v16, 4, v0
	v_and_b32_e32 v16, 60, v16
	v_add_f32_e32 v14, v14, v15
	ds_write_b32 v16, v14
.LBB141_3:
	s_or_b64 exec, exec, s[0:1]
	v_and_b32_e32 v0, 1, v0
	v_lshlrev_b32_e32 v0, 2, v0
	s_waitcnt lgkmcnt(0)
	s_barrier
	ds_read_b32 v0, v0
	v_cvt_f32_i32_e32 v14, s13
	s_load_dword s7, s[4:5], 0x4c
	s_load_dwordx2 s[0:1], s[4:5], 0x0
	s_waitcnt lgkmcnt(0)
	v_mov_b32_dpp v15, v0 quad_perm:[1,0,3,2] row_mask:0xf bank_mask:0xf
	v_add_f32_e32 v0, v0, v15
	v_div_scale_f32 v15, s[4:5], v14, v14, v0
	v_rcp_f32_e32 v16, v15
	s_ashr_i32 s8, s7, 31
	s_mul_hi_u32 s9, s7, s6
	s_mul_i32 s8, s8, s6
	v_fma_f32 v17, -v15, v16, 1.0
	v_fmac_f32_e32 v16, v17, v16
	v_div_scale_f32 v17, vcc, v0, v14, v0
	v_mul_f32_e32 v18, v17, v16
	v_fma_f32 v19, -v15, v18, v17
	v_fmac_f32_e32 v18, v19, v16
	v_fma_f32 v15, -v15, v18, v17
	v_div_fmas_f32 v15, v15, v16, v18
	v_div_fixup_f32 v0, v15, v14, v0
	v_cvt_f64_f32_e32 v[14:15], v0
	v_add_f64 v[14:15], v[14:15], s[10:11]
	s_mul_i32 s4, s7, s6
	v_cvt_f32_f64_e32 v0, v[14:15]
	s_mov_b32 s6, 0x800000
	v_mul_f32_e32 v14, 0x4b800000, v0
	v_cmp_gt_f32_e32 vcc, s6, v0
	v_cndmask_b32_e32 v0, v0, v14, vcc
	v_rsq_f32_e32 v0, v0
	s_waitcnt vmcnt(0)
	v_cvt_f32_f16_sdwa v17, v3 dst_sel:DWORD dst_unused:UNUSED_PAD src0_sel:WORD_1
	v_cvt_f32_f16_e32 v16, v3
	v_cvt_f32_f16_sdwa v3, v4 dst_sel:DWORD dst_unused:UNUSED_PAD src0_sel:WORD_1
	v_mul_f32_e32 v14, 0x45800000, v0
	v_cndmask_b32_e32 v14, v0, v14, vcc
	v_mov_b32_e32 v15, v14
	;;#ASMSTART
	v_pk_mul_f32 v[12:13], v[12:13], v[14:15]
	;;#ASMEND
	;;#ASMSTART
	v_pk_mul_f32 v[10:11], v[10:11], v[14:15]
	;;#ASMEND
	;; [unrolled: 3-line block ×4, first 2 shown]
	v_cvt_f32_f16_sdwa v15, v2 dst_sel:DWORD dst_unused:UNUSED_PAD src0_sel:WORD_1
	v_cvt_f32_f16_e32 v14, v2
	v_cvt_f32_f16_e32 v2, v4
	v_cvt_f32_f16_sdwa v19, v5 dst_sel:DWORD dst_unused:UNUSED_PAD src0_sel:WORD_1
	v_cvt_f32_f16_e32 v18, v5
	;;#ASMSTART
	v_pk_mul_f32 v[4:5], v[12:13], v[14:15]
	;;#ASMEND
	;;#ASMSTART
	v_pk_mul_f32 v[10:11], v[10:11], v[16:17]
	;;#ASMEND
	;;#ASMSTART
	v_pk_mul_f32 v[2:3], v[8:9], v[2:3]
	;;#ASMEND
	;;#ASMSTART
	v_pk_mul_f32 v[6:7], v[6:7], v[18:19]
	;;#ASMEND
	s_add_i32 s5, s9, s8
	v_cvt_f16_f32_e32 v0, v4
	v_cvt_f16_f32_e32 v4, v5
	;; [unrolled: 1-line block ×8, first 2 shown]
	s_lshl_b64 s[4:5], s[4:5], 1
	s_add_u32 s0, s0, s4
	s_addc_u32 s1, s1, s5
	s_and_b32 s1, s1, 0xffff
	v_pack_b32_f16 v2, v0, v4
	v_pack_b32_f16 v3, v5, v8
	;; [unrolled: 1-line block ×4, first 2 shown]
	buffer_store_dwordx4 v[2:5], v1, s[0:3], 0 offen
	;;#ASMSTART
	s_nop 0
	;;#ASMEND
.LBB141_4:
	s_endpgm
	.section	.rodata,"a",@progbits
	.p2align	6, 0x0
	.amdhsa_kernel _ZN5aiter24add_rmsnorm_quant_kernelIDF16_DF16_Li128ELi8ELb0ELb0ELb1ELi1EEEvPT0_PT_PfS4_S4_S4_diiiiiiib
		.amdhsa_group_segment_fixed_size 8
		.amdhsa_private_segment_fixed_size 0
		.amdhsa_kernarg_size 88
		.amdhsa_user_sgpr_count 6
		.amdhsa_user_sgpr_private_segment_buffer 1
		.amdhsa_user_sgpr_dispatch_ptr 0
		.amdhsa_user_sgpr_queue_ptr 0
		.amdhsa_user_sgpr_kernarg_segment_ptr 1
		.amdhsa_user_sgpr_dispatch_id 0
		.amdhsa_user_sgpr_flat_scratch_init 0
		.amdhsa_user_sgpr_kernarg_preload_length 0
		.amdhsa_user_sgpr_kernarg_preload_offset 0
		.amdhsa_user_sgpr_private_segment_size 0
		.amdhsa_uses_dynamic_stack 0
		.amdhsa_system_sgpr_private_segment_wavefront_offset 0
		.amdhsa_system_sgpr_workgroup_id_x 1
		.amdhsa_system_sgpr_workgroup_id_y 0
		.amdhsa_system_sgpr_workgroup_id_z 0
		.amdhsa_system_sgpr_workgroup_info 0
		.amdhsa_system_vgpr_workitem_id 0
		.amdhsa_next_free_vgpr 23
		.amdhsa_next_free_sgpr 20
		.amdhsa_accum_offset 24
		.amdhsa_reserve_vcc 1
		.amdhsa_reserve_flat_scratch 0
		.amdhsa_float_round_mode_32 0
		.amdhsa_float_round_mode_16_64 0
		.amdhsa_float_denorm_mode_32 3
		.amdhsa_float_denorm_mode_16_64 3
		.amdhsa_dx10_clamp 1
		.amdhsa_ieee_mode 1
		.amdhsa_fp16_overflow 0
		.amdhsa_tg_split 0
		.amdhsa_exception_fp_ieee_invalid_op 0
		.amdhsa_exception_fp_denorm_src 0
		.amdhsa_exception_fp_ieee_div_zero 0
		.amdhsa_exception_fp_ieee_overflow 0
		.amdhsa_exception_fp_ieee_underflow 0
		.amdhsa_exception_fp_ieee_inexact 0
		.amdhsa_exception_int_div_zero 0
	.end_amdhsa_kernel
	.section	.text._ZN5aiter24add_rmsnorm_quant_kernelIDF16_DF16_Li128ELi8ELb0ELb0ELb1ELi1EEEvPT0_PT_PfS4_S4_S4_diiiiiiib,"axG",@progbits,_ZN5aiter24add_rmsnorm_quant_kernelIDF16_DF16_Li128ELi8ELb0ELb0ELb1ELi1EEEvPT0_PT_PfS4_S4_S4_diiiiiiib,comdat
.Lfunc_end141:
	.size	_ZN5aiter24add_rmsnorm_quant_kernelIDF16_DF16_Li128ELi8ELb0ELb0ELb1ELi1EEEvPT0_PT_PfS4_S4_S4_diiiiiiib, .Lfunc_end141-_ZN5aiter24add_rmsnorm_quant_kernelIDF16_DF16_Li128ELi8ELb0ELb0ELb1ELi1EEEvPT0_PT_PfS4_S4_S4_diiiiiiib
                                        ; -- End function
	.section	.AMDGPU.csdata,"",@progbits
; Kernel info:
; codeLenInByte = 840
; NumSgprs: 24
; NumVgprs: 23
; NumAgprs: 0
; TotalNumVgprs: 23
; ScratchSize: 0
; MemoryBound: 0
; FloatMode: 240
; IeeeMode: 1
; LDSByteSize: 8 bytes/workgroup (compile time only)
; SGPRBlocks: 2
; VGPRBlocks: 2
; NumSGPRsForWavesPerEU: 24
; NumVGPRsForWavesPerEU: 23
; AccumOffset: 24
; Occupancy: 8
; WaveLimiterHint : 1
; COMPUTE_PGM_RSRC2:SCRATCH_EN: 0
; COMPUTE_PGM_RSRC2:USER_SGPR: 6
; COMPUTE_PGM_RSRC2:TRAP_HANDLER: 0
; COMPUTE_PGM_RSRC2:TGID_X_EN: 1
; COMPUTE_PGM_RSRC2:TGID_Y_EN: 0
; COMPUTE_PGM_RSRC2:TGID_Z_EN: 0
; COMPUTE_PGM_RSRC2:TIDIG_COMP_CNT: 0
; COMPUTE_PGM_RSRC3_GFX90A:ACCUM_OFFSET: 5
; COMPUTE_PGM_RSRC3_GFX90A:TG_SPLIT: 0
	.section	.text._ZN5aiter24add_rmsnorm_quant_kernelIttLi128ELi8ELb0ELb0ELb1ELi1EEEvPT0_PT_PfS4_S4_S4_diiiiiiib,"axG",@progbits,_ZN5aiter24add_rmsnorm_quant_kernelIttLi128ELi8ELb0ELb0ELb1ELi1EEEvPT0_PT_PfS4_S4_S4_diiiiiiib,comdat
	.protected	_ZN5aiter24add_rmsnorm_quant_kernelIttLi128ELi8ELb0ELb0ELb1ELi1EEEvPT0_PT_PfS4_S4_S4_diiiiiiib ; -- Begin function _ZN5aiter24add_rmsnorm_quant_kernelIttLi128ELi8ELb0ELb0ELb1ELi1EEEvPT0_PT_PfS4_S4_S4_diiiiiiib
	.globl	_ZN5aiter24add_rmsnorm_quant_kernelIttLi128ELi8ELb0ELb0ELb1ELi1EEEvPT0_PT_PfS4_S4_S4_diiiiiiib
	.p2align	8
	.type	_ZN5aiter24add_rmsnorm_quant_kernelIttLi128ELi8ELb0ELb0ELb1ELi1EEEvPT0_PT_PfS4_S4_S4_diiiiiiib,@function
_ZN5aiter24add_rmsnorm_quant_kernelIttLi128ELi8ELb0ELb0ELb1ELi1EEEvPT0_PT_PfS4_S4_S4_diiiiiiib: ; @_ZN5aiter24add_rmsnorm_quant_kernelIttLi128ELi8ELb0ELb0ELb1ELi1EEEvPT0_PT_PfS4_S4_S4_diiiiiiib
; %bb.0:
	s_load_dwordx4 s[12:15], s[4:5], 0x38
	s_mov_b32 s7, 0
	s_waitcnt lgkmcnt(0)
	s_ashr_i32 s0, s12, 31
	v_mov_b32_e32 v2, s12
	v_mov_b32_e32 v3, s0
	v_cmp_ge_i64_e32 vcc, s[6:7], v[2:3]
	s_cbranch_vccnz .LBB142_4
; %bb.1:
	s_load_dwordx2 s[0:1], s[4:5], 0x18
	s_load_dwordx4 s[8:11], s[4:5], 0x28
	s_ashr_i32 s2, s14, 31
	s_mul_hi_u32 s3, s14, s6
	s_mul_i32 s2, s2, s6
	s_add_i32 s3, s3, s2
	s_mul_i32 s2, s14, s6
	s_lshl_b64 s[2:3], s[2:3], 1
	s_waitcnt lgkmcnt(0)
	s_add_u32 s0, s0, s2
	s_addc_u32 s1, s1, s3
	s_add_i32 s2, s13, 1
	s_lshr_b32 s3, s2, 31
	s_add_i32 s2, s2, s3
	s_lshl_b32 s2, s2, 1
	s_and_b32 s2, s2, -4
	s_and_b32 s1, s1, 0xffff
	s_mov_b32 s3, 0x20000
	v_lshlrev_b32_e32 v1, 4, v0
	buffer_load_dwordx4 v[14:17], v1, s[0:3], 0 offen glc slc
	s_mov_b32 s19, s3
	s_mov_b32 s16, s8
	s_and_b32 s17, s9, 0xffff
	s_mov_b32 s18, s2
	buffer_load_dwordx4 v[2:5], v1, s[16:19], 0 offen
	v_and_b32_e32 v22, 63, v0
	v_cmp_eq_u32_e32 vcc, 63, v22
	s_waitcnt vmcnt(1)
	v_cvt_f32_u32_sdwa v13, v14 dst_sel:DWORD dst_unused:UNUSED_PAD src0_sel:WORD_1
	v_cvt_f32_u32_sdwa v12, v14 dst_sel:DWORD dst_unused:UNUSED_PAD src0_sel:WORD_0
	v_cvt_f32_u32_sdwa v11, v15 dst_sel:DWORD dst_unused:UNUSED_PAD src0_sel:WORD_1
	v_cvt_f32_u32_sdwa v10, v15 dst_sel:DWORD dst_unused:UNUSED_PAD src0_sel:WORD_0
	;; [unrolled: 2-line block ×3, first 2 shown]
	v_pk_mul_f32 v[14:15], v[12:13], v[12:13]
	v_cvt_f32_u32_sdwa v7, v17 dst_sel:DWORD dst_unused:UNUSED_PAD src0_sel:WORD_1
	v_cvt_f32_u32_sdwa v6, v17 dst_sel:DWORD dst_unused:UNUSED_PAD src0_sel:WORD_0
	v_pk_mul_f32 v[16:17], v[10:11], v[10:11]
	v_add_f32_e32 v14, v14, v15
	v_add_f32_e32 v14, v16, v14
	v_pk_mul_f32 v[18:19], v[8:9], v[8:9]
	v_add_f32_e32 v14, v17, v14
	v_add_f32_e32 v14, v18, v14
	;; [unrolled: 3-line block ×3, first 2 shown]
	v_add_f32_e32 v14, v21, v14
	s_nop 1
	v_mov_b32_dpp v15, v14 quad_perm:[1,0,3,2] row_mask:0xf bank_mask:0xf
	v_add_f32_e32 v14, v14, v15
	s_nop 1
	v_mov_b32_dpp v15, v14 quad_perm:[2,3,0,1] row_mask:0xf bank_mask:0xf
	v_add_f32_e32 v14, v14, v15
	s_nop 1
	v_mov_b32_dpp v15, v14 row_half_mirror row_mask:0xf bank_mask:0xf
	v_add_f32_e32 v14, v14, v15
	s_nop 1
	v_mov_b32_dpp v15, v14 row_mirror row_mask:0xf bank_mask:0xf
	v_add_f32_e32 v14, v14, v15
	s_nop 1
	v_mov_b32_dpp v15, v14 row_bcast:15 row_mask:0xf bank_mask:0xf
	v_add_f32_e32 v14, v14, v15
	s_nop 1
	v_mov_b32_dpp v15, v14 row_bcast:31 row_mask:0xf bank_mask:0xf
	s_and_saveexec_b64 s[0:1], vcc
	s_cbranch_execz .LBB142_3
; %bb.2:
	v_lshrrev_b32_e32 v16, 4, v0
	v_and_b32_e32 v16, 60, v16
	v_add_f32_e32 v14, v14, v15
	ds_write_b32 v16, v14
.LBB142_3:
	s_or_b64 exec, exec, s[0:1]
	v_and_b32_e32 v0, 1, v0
	v_lshlrev_b32_e32 v0, 2, v0
	s_waitcnt lgkmcnt(0)
	s_barrier
	ds_read_b32 v0, v0
	v_cvt_f32_i32_e32 v14, s13
	s_load_dword s7, s[4:5], 0x4c
	s_load_dwordx2 s[0:1], s[4:5], 0x0
	s_waitcnt lgkmcnt(0)
	v_mov_b32_dpp v15, v0 quad_perm:[1,0,3,2] row_mask:0xf bank_mask:0xf
	v_add_f32_e32 v0, v0, v15
	v_div_scale_f32 v15, s[4:5], v14, v14, v0
	v_rcp_f32_e32 v16, v15
	s_ashr_i32 s8, s7, 31
	s_mul_hi_u32 s9, s7, s6
	s_mul_i32 s8, s8, s6
	v_fma_f32 v17, -v15, v16, 1.0
	v_fmac_f32_e32 v16, v17, v16
	v_div_scale_f32 v17, vcc, v0, v14, v0
	v_mul_f32_e32 v18, v17, v16
	v_fma_f32 v19, -v15, v18, v17
	v_fmac_f32_e32 v18, v19, v16
	v_fma_f32 v15, -v15, v18, v17
	v_div_fmas_f32 v15, v15, v16, v18
	v_div_fixup_f32 v0, v15, v14, v0
	v_cvt_f64_f32_e32 v[14:15], v0
	v_add_f64 v[14:15], v[14:15], s[10:11]
	s_mul_i32 s4, s7, s6
	v_cvt_f32_f64_e32 v0, v[14:15]
	s_mov_b32 s6, 0x800000
	v_mul_f32_e32 v14, 0x4b800000, v0
	v_cmp_gt_f32_e32 vcc, s6, v0
	v_cndmask_b32_e32 v0, v0, v14, vcc
	v_rsq_f32_e32 v0, v0
	s_add_i32 s5, s9, s8
	s_lshl_b64 s[4:5], s[4:5], 1
	s_add_u32 s0, s0, s4
	v_mul_f32_e32 v14, 0x45800000, v0
	v_cndmask_b32_e32 v14, v0, v14, vcc
	v_mov_b32_e32 v15, v14
	s_addc_u32 s1, s1, s5
	;;#ASMSTART
	v_pk_mul_f32 v[12:13], v[12:13], v[14:15]
	;;#ASMEND
	;;#ASMSTART
	v_pk_mul_f32 v[10:11], v[10:11], v[14:15]
	;;#ASMEND
	;; [unrolled: 3-line block ×4, first 2 shown]
	s_waitcnt vmcnt(0)
	v_cvt_f32_u32_sdwa v15, v2 dst_sel:DWORD dst_unused:UNUSED_PAD src0_sel:WORD_1
	v_cvt_f32_u32_sdwa v14, v2 dst_sel:DWORD dst_unused:UNUSED_PAD src0_sel:WORD_0
	v_cvt_f32_u32_sdwa v17, v3 dst_sel:DWORD dst_unused:UNUSED_PAD src0_sel:WORD_1
	v_cvt_f32_u32_sdwa v16, v3 dst_sel:DWORD dst_unused:UNUSED_PAD src0_sel:WORD_0
	;; [unrolled: 2-line block ×4, first 2 shown]
	;;#ASMSTART
	v_pk_mul_f32 v[4:5], v[12:13], v[14:15]
	;;#ASMEND
	s_mov_b32 s4, 0x7060302
	;;#ASMSTART
	v_pk_mul_f32 v[10:11], v[10:11], v[16:17]
	;;#ASMEND
	;;#ASMSTART
	v_pk_mul_f32 v[8:9], v[8:9], v[2:3]
	;;#ASMEND
	;; [unrolled: 3-line block ×3, first 2 shown]
	s_and_b32 s1, s1, 0xffff
	v_perm_b32 v2, v5, v4, s4
	v_perm_b32 v3, v11, v10, s4
	;; [unrolled: 1-line block ×4, first 2 shown]
	buffer_store_dwordx4 v[2:5], v1, s[0:3], 0 offen
	;;#ASMSTART
	s_nop 0
	;;#ASMEND
.LBB142_4:
	s_endpgm
	.section	.rodata,"a",@progbits
	.p2align	6, 0x0
	.amdhsa_kernel _ZN5aiter24add_rmsnorm_quant_kernelIttLi128ELi8ELb0ELb0ELb1ELi1EEEvPT0_PT_PfS4_S4_S4_diiiiiiib
		.amdhsa_group_segment_fixed_size 8
		.amdhsa_private_segment_fixed_size 0
		.amdhsa_kernarg_size 88
		.amdhsa_user_sgpr_count 6
		.amdhsa_user_sgpr_private_segment_buffer 1
		.amdhsa_user_sgpr_dispatch_ptr 0
		.amdhsa_user_sgpr_queue_ptr 0
		.amdhsa_user_sgpr_kernarg_segment_ptr 1
		.amdhsa_user_sgpr_dispatch_id 0
		.amdhsa_user_sgpr_flat_scratch_init 0
		.amdhsa_user_sgpr_kernarg_preload_length 0
		.amdhsa_user_sgpr_kernarg_preload_offset 0
		.amdhsa_user_sgpr_private_segment_size 0
		.amdhsa_uses_dynamic_stack 0
		.amdhsa_system_sgpr_private_segment_wavefront_offset 0
		.amdhsa_system_sgpr_workgroup_id_x 1
		.amdhsa_system_sgpr_workgroup_id_y 0
		.amdhsa_system_sgpr_workgroup_id_z 0
		.amdhsa_system_sgpr_workgroup_info 0
		.amdhsa_system_vgpr_workitem_id 0
		.amdhsa_next_free_vgpr 23
		.amdhsa_next_free_sgpr 20
		.amdhsa_accum_offset 24
		.amdhsa_reserve_vcc 1
		.amdhsa_reserve_flat_scratch 0
		.amdhsa_float_round_mode_32 0
		.amdhsa_float_round_mode_16_64 0
		.amdhsa_float_denorm_mode_32 3
		.amdhsa_float_denorm_mode_16_64 3
		.amdhsa_dx10_clamp 1
		.amdhsa_ieee_mode 1
		.amdhsa_fp16_overflow 0
		.amdhsa_tg_split 0
		.amdhsa_exception_fp_ieee_invalid_op 0
		.amdhsa_exception_fp_denorm_src 0
		.amdhsa_exception_fp_ieee_div_zero 0
		.amdhsa_exception_fp_ieee_overflow 0
		.amdhsa_exception_fp_ieee_underflow 0
		.amdhsa_exception_fp_ieee_inexact 0
		.amdhsa_exception_int_div_zero 0
	.end_amdhsa_kernel
	.section	.text._ZN5aiter24add_rmsnorm_quant_kernelIttLi128ELi8ELb0ELb0ELb1ELi1EEEvPT0_PT_PfS4_S4_S4_diiiiiiib,"axG",@progbits,_ZN5aiter24add_rmsnorm_quant_kernelIttLi128ELi8ELb0ELb0ELb1ELi1EEEvPT0_PT_PfS4_S4_S4_diiiiiiib,comdat
.Lfunc_end142:
	.size	_ZN5aiter24add_rmsnorm_quant_kernelIttLi128ELi8ELb0ELb0ELb1ELi1EEEvPT0_PT_PfS4_S4_S4_diiiiiiib, .Lfunc_end142-_ZN5aiter24add_rmsnorm_quant_kernelIttLi128ELi8ELb0ELb0ELb1ELi1EEEvPT0_PT_PfS4_S4_S4_diiiiiiib
                                        ; -- End function
	.section	.AMDGPU.csdata,"",@progbits
; Kernel info:
; codeLenInByte = 848
; NumSgprs: 24
; NumVgprs: 23
; NumAgprs: 0
; TotalNumVgprs: 23
; ScratchSize: 0
; MemoryBound: 0
; FloatMode: 240
; IeeeMode: 1
; LDSByteSize: 8 bytes/workgroup (compile time only)
; SGPRBlocks: 2
; VGPRBlocks: 2
; NumSGPRsForWavesPerEU: 24
; NumVGPRsForWavesPerEU: 23
; AccumOffset: 24
; Occupancy: 8
; WaveLimiterHint : 1
; COMPUTE_PGM_RSRC2:SCRATCH_EN: 0
; COMPUTE_PGM_RSRC2:USER_SGPR: 6
; COMPUTE_PGM_RSRC2:TRAP_HANDLER: 0
; COMPUTE_PGM_RSRC2:TGID_X_EN: 1
; COMPUTE_PGM_RSRC2:TGID_Y_EN: 0
; COMPUTE_PGM_RSRC2:TGID_Z_EN: 0
; COMPUTE_PGM_RSRC2:TIDIG_COMP_CNT: 0
; COMPUTE_PGM_RSRC3_GFX90A:ACCUM_OFFSET: 5
; COMPUTE_PGM_RSRC3_GFX90A:TG_SPLIT: 0
	.section	.text._ZN5aiter24add_rmsnorm_quant_kernelIDF16_DF16_Li128ELi8ELb0ELb0ELb0ELi1EEEvPT0_PT_PfS4_S4_S4_diiiiiiib,"axG",@progbits,_ZN5aiter24add_rmsnorm_quant_kernelIDF16_DF16_Li128ELi8ELb0ELb0ELb0ELi1EEEvPT0_PT_PfS4_S4_S4_diiiiiiib,comdat
	.protected	_ZN5aiter24add_rmsnorm_quant_kernelIDF16_DF16_Li128ELi8ELb0ELb0ELb0ELi1EEEvPT0_PT_PfS4_S4_S4_diiiiiiib ; -- Begin function _ZN5aiter24add_rmsnorm_quant_kernelIDF16_DF16_Li128ELi8ELb0ELb0ELb0ELi1EEEvPT0_PT_PfS4_S4_S4_diiiiiiib
	.globl	_ZN5aiter24add_rmsnorm_quant_kernelIDF16_DF16_Li128ELi8ELb0ELb0ELb0ELi1EEEvPT0_PT_PfS4_S4_S4_diiiiiiib
	.p2align	8
	.type	_ZN5aiter24add_rmsnorm_quant_kernelIDF16_DF16_Li128ELi8ELb0ELb0ELb0ELi1EEEvPT0_PT_PfS4_S4_S4_diiiiiiib,@function
_ZN5aiter24add_rmsnorm_quant_kernelIDF16_DF16_Li128ELi8ELb0ELb0ELb0ELi1EEEvPT0_PT_PfS4_S4_S4_diiiiiiib: ; @_ZN5aiter24add_rmsnorm_quant_kernelIDF16_DF16_Li128ELi8ELb0ELb0ELb0ELi1EEEvPT0_PT_PfS4_S4_S4_diiiiiiib
; %bb.0:
	s_load_dwordx4 s[12:15], s[4:5], 0x38
	s_mov_b32 s7, 0
	s_waitcnt lgkmcnt(0)
	s_ashr_i32 s0, s12, 31
	v_mov_b32_e32 v2, s12
	v_mov_b32_e32 v3, s0
	v_cmp_ge_i64_e32 vcc, s[6:7], v[2:3]
	s_cbranch_vccnz .LBB143_4
; %bb.1:
	s_load_dwordx2 s[0:1], s[4:5], 0x18
	s_load_dwordx4 s[8:11], s[4:5], 0x28
	s_ashr_i32 s2, s14, 31
	s_mul_hi_u32 s3, s14, s6
	s_mul_i32 s2, s2, s6
	s_add_i32 s3, s3, s2
	s_mul_i32 s2, s14, s6
	s_lshl_b64 s[2:3], s[2:3], 1
	s_waitcnt lgkmcnt(0)
	s_add_u32 s0, s0, s2
	s_addc_u32 s1, s1, s3
	s_add_i32 s2, s13, 1
	s_lshr_b32 s3, s2, 31
	s_add_i32 s2, s2, s3
	s_lshl_b32 s2, s2, 1
	s_and_b32 s2, s2, -4
	s_and_b32 s1, s1, 0xffff
	s_mov_b32 s3, 0x20000
	v_lshlrev_b32_e32 v1, 4, v0
	buffer_load_dwordx4 v[14:17], v1, s[0:3], 0 offen glc slc
	s_mov_b32 s19, s3
	s_mov_b32 s16, s8
	s_and_b32 s17, s9, 0xffff
	s_mov_b32 s18, s2
	buffer_load_dwordx4 v[2:5], v1, s[16:19], 0 offen
	v_and_b32_e32 v22, 63, v0
	v_cmp_eq_u32_e32 vcc, 63, v22
	s_waitcnt vmcnt(1)
	v_cvt_f32_f16_e32 v12, v14
	v_cvt_f32_f16_sdwa v13, v14 dst_sel:DWORD dst_unused:UNUSED_PAD src0_sel:WORD_1
	v_cvt_f32_f16_e32 v10, v15
	v_cvt_f32_f16_sdwa v11, v15 dst_sel:DWORD dst_unused:UNUSED_PAD src0_sel:WORD_1
	;; [unrolled: 2-line block ×3, first 2 shown]
	v_pk_mul_f32 v[14:15], v[12:13], v[12:13]
	v_cvt_f32_f16_e32 v6, v17
	v_cvt_f32_f16_sdwa v7, v17 dst_sel:DWORD dst_unused:UNUSED_PAD src0_sel:WORD_1
	v_pk_mul_f32 v[16:17], v[10:11], v[10:11]
	v_add_f32_e32 v14, v14, v15
	v_add_f32_e32 v14, v16, v14
	v_pk_mul_f32 v[18:19], v[8:9], v[8:9]
	v_add_f32_e32 v14, v17, v14
	v_add_f32_e32 v14, v18, v14
	;; [unrolled: 3-line block ×3, first 2 shown]
	v_add_f32_e32 v14, v21, v14
	s_nop 1
	v_mov_b32_dpp v15, v14 quad_perm:[1,0,3,2] row_mask:0xf bank_mask:0xf
	v_add_f32_e32 v14, v14, v15
	s_nop 1
	v_mov_b32_dpp v15, v14 quad_perm:[2,3,0,1] row_mask:0xf bank_mask:0xf
	v_add_f32_e32 v14, v14, v15
	s_nop 1
	v_mov_b32_dpp v15, v14 row_half_mirror row_mask:0xf bank_mask:0xf
	v_add_f32_e32 v14, v14, v15
	s_nop 1
	v_mov_b32_dpp v15, v14 row_mirror row_mask:0xf bank_mask:0xf
	v_add_f32_e32 v14, v14, v15
	s_nop 1
	v_mov_b32_dpp v15, v14 row_bcast:15 row_mask:0xf bank_mask:0xf
	v_add_f32_e32 v14, v14, v15
	s_nop 1
	v_mov_b32_dpp v15, v14 row_bcast:31 row_mask:0xf bank_mask:0xf
	s_and_saveexec_b64 s[0:1], vcc
	s_cbranch_execz .LBB143_3
; %bb.2:
	v_lshrrev_b32_e32 v16, 4, v0
	v_and_b32_e32 v16, 60, v16
	v_add_f32_e32 v14, v14, v15
	ds_write_b32 v16, v14
.LBB143_3:
	s_or_b64 exec, exec, s[0:1]
	v_and_b32_e32 v0, 1, v0
	v_lshlrev_b32_e32 v0, 2, v0
	s_waitcnt lgkmcnt(0)
	s_barrier
	ds_read_b32 v0, v0
	v_cvt_f32_i32_e32 v14, s13
	s_load_dword s7, s[4:5], 0x4c
	s_load_dwordx2 s[0:1], s[4:5], 0x0
	s_waitcnt lgkmcnt(0)
	v_mov_b32_dpp v15, v0 quad_perm:[1,0,3,2] row_mask:0xf bank_mask:0xf
	v_add_f32_e32 v0, v0, v15
	v_div_scale_f32 v15, s[4:5], v14, v14, v0
	v_rcp_f32_e32 v16, v15
	s_ashr_i32 s8, s7, 31
	s_mul_hi_u32 s9, s7, s6
	s_mul_i32 s8, s8, s6
	v_fma_f32 v17, -v15, v16, 1.0
	v_fmac_f32_e32 v16, v17, v16
	v_div_scale_f32 v17, vcc, v0, v14, v0
	v_mul_f32_e32 v18, v17, v16
	v_fma_f32 v19, -v15, v18, v17
	v_fmac_f32_e32 v18, v19, v16
	v_fma_f32 v15, -v15, v18, v17
	v_div_fmas_f32 v15, v15, v16, v18
	v_div_fixup_f32 v0, v15, v14, v0
	v_cvt_f64_f32_e32 v[14:15], v0
	v_add_f64 v[14:15], v[14:15], s[10:11]
	s_mul_i32 s4, s7, s6
	v_cvt_f32_f64_e32 v0, v[14:15]
	s_mov_b32 s6, 0x800000
	v_mul_f32_e32 v14, 0x4b800000, v0
	v_cmp_gt_f32_e32 vcc, s6, v0
	v_cndmask_b32_e32 v0, v0, v14, vcc
	v_rsq_f32_e32 v0, v0
	s_waitcnt vmcnt(0)
	v_cvt_f32_f16_sdwa v17, v3 dst_sel:DWORD dst_unused:UNUSED_PAD src0_sel:WORD_1
	v_cvt_f32_f16_e32 v16, v3
	v_cvt_f32_f16_sdwa v3, v4 dst_sel:DWORD dst_unused:UNUSED_PAD src0_sel:WORD_1
	v_mul_f32_e32 v14, 0x45800000, v0
	v_cndmask_b32_e32 v14, v0, v14, vcc
	v_mov_b32_e32 v15, v14
	;;#ASMSTART
	v_pk_mul_f32 v[12:13], v[12:13], v[14:15]
	;;#ASMEND
	;;#ASMSTART
	v_pk_mul_f32 v[10:11], v[10:11], v[14:15]
	;;#ASMEND
	;; [unrolled: 3-line block ×4, first 2 shown]
	v_cvt_f32_f16_sdwa v15, v2 dst_sel:DWORD dst_unused:UNUSED_PAD src0_sel:WORD_1
	v_cvt_f32_f16_e32 v14, v2
	v_cvt_f32_f16_e32 v2, v4
	v_cvt_f32_f16_sdwa v19, v5 dst_sel:DWORD dst_unused:UNUSED_PAD src0_sel:WORD_1
	v_cvt_f32_f16_e32 v18, v5
	;;#ASMSTART
	v_pk_mul_f32 v[4:5], v[12:13], v[14:15]
	;;#ASMEND
	;;#ASMSTART
	v_pk_mul_f32 v[10:11], v[10:11], v[16:17]
	;;#ASMEND
	;;#ASMSTART
	v_pk_mul_f32 v[2:3], v[8:9], v[2:3]
	;;#ASMEND
	;;#ASMSTART
	v_pk_mul_f32 v[6:7], v[6:7], v[18:19]
	;;#ASMEND
	s_add_i32 s5, s9, s8
	v_cvt_f16_f32_e32 v0, v4
	v_cvt_f16_f32_e32 v4, v5
	;; [unrolled: 1-line block ×8, first 2 shown]
	s_lshl_b64 s[4:5], s[4:5], 1
	s_add_u32 s0, s0, s4
	s_addc_u32 s1, s1, s5
	s_and_b32 s1, s1, 0xffff
	v_pack_b32_f16 v2, v0, v4
	v_pack_b32_f16 v3, v5, v8
	;; [unrolled: 1-line block ×4, first 2 shown]
	buffer_store_dwordx4 v[2:5], v1, s[0:3], 0 offen
	;;#ASMSTART
	s_nop 0
	;;#ASMEND
.LBB143_4:
	s_endpgm
	.section	.rodata,"a",@progbits
	.p2align	6, 0x0
	.amdhsa_kernel _ZN5aiter24add_rmsnorm_quant_kernelIDF16_DF16_Li128ELi8ELb0ELb0ELb0ELi1EEEvPT0_PT_PfS4_S4_S4_diiiiiiib
		.amdhsa_group_segment_fixed_size 8
		.amdhsa_private_segment_fixed_size 0
		.amdhsa_kernarg_size 88
		.amdhsa_user_sgpr_count 6
		.amdhsa_user_sgpr_private_segment_buffer 1
		.amdhsa_user_sgpr_dispatch_ptr 0
		.amdhsa_user_sgpr_queue_ptr 0
		.amdhsa_user_sgpr_kernarg_segment_ptr 1
		.amdhsa_user_sgpr_dispatch_id 0
		.amdhsa_user_sgpr_flat_scratch_init 0
		.amdhsa_user_sgpr_kernarg_preload_length 0
		.amdhsa_user_sgpr_kernarg_preload_offset 0
		.amdhsa_user_sgpr_private_segment_size 0
		.amdhsa_uses_dynamic_stack 0
		.amdhsa_system_sgpr_private_segment_wavefront_offset 0
		.amdhsa_system_sgpr_workgroup_id_x 1
		.amdhsa_system_sgpr_workgroup_id_y 0
		.amdhsa_system_sgpr_workgroup_id_z 0
		.amdhsa_system_sgpr_workgroup_info 0
		.amdhsa_system_vgpr_workitem_id 0
		.amdhsa_next_free_vgpr 23
		.amdhsa_next_free_sgpr 20
		.amdhsa_accum_offset 24
		.amdhsa_reserve_vcc 1
		.amdhsa_reserve_flat_scratch 0
		.amdhsa_float_round_mode_32 0
		.amdhsa_float_round_mode_16_64 0
		.amdhsa_float_denorm_mode_32 3
		.amdhsa_float_denorm_mode_16_64 3
		.amdhsa_dx10_clamp 1
		.amdhsa_ieee_mode 1
		.amdhsa_fp16_overflow 0
		.amdhsa_tg_split 0
		.amdhsa_exception_fp_ieee_invalid_op 0
		.amdhsa_exception_fp_denorm_src 0
		.amdhsa_exception_fp_ieee_div_zero 0
		.amdhsa_exception_fp_ieee_overflow 0
		.amdhsa_exception_fp_ieee_underflow 0
		.amdhsa_exception_fp_ieee_inexact 0
		.amdhsa_exception_int_div_zero 0
	.end_amdhsa_kernel
	.section	.text._ZN5aiter24add_rmsnorm_quant_kernelIDF16_DF16_Li128ELi8ELb0ELb0ELb0ELi1EEEvPT0_PT_PfS4_S4_S4_diiiiiiib,"axG",@progbits,_ZN5aiter24add_rmsnorm_quant_kernelIDF16_DF16_Li128ELi8ELb0ELb0ELb0ELi1EEEvPT0_PT_PfS4_S4_S4_diiiiiiib,comdat
.Lfunc_end143:
	.size	_ZN5aiter24add_rmsnorm_quant_kernelIDF16_DF16_Li128ELi8ELb0ELb0ELb0ELi1EEEvPT0_PT_PfS4_S4_S4_diiiiiiib, .Lfunc_end143-_ZN5aiter24add_rmsnorm_quant_kernelIDF16_DF16_Li128ELi8ELb0ELb0ELb0ELi1EEEvPT0_PT_PfS4_S4_S4_diiiiiiib
                                        ; -- End function
	.section	.AMDGPU.csdata,"",@progbits
; Kernel info:
; codeLenInByte = 840
; NumSgprs: 24
; NumVgprs: 23
; NumAgprs: 0
; TotalNumVgprs: 23
; ScratchSize: 0
; MemoryBound: 0
; FloatMode: 240
; IeeeMode: 1
; LDSByteSize: 8 bytes/workgroup (compile time only)
; SGPRBlocks: 2
; VGPRBlocks: 2
; NumSGPRsForWavesPerEU: 24
; NumVGPRsForWavesPerEU: 23
; AccumOffset: 24
; Occupancy: 8
; WaveLimiterHint : 1
; COMPUTE_PGM_RSRC2:SCRATCH_EN: 0
; COMPUTE_PGM_RSRC2:USER_SGPR: 6
; COMPUTE_PGM_RSRC2:TRAP_HANDLER: 0
; COMPUTE_PGM_RSRC2:TGID_X_EN: 1
; COMPUTE_PGM_RSRC2:TGID_Y_EN: 0
; COMPUTE_PGM_RSRC2:TGID_Z_EN: 0
; COMPUTE_PGM_RSRC2:TIDIG_COMP_CNT: 0
; COMPUTE_PGM_RSRC3_GFX90A:ACCUM_OFFSET: 5
; COMPUTE_PGM_RSRC3_GFX90A:TG_SPLIT: 0
	.section	.text._ZN5aiter24add_rmsnorm_quant_kernelIttLi128ELi8ELb0ELb0ELb0ELi1EEEvPT0_PT_PfS4_S4_S4_diiiiiiib,"axG",@progbits,_ZN5aiter24add_rmsnorm_quant_kernelIttLi128ELi8ELb0ELb0ELb0ELi1EEEvPT0_PT_PfS4_S4_S4_diiiiiiib,comdat
	.protected	_ZN5aiter24add_rmsnorm_quant_kernelIttLi128ELi8ELb0ELb0ELb0ELi1EEEvPT0_PT_PfS4_S4_S4_diiiiiiib ; -- Begin function _ZN5aiter24add_rmsnorm_quant_kernelIttLi128ELi8ELb0ELb0ELb0ELi1EEEvPT0_PT_PfS4_S4_S4_diiiiiiib
	.globl	_ZN5aiter24add_rmsnorm_quant_kernelIttLi128ELi8ELb0ELb0ELb0ELi1EEEvPT0_PT_PfS4_S4_S4_diiiiiiib
	.p2align	8
	.type	_ZN5aiter24add_rmsnorm_quant_kernelIttLi128ELi8ELb0ELb0ELb0ELi1EEEvPT0_PT_PfS4_S4_S4_diiiiiiib,@function
_ZN5aiter24add_rmsnorm_quant_kernelIttLi128ELi8ELb0ELb0ELb0ELi1EEEvPT0_PT_PfS4_S4_S4_diiiiiiib: ; @_ZN5aiter24add_rmsnorm_quant_kernelIttLi128ELi8ELb0ELb0ELb0ELi1EEEvPT0_PT_PfS4_S4_S4_diiiiiiib
; %bb.0:
	s_load_dwordx4 s[12:15], s[4:5], 0x38
	s_mov_b32 s7, 0
	s_waitcnt lgkmcnt(0)
	s_ashr_i32 s0, s12, 31
	v_mov_b32_e32 v2, s12
	v_mov_b32_e32 v3, s0
	v_cmp_ge_i64_e32 vcc, s[6:7], v[2:3]
	s_cbranch_vccnz .LBB144_4
; %bb.1:
	s_load_dwordx2 s[0:1], s[4:5], 0x18
	s_load_dwordx4 s[8:11], s[4:5], 0x28
	s_ashr_i32 s2, s14, 31
	s_mul_hi_u32 s3, s14, s6
	s_mul_i32 s2, s2, s6
	s_add_i32 s3, s3, s2
	s_mul_i32 s2, s14, s6
	s_lshl_b64 s[2:3], s[2:3], 1
	s_waitcnt lgkmcnt(0)
	s_add_u32 s0, s0, s2
	s_addc_u32 s1, s1, s3
	s_add_i32 s2, s13, 1
	s_lshr_b32 s3, s2, 31
	s_add_i32 s2, s2, s3
	s_lshl_b32 s2, s2, 1
	s_and_b32 s2, s2, -4
	s_and_b32 s1, s1, 0xffff
	s_mov_b32 s3, 0x20000
	v_lshlrev_b32_e32 v1, 4, v0
	buffer_load_dwordx4 v[14:17], v1, s[0:3], 0 offen glc slc
	s_mov_b32 s19, s3
	s_mov_b32 s16, s8
	s_and_b32 s17, s9, 0xffff
	s_mov_b32 s18, s2
	buffer_load_dwordx4 v[2:5], v1, s[16:19], 0 offen
	v_and_b32_e32 v22, 63, v0
	v_cmp_eq_u32_e32 vcc, 63, v22
	s_waitcnt vmcnt(1)
	v_cvt_f32_u32_sdwa v13, v14 dst_sel:DWORD dst_unused:UNUSED_PAD src0_sel:WORD_1
	v_cvt_f32_u32_sdwa v12, v14 dst_sel:DWORD dst_unused:UNUSED_PAD src0_sel:WORD_0
	v_cvt_f32_u32_sdwa v11, v15 dst_sel:DWORD dst_unused:UNUSED_PAD src0_sel:WORD_1
	v_cvt_f32_u32_sdwa v10, v15 dst_sel:DWORD dst_unused:UNUSED_PAD src0_sel:WORD_0
	;; [unrolled: 2-line block ×3, first 2 shown]
	v_pk_mul_f32 v[14:15], v[12:13], v[12:13]
	v_cvt_f32_u32_sdwa v7, v17 dst_sel:DWORD dst_unused:UNUSED_PAD src0_sel:WORD_1
	v_cvt_f32_u32_sdwa v6, v17 dst_sel:DWORD dst_unused:UNUSED_PAD src0_sel:WORD_0
	v_pk_mul_f32 v[16:17], v[10:11], v[10:11]
	v_add_f32_e32 v14, v14, v15
	v_add_f32_e32 v14, v16, v14
	v_pk_mul_f32 v[18:19], v[8:9], v[8:9]
	v_add_f32_e32 v14, v17, v14
	v_add_f32_e32 v14, v18, v14
	;; [unrolled: 3-line block ×3, first 2 shown]
	v_add_f32_e32 v14, v21, v14
	s_nop 1
	v_mov_b32_dpp v15, v14 quad_perm:[1,0,3,2] row_mask:0xf bank_mask:0xf
	v_add_f32_e32 v14, v14, v15
	s_nop 1
	v_mov_b32_dpp v15, v14 quad_perm:[2,3,0,1] row_mask:0xf bank_mask:0xf
	v_add_f32_e32 v14, v14, v15
	s_nop 1
	v_mov_b32_dpp v15, v14 row_half_mirror row_mask:0xf bank_mask:0xf
	v_add_f32_e32 v14, v14, v15
	s_nop 1
	v_mov_b32_dpp v15, v14 row_mirror row_mask:0xf bank_mask:0xf
	v_add_f32_e32 v14, v14, v15
	s_nop 1
	v_mov_b32_dpp v15, v14 row_bcast:15 row_mask:0xf bank_mask:0xf
	v_add_f32_e32 v14, v14, v15
	s_nop 1
	v_mov_b32_dpp v15, v14 row_bcast:31 row_mask:0xf bank_mask:0xf
	s_and_saveexec_b64 s[0:1], vcc
	s_cbranch_execz .LBB144_3
; %bb.2:
	v_lshrrev_b32_e32 v16, 4, v0
	v_and_b32_e32 v16, 60, v16
	v_add_f32_e32 v14, v14, v15
	ds_write_b32 v16, v14
.LBB144_3:
	s_or_b64 exec, exec, s[0:1]
	v_and_b32_e32 v0, 1, v0
	v_lshlrev_b32_e32 v0, 2, v0
	s_waitcnt lgkmcnt(0)
	s_barrier
	ds_read_b32 v0, v0
	v_cvt_f32_i32_e32 v14, s13
	s_load_dword s7, s[4:5], 0x4c
	s_load_dwordx2 s[0:1], s[4:5], 0x0
	s_waitcnt lgkmcnt(0)
	v_mov_b32_dpp v15, v0 quad_perm:[1,0,3,2] row_mask:0xf bank_mask:0xf
	v_add_f32_e32 v0, v0, v15
	v_div_scale_f32 v15, s[4:5], v14, v14, v0
	v_rcp_f32_e32 v16, v15
	s_ashr_i32 s8, s7, 31
	s_mul_hi_u32 s9, s7, s6
	s_mul_i32 s8, s8, s6
	v_fma_f32 v17, -v15, v16, 1.0
	v_fmac_f32_e32 v16, v17, v16
	v_div_scale_f32 v17, vcc, v0, v14, v0
	v_mul_f32_e32 v18, v17, v16
	v_fma_f32 v19, -v15, v18, v17
	v_fmac_f32_e32 v18, v19, v16
	v_fma_f32 v15, -v15, v18, v17
	v_div_fmas_f32 v15, v15, v16, v18
	v_div_fixup_f32 v0, v15, v14, v0
	v_cvt_f64_f32_e32 v[14:15], v0
	v_add_f64 v[14:15], v[14:15], s[10:11]
	s_mul_i32 s4, s7, s6
	v_cvt_f32_f64_e32 v0, v[14:15]
	s_mov_b32 s6, 0x800000
	v_mul_f32_e32 v14, 0x4b800000, v0
	v_cmp_gt_f32_e32 vcc, s6, v0
	v_cndmask_b32_e32 v0, v0, v14, vcc
	v_rsq_f32_e32 v0, v0
	s_add_i32 s5, s9, s8
	s_lshl_b64 s[4:5], s[4:5], 1
	s_add_u32 s0, s0, s4
	v_mul_f32_e32 v14, 0x45800000, v0
	v_cndmask_b32_e32 v14, v0, v14, vcc
	v_mov_b32_e32 v15, v14
	s_addc_u32 s1, s1, s5
	;;#ASMSTART
	v_pk_mul_f32 v[12:13], v[12:13], v[14:15]
	;;#ASMEND
	;;#ASMSTART
	v_pk_mul_f32 v[10:11], v[10:11], v[14:15]
	;;#ASMEND
	;; [unrolled: 3-line block ×4, first 2 shown]
	s_waitcnt vmcnt(0)
	v_cvt_f32_u32_sdwa v15, v2 dst_sel:DWORD dst_unused:UNUSED_PAD src0_sel:WORD_1
	v_cvt_f32_u32_sdwa v14, v2 dst_sel:DWORD dst_unused:UNUSED_PAD src0_sel:WORD_0
	v_cvt_f32_u32_sdwa v17, v3 dst_sel:DWORD dst_unused:UNUSED_PAD src0_sel:WORD_1
	v_cvt_f32_u32_sdwa v16, v3 dst_sel:DWORD dst_unused:UNUSED_PAD src0_sel:WORD_0
	;; [unrolled: 2-line block ×4, first 2 shown]
	;;#ASMSTART
	v_pk_mul_f32 v[4:5], v[12:13], v[14:15]
	;;#ASMEND
	s_mov_b32 s4, 0x7060302
	;;#ASMSTART
	v_pk_mul_f32 v[10:11], v[10:11], v[16:17]
	;;#ASMEND
	;;#ASMSTART
	v_pk_mul_f32 v[8:9], v[8:9], v[2:3]
	;;#ASMEND
	;; [unrolled: 3-line block ×3, first 2 shown]
	s_and_b32 s1, s1, 0xffff
	v_perm_b32 v2, v5, v4, s4
	v_perm_b32 v3, v11, v10, s4
	;; [unrolled: 1-line block ×4, first 2 shown]
	buffer_store_dwordx4 v[2:5], v1, s[0:3], 0 offen
	;;#ASMSTART
	s_nop 0
	;;#ASMEND
.LBB144_4:
	s_endpgm
	.section	.rodata,"a",@progbits
	.p2align	6, 0x0
	.amdhsa_kernel _ZN5aiter24add_rmsnorm_quant_kernelIttLi128ELi8ELb0ELb0ELb0ELi1EEEvPT0_PT_PfS4_S4_S4_diiiiiiib
		.amdhsa_group_segment_fixed_size 8
		.amdhsa_private_segment_fixed_size 0
		.amdhsa_kernarg_size 88
		.amdhsa_user_sgpr_count 6
		.amdhsa_user_sgpr_private_segment_buffer 1
		.amdhsa_user_sgpr_dispatch_ptr 0
		.amdhsa_user_sgpr_queue_ptr 0
		.amdhsa_user_sgpr_kernarg_segment_ptr 1
		.amdhsa_user_sgpr_dispatch_id 0
		.amdhsa_user_sgpr_flat_scratch_init 0
		.amdhsa_user_sgpr_kernarg_preload_length 0
		.amdhsa_user_sgpr_kernarg_preload_offset 0
		.amdhsa_user_sgpr_private_segment_size 0
		.amdhsa_uses_dynamic_stack 0
		.amdhsa_system_sgpr_private_segment_wavefront_offset 0
		.amdhsa_system_sgpr_workgroup_id_x 1
		.amdhsa_system_sgpr_workgroup_id_y 0
		.amdhsa_system_sgpr_workgroup_id_z 0
		.amdhsa_system_sgpr_workgroup_info 0
		.amdhsa_system_vgpr_workitem_id 0
		.amdhsa_next_free_vgpr 23
		.amdhsa_next_free_sgpr 20
		.amdhsa_accum_offset 24
		.amdhsa_reserve_vcc 1
		.amdhsa_reserve_flat_scratch 0
		.amdhsa_float_round_mode_32 0
		.amdhsa_float_round_mode_16_64 0
		.amdhsa_float_denorm_mode_32 3
		.amdhsa_float_denorm_mode_16_64 3
		.amdhsa_dx10_clamp 1
		.amdhsa_ieee_mode 1
		.amdhsa_fp16_overflow 0
		.amdhsa_tg_split 0
		.amdhsa_exception_fp_ieee_invalid_op 0
		.amdhsa_exception_fp_denorm_src 0
		.amdhsa_exception_fp_ieee_div_zero 0
		.amdhsa_exception_fp_ieee_overflow 0
		.amdhsa_exception_fp_ieee_underflow 0
		.amdhsa_exception_fp_ieee_inexact 0
		.amdhsa_exception_int_div_zero 0
	.end_amdhsa_kernel
	.section	.text._ZN5aiter24add_rmsnorm_quant_kernelIttLi128ELi8ELb0ELb0ELb0ELi1EEEvPT0_PT_PfS4_S4_S4_diiiiiiib,"axG",@progbits,_ZN5aiter24add_rmsnorm_quant_kernelIttLi128ELi8ELb0ELb0ELb0ELi1EEEvPT0_PT_PfS4_S4_S4_diiiiiiib,comdat
.Lfunc_end144:
	.size	_ZN5aiter24add_rmsnorm_quant_kernelIttLi128ELi8ELb0ELb0ELb0ELi1EEEvPT0_PT_PfS4_S4_S4_diiiiiiib, .Lfunc_end144-_ZN5aiter24add_rmsnorm_quant_kernelIttLi128ELi8ELb0ELb0ELb0ELi1EEEvPT0_PT_PfS4_S4_S4_diiiiiiib
                                        ; -- End function
	.section	.AMDGPU.csdata,"",@progbits
; Kernel info:
; codeLenInByte = 848
; NumSgprs: 24
; NumVgprs: 23
; NumAgprs: 0
; TotalNumVgprs: 23
; ScratchSize: 0
; MemoryBound: 0
; FloatMode: 240
; IeeeMode: 1
; LDSByteSize: 8 bytes/workgroup (compile time only)
; SGPRBlocks: 2
; VGPRBlocks: 2
; NumSGPRsForWavesPerEU: 24
; NumVGPRsForWavesPerEU: 23
; AccumOffset: 24
; Occupancy: 8
; WaveLimiterHint : 1
; COMPUTE_PGM_RSRC2:SCRATCH_EN: 0
; COMPUTE_PGM_RSRC2:USER_SGPR: 6
; COMPUTE_PGM_RSRC2:TRAP_HANDLER: 0
; COMPUTE_PGM_RSRC2:TGID_X_EN: 1
; COMPUTE_PGM_RSRC2:TGID_Y_EN: 0
; COMPUTE_PGM_RSRC2:TGID_Z_EN: 0
; COMPUTE_PGM_RSRC2:TIDIG_COMP_CNT: 0
; COMPUTE_PGM_RSRC3_GFX90A:ACCUM_OFFSET: 5
; COMPUTE_PGM_RSRC3_GFX90A:TG_SPLIT: 0
	.section	.text._ZN5aiter24add_rmsnorm_quant_kernelIDF16_DF16_Li256ELi8ELb0ELb0ELb1ELi1EEEvPT0_PT_PfS4_S4_S4_diiiiiiib,"axG",@progbits,_ZN5aiter24add_rmsnorm_quant_kernelIDF16_DF16_Li256ELi8ELb0ELb0ELb1ELi1EEEvPT0_PT_PfS4_S4_S4_diiiiiiib,comdat
	.protected	_ZN5aiter24add_rmsnorm_quant_kernelIDF16_DF16_Li256ELi8ELb0ELb0ELb1ELi1EEEvPT0_PT_PfS4_S4_S4_diiiiiiib ; -- Begin function _ZN5aiter24add_rmsnorm_quant_kernelIDF16_DF16_Li256ELi8ELb0ELb0ELb1ELi1EEEvPT0_PT_PfS4_S4_S4_diiiiiiib
	.globl	_ZN5aiter24add_rmsnorm_quant_kernelIDF16_DF16_Li256ELi8ELb0ELb0ELb1ELi1EEEvPT0_PT_PfS4_S4_S4_diiiiiiib
	.p2align	8
	.type	_ZN5aiter24add_rmsnorm_quant_kernelIDF16_DF16_Li256ELi8ELb0ELb0ELb1ELi1EEEvPT0_PT_PfS4_S4_S4_diiiiiiib,@function
_ZN5aiter24add_rmsnorm_quant_kernelIDF16_DF16_Li256ELi8ELb0ELb0ELb1ELi1EEEvPT0_PT_PfS4_S4_S4_diiiiiiib: ; @_ZN5aiter24add_rmsnorm_quant_kernelIDF16_DF16_Li256ELi8ELb0ELb0ELb1ELi1EEEvPT0_PT_PfS4_S4_S4_diiiiiiib
; %bb.0:
	s_load_dwordx4 s[12:15], s[4:5], 0x38
	s_mov_b32 s7, 0
	s_waitcnt lgkmcnt(0)
	s_ashr_i32 s0, s12, 31
	v_mov_b32_e32 v2, s12
	v_mov_b32_e32 v3, s0
	v_cmp_ge_i64_e32 vcc, s[6:7], v[2:3]
	s_cbranch_vccnz .LBB145_4
; %bb.1:
	s_load_dwordx2 s[0:1], s[4:5], 0x18
	s_load_dwordx4 s[8:11], s[4:5], 0x28
	s_ashr_i32 s2, s14, 31
	s_mul_hi_u32 s3, s14, s6
	s_mul_i32 s2, s2, s6
	s_add_i32 s3, s3, s2
	s_mul_i32 s2, s14, s6
	s_lshl_b64 s[2:3], s[2:3], 1
	s_waitcnt lgkmcnt(0)
	s_add_u32 s0, s0, s2
	s_addc_u32 s1, s1, s3
	s_add_i32 s2, s13, 1
	s_lshr_b32 s3, s2, 31
	s_add_i32 s2, s2, s3
	s_lshl_b32 s2, s2, 1
	s_and_b32 s2, s2, -4
	s_and_b32 s1, s1, 0xffff
	s_mov_b32 s3, 0x20000
	v_lshlrev_b32_e32 v1, 4, v0
	buffer_load_dwordx4 v[14:17], v1, s[0:3], 0 offen glc slc
	s_mov_b32 s19, s3
	s_mov_b32 s16, s8
	s_and_b32 s17, s9, 0xffff
	s_mov_b32 s18, s2
	buffer_load_dwordx4 v[2:5], v1, s[16:19], 0 offen
	v_and_b32_e32 v22, 63, v0
	v_cmp_eq_u32_e32 vcc, 63, v22
	s_waitcnt vmcnt(1)
	v_cvt_f32_f16_e32 v12, v14
	v_cvt_f32_f16_sdwa v13, v14 dst_sel:DWORD dst_unused:UNUSED_PAD src0_sel:WORD_1
	v_cvt_f32_f16_e32 v10, v15
	v_cvt_f32_f16_sdwa v11, v15 dst_sel:DWORD dst_unused:UNUSED_PAD src0_sel:WORD_1
	;; [unrolled: 2-line block ×3, first 2 shown]
	v_pk_mul_f32 v[14:15], v[12:13], v[12:13]
	v_cvt_f32_f16_e32 v6, v17
	v_cvt_f32_f16_sdwa v7, v17 dst_sel:DWORD dst_unused:UNUSED_PAD src0_sel:WORD_1
	v_pk_mul_f32 v[16:17], v[10:11], v[10:11]
	v_add_f32_e32 v14, v14, v15
	v_add_f32_e32 v14, v16, v14
	v_pk_mul_f32 v[18:19], v[8:9], v[8:9]
	v_add_f32_e32 v14, v17, v14
	v_add_f32_e32 v14, v18, v14
	;; [unrolled: 3-line block ×3, first 2 shown]
	v_add_f32_e32 v14, v21, v14
	s_nop 1
	v_mov_b32_dpp v15, v14 quad_perm:[1,0,3,2] row_mask:0xf bank_mask:0xf
	v_add_f32_e32 v14, v14, v15
	s_nop 1
	v_mov_b32_dpp v15, v14 quad_perm:[2,3,0,1] row_mask:0xf bank_mask:0xf
	v_add_f32_e32 v14, v14, v15
	s_nop 1
	v_mov_b32_dpp v15, v14 row_half_mirror row_mask:0xf bank_mask:0xf
	v_add_f32_e32 v14, v14, v15
	s_nop 1
	v_mov_b32_dpp v15, v14 row_mirror row_mask:0xf bank_mask:0xf
	v_add_f32_e32 v14, v14, v15
	s_nop 1
	v_mov_b32_dpp v15, v14 row_bcast:15 row_mask:0xf bank_mask:0xf
	v_add_f32_e32 v14, v14, v15
	s_nop 1
	v_mov_b32_dpp v15, v14 row_bcast:31 row_mask:0xf bank_mask:0xf
	s_and_saveexec_b64 s[0:1], vcc
	s_cbranch_execz .LBB145_3
; %bb.2:
	v_lshrrev_b32_e32 v16, 4, v0
	v_and_b32_e32 v16, 60, v16
	v_add_f32_e32 v14, v14, v15
	ds_write_b32 v16, v14
.LBB145_3:
	s_or_b64 exec, exec, s[0:1]
	v_and_b32_e32 v0, 3, v0
	v_lshlrev_b32_e32 v0, 2, v0
	s_waitcnt lgkmcnt(0)
	s_barrier
	ds_read_b32 v0, v0
	s_load_dword s7, s[4:5], 0x4c
	s_load_dwordx2 s[0:1], s[4:5], 0x0
	s_waitcnt lgkmcnt(0)
	v_mov_b32_dpp v14, v0 quad_perm:[1,0,3,2] row_mask:0xf bank_mask:0xf
	v_add_f32_e32 v0, v0, v14
	v_cvt_f32_i32_e32 v14, s13
	s_ashr_i32 s8, s7, 31
	v_mov_b32_dpp v15, v0 quad_perm:[2,3,0,1] row_mask:0xf bank_mask:0xf
	v_add_f32_e32 v0, v0, v15
	v_div_scale_f32 v15, s[4:5], v14, v14, v0
	v_rcp_f32_e32 v16, v15
	s_mul_hi_u32 s9, s7, s6
	s_mul_i32 s8, s8, s6
	s_mul_i32 s4, s7, s6
	v_fma_f32 v17, -v15, v16, 1.0
	v_fmac_f32_e32 v16, v17, v16
	v_div_scale_f32 v17, vcc, v0, v14, v0
	v_mul_f32_e32 v18, v17, v16
	v_fma_f32 v19, -v15, v18, v17
	v_fmac_f32_e32 v18, v19, v16
	v_fma_f32 v15, -v15, v18, v17
	v_div_fmas_f32 v15, v15, v16, v18
	v_div_fixup_f32 v0, v15, v14, v0
	v_cvt_f64_f32_e32 v[14:15], v0
	v_add_f64 v[14:15], v[14:15], s[10:11]
	v_cvt_f32_f64_e32 v0, v[14:15]
	s_mov_b32 s6, 0x800000
	v_mul_f32_e32 v14, 0x4b800000, v0
	v_cmp_gt_f32_e32 vcc, s6, v0
	v_cndmask_b32_e32 v0, v0, v14, vcc
	v_rsq_f32_e32 v0, v0
	s_waitcnt vmcnt(0)
	v_cvt_f32_f16_sdwa v17, v3 dst_sel:DWORD dst_unused:UNUSED_PAD src0_sel:WORD_1
	v_cvt_f32_f16_e32 v16, v3
	v_cvt_f32_f16_sdwa v3, v4 dst_sel:DWORD dst_unused:UNUSED_PAD src0_sel:WORD_1
	v_mul_f32_e32 v14, 0x45800000, v0
	v_cndmask_b32_e32 v14, v0, v14, vcc
	v_mov_b32_e32 v15, v14
	;;#ASMSTART
	v_pk_mul_f32 v[12:13], v[12:13], v[14:15]
	;;#ASMEND
	;;#ASMSTART
	v_pk_mul_f32 v[10:11], v[10:11], v[14:15]
	;;#ASMEND
	;; [unrolled: 3-line block ×4, first 2 shown]
	v_cvt_f32_f16_sdwa v15, v2 dst_sel:DWORD dst_unused:UNUSED_PAD src0_sel:WORD_1
	v_cvt_f32_f16_e32 v14, v2
	v_cvt_f32_f16_e32 v2, v4
	v_cvt_f32_f16_sdwa v19, v5 dst_sel:DWORD dst_unused:UNUSED_PAD src0_sel:WORD_1
	v_cvt_f32_f16_e32 v18, v5
	;;#ASMSTART
	v_pk_mul_f32 v[4:5], v[12:13], v[14:15]
	;;#ASMEND
	;;#ASMSTART
	v_pk_mul_f32 v[10:11], v[10:11], v[16:17]
	;;#ASMEND
	;; [unrolled: 3-line block ×4, first 2 shown]
	s_add_i32 s5, s9, s8
	v_cvt_f16_f32_e32 v0, v4
	v_cvt_f16_f32_e32 v4, v5
	;; [unrolled: 1-line block ×8, first 2 shown]
	s_lshl_b64 s[4:5], s[4:5], 1
	s_add_u32 s0, s0, s4
	s_addc_u32 s1, s1, s5
	s_and_b32 s1, s1, 0xffff
	v_pack_b32_f16 v2, v0, v4
	v_pack_b32_f16 v3, v5, v8
	;; [unrolled: 1-line block ×4, first 2 shown]
	buffer_store_dwordx4 v[2:5], v1, s[0:3], 0 offen
	;;#ASMSTART
	s_nop 0
	;;#ASMEND
.LBB145_4:
	s_endpgm
	.section	.rodata,"a",@progbits
	.p2align	6, 0x0
	.amdhsa_kernel _ZN5aiter24add_rmsnorm_quant_kernelIDF16_DF16_Li256ELi8ELb0ELb0ELb1ELi1EEEvPT0_PT_PfS4_S4_S4_diiiiiiib
		.amdhsa_group_segment_fixed_size 16
		.amdhsa_private_segment_fixed_size 0
		.amdhsa_kernarg_size 88
		.amdhsa_user_sgpr_count 6
		.amdhsa_user_sgpr_private_segment_buffer 1
		.amdhsa_user_sgpr_dispatch_ptr 0
		.amdhsa_user_sgpr_queue_ptr 0
		.amdhsa_user_sgpr_kernarg_segment_ptr 1
		.amdhsa_user_sgpr_dispatch_id 0
		.amdhsa_user_sgpr_flat_scratch_init 0
		.amdhsa_user_sgpr_kernarg_preload_length 0
		.amdhsa_user_sgpr_kernarg_preload_offset 0
		.amdhsa_user_sgpr_private_segment_size 0
		.amdhsa_uses_dynamic_stack 0
		.amdhsa_system_sgpr_private_segment_wavefront_offset 0
		.amdhsa_system_sgpr_workgroup_id_x 1
		.amdhsa_system_sgpr_workgroup_id_y 0
		.amdhsa_system_sgpr_workgroup_id_z 0
		.amdhsa_system_sgpr_workgroup_info 0
		.amdhsa_system_vgpr_workitem_id 0
		.amdhsa_next_free_vgpr 23
		.amdhsa_next_free_sgpr 20
		.amdhsa_accum_offset 24
		.amdhsa_reserve_vcc 1
		.amdhsa_reserve_flat_scratch 0
		.amdhsa_float_round_mode_32 0
		.amdhsa_float_round_mode_16_64 0
		.amdhsa_float_denorm_mode_32 3
		.amdhsa_float_denorm_mode_16_64 3
		.amdhsa_dx10_clamp 1
		.amdhsa_ieee_mode 1
		.amdhsa_fp16_overflow 0
		.amdhsa_tg_split 0
		.amdhsa_exception_fp_ieee_invalid_op 0
		.amdhsa_exception_fp_denorm_src 0
		.amdhsa_exception_fp_ieee_div_zero 0
		.amdhsa_exception_fp_ieee_overflow 0
		.amdhsa_exception_fp_ieee_underflow 0
		.amdhsa_exception_fp_ieee_inexact 0
		.amdhsa_exception_int_div_zero 0
	.end_amdhsa_kernel
	.section	.text._ZN5aiter24add_rmsnorm_quant_kernelIDF16_DF16_Li256ELi8ELb0ELb0ELb1ELi1EEEvPT0_PT_PfS4_S4_S4_diiiiiiib,"axG",@progbits,_ZN5aiter24add_rmsnorm_quant_kernelIDF16_DF16_Li256ELi8ELb0ELb0ELb1ELi1EEEvPT0_PT_PfS4_S4_S4_diiiiiiib,comdat
.Lfunc_end145:
	.size	_ZN5aiter24add_rmsnorm_quant_kernelIDF16_DF16_Li256ELi8ELb0ELb0ELb1ELi1EEEvPT0_PT_PfS4_S4_S4_diiiiiiib, .Lfunc_end145-_ZN5aiter24add_rmsnorm_quant_kernelIDF16_DF16_Li256ELi8ELb0ELb0ELb1ELi1EEEvPT0_PT_PfS4_S4_S4_diiiiiiib
                                        ; -- End function
	.section	.AMDGPU.csdata,"",@progbits
; Kernel info:
; codeLenInByte = 852
; NumSgprs: 24
; NumVgprs: 23
; NumAgprs: 0
; TotalNumVgprs: 23
; ScratchSize: 0
; MemoryBound: 0
; FloatMode: 240
; IeeeMode: 1
; LDSByteSize: 16 bytes/workgroup (compile time only)
; SGPRBlocks: 2
; VGPRBlocks: 2
; NumSGPRsForWavesPerEU: 24
; NumVGPRsForWavesPerEU: 23
; AccumOffset: 24
; Occupancy: 8
; WaveLimiterHint : 1
; COMPUTE_PGM_RSRC2:SCRATCH_EN: 0
; COMPUTE_PGM_RSRC2:USER_SGPR: 6
; COMPUTE_PGM_RSRC2:TRAP_HANDLER: 0
; COMPUTE_PGM_RSRC2:TGID_X_EN: 1
; COMPUTE_PGM_RSRC2:TGID_Y_EN: 0
; COMPUTE_PGM_RSRC2:TGID_Z_EN: 0
; COMPUTE_PGM_RSRC2:TIDIG_COMP_CNT: 0
; COMPUTE_PGM_RSRC3_GFX90A:ACCUM_OFFSET: 5
; COMPUTE_PGM_RSRC3_GFX90A:TG_SPLIT: 0
	.section	.text._ZN5aiter24add_rmsnorm_quant_kernelIttLi256ELi8ELb0ELb0ELb1ELi1EEEvPT0_PT_PfS4_S4_S4_diiiiiiib,"axG",@progbits,_ZN5aiter24add_rmsnorm_quant_kernelIttLi256ELi8ELb0ELb0ELb1ELi1EEEvPT0_PT_PfS4_S4_S4_diiiiiiib,comdat
	.protected	_ZN5aiter24add_rmsnorm_quant_kernelIttLi256ELi8ELb0ELb0ELb1ELi1EEEvPT0_PT_PfS4_S4_S4_diiiiiiib ; -- Begin function _ZN5aiter24add_rmsnorm_quant_kernelIttLi256ELi8ELb0ELb0ELb1ELi1EEEvPT0_PT_PfS4_S4_S4_diiiiiiib
	.globl	_ZN5aiter24add_rmsnorm_quant_kernelIttLi256ELi8ELb0ELb0ELb1ELi1EEEvPT0_PT_PfS4_S4_S4_diiiiiiib
	.p2align	8
	.type	_ZN5aiter24add_rmsnorm_quant_kernelIttLi256ELi8ELb0ELb0ELb1ELi1EEEvPT0_PT_PfS4_S4_S4_diiiiiiib,@function
_ZN5aiter24add_rmsnorm_quant_kernelIttLi256ELi8ELb0ELb0ELb1ELi1EEEvPT0_PT_PfS4_S4_S4_diiiiiiib: ; @_ZN5aiter24add_rmsnorm_quant_kernelIttLi256ELi8ELb0ELb0ELb1ELi1EEEvPT0_PT_PfS4_S4_S4_diiiiiiib
; %bb.0:
	s_load_dwordx4 s[12:15], s[4:5], 0x38
	s_mov_b32 s7, 0
	s_waitcnt lgkmcnt(0)
	s_ashr_i32 s0, s12, 31
	v_mov_b32_e32 v2, s12
	v_mov_b32_e32 v3, s0
	v_cmp_ge_i64_e32 vcc, s[6:7], v[2:3]
	s_cbranch_vccnz .LBB146_4
; %bb.1:
	s_load_dwordx2 s[0:1], s[4:5], 0x18
	s_load_dwordx4 s[8:11], s[4:5], 0x28
	s_ashr_i32 s2, s14, 31
	s_mul_hi_u32 s3, s14, s6
	s_mul_i32 s2, s2, s6
	s_add_i32 s3, s3, s2
	s_mul_i32 s2, s14, s6
	s_lshl_b64 s[2:3], s[2:3], 1
	s_waitcnt lgkmcnt(0)
	s_add_u32 s0, s0, s2
	s_addc_u32 s1, s1, s3
	s_add_i32 s2, s13, 1
	s_lshr_b32 s3, s2, 31
	s_add_i32 s2, s2, s3
	s_lshl_b32 s2, s2, 1
	s_and_b32 s2, s2, -4
	s_and_b32 s1, s1, 0xffff
	s_mov_b32 s3, 0x20000
	v_lshlrev_b32_e32 v1, 4, v0
	buffer_load_dwordx4 v[14:17], v1, s[0:3], 0 offen glc slc
	s_mov_b32 s19, s3
	s_mov_b32 s16, s8
	s_and_b32 s17, s9, 0xffff
	s_mov_b32 s18, s2
	buffer_load_dwordx4 v[2:5], v1, s[16:19], 0 offen
	v_and_b32_e32 v22, 63, v0
	v_cmp_eq_u32_e32 vcc, 63, v22
	s_waitcnt vmcnt(1)
	v_cvt_f32_u32_sdwa v13, v14 dst_sel:DWORD dst_unused:UNUSED_PAD src0_sel:WORD_1
	v_cvt_f32_u32_sdwa v12, v14 dst_sel:DWORD dst_unused:UNUSED_PAD src0_sel:WORD_0
	v_cvt_f32_u32_sdwa v11, v15 dst_sel:DWORD dst_unused:UNUSED_PAD src0_sel:WORD_1
	v_cvt_f32_u32_sdwa v10, v15 dst_sel:DWORD dst_unused:UNUSED_PAD src0_sel:WORD_0
	;; [unrolled: 2-line block ×3, first 2 shown]
	v_pk_mul_f32 v[14:15], v[12:13], v[12:13]
	v_cvt_f32_u32_sdwa v7, v17 dst_sel:DWORD dst_unused:UNUSED_PAD src0_sel:WORD_1
	v_cvt_f32_u32_sdwa v6, v17 dst_sel:DWORD dst_unused:UNUSED_PAD src0_sel:WORD_0
	v_pk_mul_f32 v[16:17], v[10:11], v[10:11]
	v_add_f32_e32 v14, v14, v15
	v_add_f32_e32 v14, v16, v14
	v_pk_mul_f32 v[18:19], v[8:9], v[8:9]
	v_add_f32_e32 v14, v17, v14
	v_add_f32_e32 v14, v18, v14
	;; [unrolled: 3-line block ×3, first 2 shown]
	v_add_f32_e32 v14, v21, v14
	s_nop 1
	v_mov_b32_dpp v15, v14 quad_perm:[1,0,3,2] row_mask:0xf bank_mask:0xf
	v_add_f32_e32 v14, v14, v15
	s_nop 1
	v_mov_b32_dpp v15, v14 quad_perm:[2,3,0,1] row_mask:0xf bank_mask:0xf
	v_add_f32_e32 v14, v14, v15
	s_nop 1
	v_mov_b32_dpp v15, v14 row_half_mirror row_mask:0xf bank_mask:0xf
	v_add_f32_e32 v14, v14, v15
	s_nop 1
	v_mov_b32_dpp v15, v14 row_mirror row_mask:0xf bank_mask:0xf
	v_add_f32_e32 v14, v14, v15
	s_nop 1
	v_mov_b32_dpp v15, v14 row_bcast:15 row_mask:0xf bank_mask:0xf
	v_add_f32_e32 v14, v14, v15
	s_nop 1
	v_mov_b32_dpp v15, v14 row_bcast:31 row_mask:0xf bank_mask:0xf
	s_and_saveexec_b64 s[0:1], vcc
	s_cbranch_execz .LBB146_3
; %bb.2:
	v_lshrrev_b32_e32 v16, 4, v0
	v_and_b32_e32 v16, 60, v16
	v_add_f32_e32 v14, v14, v15
	ds_write_b32 v16, v14
.LBB146_3:
	s_or_b64 exec, exec, s[0:1]
	v_and_b32_e32 v0, 3, v0
	v_lshlrev_b32_e32 v0, 2, v0
	s_waitcnt lgkmcnt(0)
	s_barrier
	ds_read_b32 v0, v0
	s_load_dword s7, s[4:5], 0x4c
	s_load_dwordx2 s[0:1], s[4:5], 0x0
	s_waitcnt lgkmcnt(0)
	v_mov_b32_dpp v14, v0 quad_perm:[1,0,3,2] row_mask:0xf bank_mask:0xf
	v_add_f32_e32 v0, v0, v14
	v_cvt_f32_i32_e32 v14, s13
	s_ashr_i32 s8, s7, 31
	v_mov_b32_dpp v15, v0 quad_perm:[2,3,0,1] row_mask:0xf bank_mask:0xf
	v_add_f32_e32 v0, v0, v15
	v_div_scale_f32 v15, s[4:5], v14, v14, v0
	v_rcp_f32_e32 v16, v15
	s_mul_hi_u32 s9, s7, s6
	s_mul_i32 s8, s8, s6
	s_mul_i32 s4, s7, s6
	v_fma_f32 v17, -v15, v16, 1.0
	v_fmac_f32_e32 v16, v17, v16
	v_div_scale_f32 v17, vcc, v0, v14, v0
	v_mul_f32_e32 v18, v17, v16
	v_fma_f32 v19, -v15, v18, v17
	v_fmac_f32_e32 v18, v19, v16
	v_fma_f32 v15, -v15, v18, v17
	v_div_fmas_f32 v15, v15, v16, v18
	v_div_fixup_f32 v0, v15, v14, v0
	v_cvt_f64_f32_e32 v[14:15], v0
	v_add_f64 v[14:15], v[14:15], s[10:11]
	v_cvt_f32_f64_e32 v0, v[14:15]
	s_mov_b32 s6, 0x800000
	v_mul_f32_e32 v14, 0x4b800000, v0
	v_cmp_gt_f32_e32 vcc, s6, v0
	v_cndmask_b32_e32 v0, v0, v14, vcc
	v_rsq_f32_e32 v0, v0
	s_add_i32 s5, s9, s8
	s_lshl_b64 s[4:5], s[4:5], 1
	s_add_u32 s0, s0, s4
	v_mul_f32_e32 v14, 0x45800000, v0
	v_cndmask_b32_e32 v14, v0, v14, vcc
	v_mov_b32_e32 v15, v14
	s_addc_u32 s1, s1, s5
	;;#ASMSTART
	v_pk_mul_f32 v[12:13], v[12:13], v[14:15]
	;;#ASMEND
	;;#ASMSTART
	v_pk_mul_f32 v[10:11], v[10:11], v[14:15]
	;;#ASMEND
	;; [unrolled: 3-line block ×4, first 2 shown]
	s_waitcnt vmcnt(0)
	v_cvt_f32_u32_sdwa v15, v2 dst_sel:DWORD dst_unused:UNUSED_PAD src0_sel:WORD_1
	v_cvt_f32_u32_sdwa v14, v2 dst_sel:DWORD dst_unused:UNUSED_PAD src0_sel:WORD_0
	v_cvt_f32_u32_sdwa v17, v3 dst_sel:DWORD dst_unused:UNUSED_PAD src0_sel:WORD_1
	v_cvt_f32_u32_sdwa v16, v3 dst_sel:DWORD dst_unused:UNUSED_PAD src0_sel:WORD_0
	v_cvt_f32_u32_sdwa v3, v4 dst_sel:DWORD dst_unused:UNUSED_PAD src0_sel:WORD_1
	v_cvt_f32_u32_sdwa v2, v4 dst_sel:DWORD dst_unused:UNUSED_PAD src0_sel:WORD_0
	v_cvt_f32_u32_sdwa v19, v5 dst_sel:DWORD dst_unused:UNUSED_PAD src0_sel:WORD_1
	v_cvt_f32_u32_sdwa v18, v5 dst_sel:DWORD dst_unused:UNUSED_PAD src0_sel:WORD_0
	;;#ASMSTART
	v_pk_mul_f32 v[4:5], v[12:13], v[14:15]
	;;#ASMEND
	s_mov_b32 s4, 0x7060302
	;;#ASMSTART
	v_pk_mul_f32 v[10:11], v[10:11], v[16:17]
	;;#ASMEND
	;;#ASMSTART
	v_pk_mul_f32 v[8:9], v[8:9], v[2:3]
	;;#ASMEND
	;; [unrolled: 3-line block ×3, first 2 shown]
	s_and_b32 s1, s1, 0xffff
	v_perm_b32 v2, v5, v4, s4
	v_perm_b32 v3, v11, v10, s4
	;; [unrolled: 1-line block ×4, first 2 shown]
	buffer_store_dwordx4 v[2:5], v1, s[0:3], 0 offen
	;;#ASMSTART
	s_nop 0
	;;#ASMEND
.LBB146_4:
	s_endpgm
	.section	.rodata,"a",@progbits
	.p2align	6, 0x0
	.amdhsa_kernel _ZN5aiter24add_rmsnorm_quant_kernelIttLi256ELi8ELb0ELb0ELb1ELi1EEEvPT0_PT_PfS4_S4_S4_diiiiiiib
		.amdhsa_group_segment_fixed_size 16
		.amdhsa_private_segment_fixed_size 0
		.amdhsa_kernarg_size 88
		.amdhsa_user_sgpr_count 6
		.amdhsa_user_sgpr_private_segment_buffer 1
		.amdhsa_user_sgpr_dispatch_ptr 0
		.amdhsa_user_sgpr_queue_ptr 0
		.amdhsa_user_sgpr_kernarg_segment_ptr 1
		.amdhsa_user_sgpr_dispatch_id 0
		.amdhsa_user_sgpr_flat_scratch_init 0
		.amdhsa_user_sgpr_kernarg_preload_length 0
		.amdhsa_user_sgpr_kernarg_preload_offset 0
		.amdhsa_user_sgpr_private_segment_size 0
		.amdhsa_uses_dynamic_stack 0
		.amdhsa_system_sgpr_private_segment_wavefront_offset 0
		.amdhsa_system_sgpr_workgroup_id_x 1
		.amdhsa_system_sgpr_workgroup_id_y 0
		.amdhsa_system_sgpr_workgroup_id_z 0
		.amdhsa_system_sgpr_workgroup_info 0
		.amdhsa_system_vgpr_workitem_id 0
		.amdhsa_next_free_vgpr 23
		.amdhsa_next_free_sgpr 20
		.amdhsa_accum_offset 24
		.amdhsa_reserve_vcc 1
		.amdhsa_reserve_flat_scratch 0
		.amdhsa_float_round_mode_32 0
		.amdhsa_float_round_mode_16_64 0
		.amdhsa_float_denorm_mode_32 3
		.amdhsa_float_denorm_mode_16_64 3
		.amdhsa_dx10_clamp 1
		.amdhsa_ieee_mode 1
		.amdhsa_fp16_overflow 0
		.amdhsa_tg_split 0
		.amdhsa_exception_fp_ieee_invalid_op 0
		.amdhsa_exception_fp_denorm_src 0
		.amdhsa_exception_fp_ieee_div_zero 0
		.amdhsa_exception_fp_ieee_overflow 0
		.amdhsa_exception_fp_ieee_underflow 0
		.amdhsa_exception_fp_ieee_inexact 0
		.amdhsa_exception_int_div_zero 0
	.end_amdhsa_kernel
	.section	.text._ZN5aiter24add_rmsnorm_quant_kernelIttLi256ELi8ELb0ELb0ELb1ELi1EEEvPT0_PT_PfS4_S4_S4_diiiiiiib,"axG",@progbits,_ZN5aiter24add_rmsnorm_quant_kernelIttLi256ELi8ELb0ELb0ELb1ELi1EEEvPT0_PT_PfS4_S4_S4_diiiiiiib,comdat
.Lfunc_end146:
	.size	_ZN5aiter24add_rmsnorm_quant_kernelIttLi256ELi8ELb0ELb0ELb1ELi1EEEvPT0_PT_PfS4_S4_S4_diiiiiiib, .Lfunc_end146-_ZN5aiter24add_rmsnorm_quant_kernelIttLi256ELi8ELb0ELb0ELb1ELi1EEEvPT0_PT_PfS4_S4_S4_diiiiiiib
                                        ; -- End function
	.section	.AMDGPU.csdata,"",@progbits
; Kernel info:
; codeLenInByte = 860
; NumSgprs: 24
; NumVgprs: 23
; NumAgprs: 0
; TotalNumVgprs: 23
; ScratchSize: 0
; MemoryBound: 0
; FloatMode: 240
; IeeeMode: 1
; LDSByteSize: 16 bytes/workgroup (compile time only)
; SGPRBlocks: 2
; VGPRBlocks: 2
; NumSGPRsForWavesPerEU: 24
; NumVGPRsForWavesPerEU: 23
; AccumOffset: 24
; Occupancy: 8
; WaveLimiterHint : 1
; COMPUTE_PGM_RSRC2:SCRATCH_EN: 0
; COMPUTE_PGM_RSRC2:USER_SGPR: 6
; COMPUTE_PGM_RSRC2:TRAP_HANDLER: 0
; COMPUTE_PGM_RSRC2:TGID_X_EN: 1
; COMPUTE_PGM_RSRC2:TGID_Y_EN: 0
; COMPUTE_PGM_RSRC2:TGID_Z_EN: 0
; COMPUTE_PGM_RSRC2:TIDIG_COMP_CNT: 0
; COMPUTE_PGM_RSRC3_GFX90A:ACCUM_OFFSET: 5
; COMPUTE_PGM_RSRC3_GFX90A:TG_SPLIT: 0
	.section	.text._ZN5aiter24add_rmsnorm_quant_kernelIDF16_DF16_Li256ELi8ELb0ELb0ELb0ELi1EEEvPT0_PT_PfS4_S4_S4_diiiiiiib,"axG",@progbits,_ZN5aiter24add_rmsnorm_quant_kernelIDF16_DF16_Li256ELi8ELb0ELb0ELb0ELi1EEEvPT0_PT_PfS4_S4_S4_diiiiiiib,comdat
	.protected	_ZN5aiter24add_rmsnorm_quant_kernelIDF16_DF16_Li256ELi8ELb0ELb0ELb0ELi1EEEvPT0_PT_PfS4_S4_S4_diiiiiiib ; -- Begin function _ZN5aiter24add_rmsnorm_quant_kernelIDF16_DF16_Li256ELi8ELb0ELb0ELb0ELi1EEEvPT0_PT_PfS4_S4_S4_diiiiiiib
	.globl	_ZN5aiter24add_rmsnorm_quant_kernelIDF16_DF16_Li256ELi8ELb0ELb0ELb0ELi1EEEvPT0_PT_PfS4_S4_S4_diiiiiiib
	.p2align	8
	.type	_ZN5aiter24add_rmsnorm_quant_kernelIDF16_DF16_Li256ELi8ELb0ELb0ELb0ELi1EEEvPT0_PT_PfS4_S4_S4_diiiiiiib,@function
_ZN5aiter24add_rmsnorm_quant_kernelIDF16_DF16_Li256ELi8ELb0ELb0ELb0ELi1EEEvPT0_PT_PfS4_S4_S4_diiiiiiib: ; @_ZN5aiter24add_rmsnorm_quant_kernelIDF16_DF16_Li256ELi8ELb0ELb0ELb0ELi1EEEvPT0_PT_PfS4_S4_S4_diiiiiiib
; %bb.0:
	s_load_dwordx4 s[12:15], s[4:5], 0x38
	s_mov_b32 s7, 0
	s_waitcnt lgkmcnt(0)
	s_ashr_i32 s0, s12, 31
	v_mov_b32_e32 v2, s12
	v_mov_b32_e32 v3, s0
	v_cmp_ge_i64_e32 vcc, s[6:7], v[2:3]
	s_cbranch_vccnz .LBB147_4
; %bb.1:
	s_load_dwordx2 s[0:1], s[4:5], 0x18
	s_load_dwordx4 s[8:11], s[4:5], 0x28
	s_ashr_i32 s2, s14, 31
	s_mul_hi_u32 s3, s14, s6
	s_mul_i32 s2, s2, s6
	s_add_i32 s3, s3, s2
	s_mul_i32 s2, s14, s6
	s_lshl_b64 s[2:3], s[2:3], 1
	s_waitcnt lgkmcnt(0)
	s_add_u32 s0, s0, s2
	s_addc_u32 s1, s1, s3
	s_add_i32 s2, s13, 1
	s_lshr_b32 s3, s2, 31
	s_add_i32 s2, s2, s3
	s_lshl_b32 s2, s2, 1
	s_and_b32 s2, s2, -4
	s_and_b32 s1, s1, 0xffff
	s_mov_b32 s3, 0x20000
	v_lshlrev_b32_e32 v1, 4, v0
	buffer_load_dwordx4 v[14:17], v1, s[0:3], 0 offen glc slc
	s_mov_b32 s19, s3
	s_mov_b32 s16, s8
	s_and_b32 s17, s9, 0xffff
	s_mov_b32 s18, s2
	buffer_load_dwordx4 v[2:5], v1, s[16:19], 0 offen
	v_and_b32_e32 v22, 63, v0
	v_cmp_eq_u32_e32 vcc, 63, v22
	s_waitcnt vmcnt(1)
	v_cvt_f32_f16_e32 v12, v14
	v_cvt_f32_f16_sdwa v13, v14 dst_sel:DWORD dst_unused:UNUSED_PAD src0_sel:WORD_1
	v_cvt_f32_f16_e32 v10, v15
	v_cvt_f32_f16_sdwa v11, v15 dst_sel:DWORD dst_unused:UNUSED_PAD src0_sel:WORD_1
	;; [unrolled: 2-line block ×3, first 2 shown]
	v_pk_mul_f32 v[14:15], v[12:13], v[12:13]
	v_cvt_f32_f16_e32 v6, v17
	v_cvt_f32_f16_sdwa v7, v17 dst_sel:DWORD dst_unused:UNUSED_PAD src0_sel:WORD_1
	v_pk_mul_f32 v[16:17], v[10:11], v[10:11]
	v_add_f32_e32 v14, v14, v15
	v_add_f32_e32 v14, v16, v14
	v_pk_mul_f32 v[18:19], v[8:9], v[8:9]
	v_add_f32_e32 v14, v17, v14
	v_add_f32_e32 v14, v18, v14
	;; [unrolled: 3-line block ×3, first 2 shown]
	v_add_f32_e32 v14, v21, v14
	s_nop 1
	v_mov_b32_dpp v15, v14 quad_perm:[1,0,3,2] row_mask:0xf bank_mask:0xf
	v_add_f32_e32 v14, v14, v15
	s_nop 1
	v_mov_b32_dpp v15, v14 quad_perm:[2,3,0,1] row_mask:0xf bank_mask:0xf
	v_add_f32_e32 v14, v14, v15
	s_nop 1
	v_mov_b32_dpp v15, v14 row_half_mirror row_mask:0xf bank_mask:0xf
	v_add_f32_e32 v14, v14, v15
	s_nop 1
	v_mov_b32_dpp v15, v14 row_mirror row_mask:0xf bank_mask:0xf
	v_add_f32_e32 v14, v14, v15
	s_nop 1
	v_mov_b32_dpp v15, v14 row_bcast:15 row_mask:0xf bank_mask:0xf
	v_add_f32_e32 v14, v14, v15
	s_nop 1
	v_mov_b32_dpp v15, v14 row_bcast:31 row_mask:0xf bank_mask:0xf
	s_and_saveexec_b64 s[0:1], vcc
	s_cbranch_execz .LBB147_3
; %bb.2:
	v_lshrrev_b32_e32 v16, 4, v0
	v_and_b32_e32 v16, 60, v16
	v_add_f32_e32 v14, v14, v15
	ds_write_b32 v16, v14
.LBB147_3:
	s_or_b64 exec, exec, s[0:1]
	v_and_b32_e32 v0, 3, v0
	v_lshlrev_b32_e32 v0, 2, v0
	s_waitcnt lgkmcnt(0)
	s_barrier
	ds_read_b32 v0, v0
	s_load_dword s7, s[4:5], 0x4c
	s_load_dwordx2 s[0:1], s[4:5], 0x0
	s_waitcnt lgkmcnt(0)
	v_mov_b32_dpp v14, v0 quad_perm:[1,0,3,2] row_mask:0xf bank_mask:0xf
	v_add_f32_e32 v0, v0, v14
	v_cvt_f32_i32_e32 v14, s13
	s_ashr_i32 s8, s7, 31
	v_mov_b32_dpp v15, v0 quad_perm:[2,3,0,1] row_mask:0xf bank_mask:0xf
	v_add_f32_e32 v0, v0, v15
	v_div_scale_f32 v15, s[4:5], v14, v14, v0
	v_rcp_f32_e32 v16, v15
	s_mul_hi_u32 s9, s7, s6
	s_mul_i32 s8, s8, s6
	s_mul_i32 s4, s7, s6
	v_fma_f32 v17, -v15, v16, 1.0
	v_fmac_f32_e32 v16, v17, v16
	v_div_scale_f32 v17, vcc, v0, v14, v0
	v_mul_f32_e32 v18, v17, v16
	v_fma_f32 v19, -v15, v18, v17
	v_fmac_f32_e32 v18, v19, v16
	v_fma_f32 v15, -v15, v18, v17
	v_div_fmas_f32 v15, v15, v16, v18
	v_div_fixup_f32 v0, v15, v14, v0
	v_cvt_f64_f32_e32 v[14:15], v0
	v_add_f64 v[14:15], v[14:15], s[10:11]
	v_cvt_f32_f64_e32 v0, v[14:15]
	s_mov_b32 s6, 0x800000
	v_mul_f32_e32 v14, 0x4b800000, v0
	v_cmp_gt_f32_e32 vcc, s6, v0
	v_cndmask_b32_e32 v0, v0, v14, vcc
	v_rsq_f32_e32 v0, v0
	s_waitcnt vmcnt(0)
	v_cvt_f32_f16_sdwa v17, v3 dst_sel:DWORD dst_unused:UNUSED_PAD src0_sel:WORD_1
	v_cvt_f32_f16_e32 v16, v3
	v_cvt_f32_f16_sdwa v3, v4 dst_sel:DWORD dst_unused:UNUSED_PAD src0_sel:WORD_1
	v_mul_f32_e32 v14, 0x45800000, v0
	v_cndmask_b32_e32 v14, v0, v14, vcc
	v_mov_b32_e32 v15, v14
	;;#ASMSTART
	v_pk_mul_f32 v[12:13], v[12:13], v[14:15]
	;;#ASMEND
	;;#ASMSTART
	v_pk_mul_f32 v[10:11], v[10:11], v[14:15]
	;;#ASMEND
	;; [unrolled: 3-line block ×4, first 2 shown]
	v_cvt_f32_f16_sdwa v15, v2 dst_sel:DWORD dst_unused:UNUSED_PAD src0_sel:WORD_1
	v_cvt_f32_f16_e32 v14, v2
	v_cvt_f32_f16_e32 v2, v4
	v_cvt_f32_f16_sdwa v19, v5 dst_sel:DWORD dst_unused:UNUSED_PAD src0_sel:WORD_1
	v_cvt_f32_f16_e32 v18, v5
	;;#ASMSTART
	v_pk_mul_f32 v[4:5], v[12:13], v[14:15]
	;;#ASMEND
	;;#ASMSTART
	v_pk_mul_f32 v[10:11], v[10:11], v[16:17]
	;;#ASMEND
	;; [unrolled: 3-line block ×4, first 2 shown]
	s_add_i32 s5, s9, s8
	v_cvt_f16_f32_e32 v0, v4
	v_cvt_f16_f32_e32 v4, v5
	;; [unrolled: 1-line block ×8, first 2 shown]
	s_lshl_b64 s[4:5], s[4:5], 1
	s_add_u32 s0, s0, s4
	s_addc_u32 s1, s1, s5
	s_and_b32 s1, s1, 0xffff
	v_pack_b32_f16 v2, v0, v4
	v_pack_b32_f16 v3, v5, v8
	;; [unrolled: 1-line block ×4, first 2 shown]
	buffer_store_dwordx4 v[2:5], v1, s[0:3], 0 offen
	;;#ASMSTART
	s_nop 0
	;;#ASMEND
.LBB147_4:
	s_endpgm
	.section	.rodata,"a",@progbits
	.p2align	6, 0x0
	.amdhsa_kernel _ZN5aiter24add_rmsnorm_quant_kernelIDF16_DF16_Li256ELi8ELb0ELb0ELb0ELi1EEEvPT0_PT_PfS4_S4_S4_diiiiiiib
		.amdhsa_group_segment_fixed_size 16
		.amdhsa_private_segment_fixed_size 0
		.amdhsa_kernarg_size 88
		.amdhsa_user_sgpr_count 6
		.amdhsa_user_sgpr_private_segment_buffer 1
		.amdhsa_user_sgpr_dispatch_ptr 0
		.amdhsa_user_sgpr_queue_ptr 0
		.amdhsa_user_sgpr_kernarg_segment_ptr 1
		.amdhsa_user_sgpr_dispatch_id 0
		.amdhsa_user_sgpr_flat_scratch_init 0
		.amdhsa_user_sgpr_kernarg_preload_length 0
		.amdhsa_user_sgpr_kernarg_preload_offset 0
		.amdhsa_user_sgpr_private_segment_size 0
		.amdhsa_uses_dynamic_stack 0
		.amdhsa_system_sgpr_private_segment_wavefront_offset 0
		.amdhsa_system_sgpr_workgroup_id_x 1
		.amdhsa_system_sgpr_workgroup_id_y 0
		.amdhsa_system_sgpr_workgroup_id_z 0
		.amdhsa_system_sgpr_workgroup_info 0
		.amdhsa_system_vgpr_workitem_id 0
		.amdhsa_next_free_vgpr 23
		.amdhsa_next_free_sgpr 20
		.amdhsa_accum_offset 24
		.amdhsa_reserve_vcc 1
		.amdhsa_reserve_flat_scratch 0
		.amdhsa_float_round_mode_32 0
		.amdhsa_float_round_mode_16_64 0
		.amdhsa_float_denorm_mode_32 3
		.amdhsa_float_denorm_mode_16_64 3
		.amdhsa_dx10_clamp 1
		.amdhsa_ieee_mode 1
		.amdhsa_fp16_overflow 0
		.amdhsa_tg_split 0
		.amdhsa_exception_fp_ieee_invalid_op 0
		.amdhsa_exception_fp_denorm_src 0
		.amdhsa_exception_fp_ieee_div_zero 0
		.amdhsa_exception_fp_ieee_overflow 0
		.amdhsa_exception_fp_ieee_underflow 0
		.amdhsa_exception_fp_ieee_inexact 0
		.amdhsa_exception_int_div_zero 0
	.end_amdhsa_kernel
	.section	.text._ZN5aiter24add_rmsnorm_quant_kernelIDF16_DF16_Li256ELi8ELb0ELb0ELb0ELi1EEEvPT0_PT_PfS4_S4_S4_diiiiiiib,"axG",@progbits,_ZN5aiter24add_rmsnorm_quant_kernelIDF16_DF16_Li256ELi8ELb0ELb0ELb0ELi1EEEvPT0_PT_PfS4_S4_S4_diiiiiiib,comdat
.Lfunc_end147:
	.size	_ZN5aiter24add_rmsnorm_quant_kernelIDF16_DF16_Li256ELi8ELb0ELb0ELb0ELi1EEEvPT0_PT_PfS4_S4_S4_diiiiiiib, .Lfunc_end147-_ZN5aiter24add_rmsnorm_quant_kernelIDF16_DF16_Li256ELi8ELb0ELb0ELb0ELi1EEEvPT0_PT_PfS4_S4_S4_diiiiiiib
                                        ; -- End function
	.section	.AMDGPU.csdata,"",@progbits
; Kernel info:
; codeLenInByte = 852
; NumSgprs: 24
; NumVgprs: 23
; NumAgprs: 0
; TotalNumVgprs: 23
; ScratchSize: 0
; MemoryBound: 0
; FloatMode: 240
; IeeeMode: 1
; LDSByteSize: 16 bytes/workgroup (compile time only)
; SGPRBlocks: 2
; VGPRBlocks: 2
; NumSGPRsForWavesPerEU: 24
; NumVGPRsForWavesPerEU: 23
; AccumOffset: 24
; Occupancy: 8
; WaveLimiterHint : 1
; COMPUTE_PGM_RSRC2:SCRATCH_EN: 0
; COMPUTE_PGM_RSRC2:USER_SGPR: 6
; COMPUTE_PGM_RSRC2:TRAP_HANDLER: 0
; COMPUTE_PGM_RSRC2:TGID_X_EN: 1
; COMPUTE_PGM_RSRC2:TGID_Y_EN: 0
; COMPUTE_PGM_RSRC2:TGID_Z_EN: 0
; COMPUTE_PGM_RSRC2:TIDIG_COMP_CNT: 0
; COMPUTE_PGM_RSRC3_GFX90A:ACCUM_OFFSET: 5
; COMPUTE_PGM_RSRC3_GFX90A:TG_SPLIT: 0
	.section	.text._ZN5aiter24add_rmsnorm_quant_kernelIttLi256ELi8ELb0ELb0ELb0ELi1EEEvPT0_PT_PfS4_S4_S4_diiiiiiib,"axG",@progbits,_ZN5aiter24add_rmsnorm_quant_kernelIttLi256ELi8ELb0ELb0ELb0ELi1EEEvPT0_PT_PfS4_S4_S4_diiiiiiib,comdat
	.protected	_ZN5aiter24add_rmsnorm_quant_kernelIttLi256ELi8ELb0ELb0ELb0ELi1EEEvPT0_PT_PfS4_S4_S4_diiiiiiib ; -- Begin function _ZN5aiter24add_rmsnorm_quant_kernelIttLi256ELi8ELb0ELb0ELb0ELi1EEEvPT0_PT_PfS4_S4_S4_diiiiiiib
	.globl	_ZN5aiter24add_rmsnorm_quant_kernelIttLi256ELi8ELb0ELb0ELb0ELi1EEEvPT0_PT_PfS4_S4_S4_diiiiiiib
	.p2align	8
	.type	_ZN5aiter24add_rmsnorm_quant_kernelIttLi256ELi8ELb0ELb0ELb0ELi1EEEvPT0_PT_PfS4_S4_S4_diiiiiiib,@function
_ZN5aiter24add_rmsnorm_quant_kernelIttLi256ELi8ELb0ELb0ELb0ELi1EEEvPT0_PT_PfS4_S4_S4_diiiiiiib: ; @_ZN5aiter24add_rmsnorm_quant_kernelIttLi256ELi8ELb0ELb0ELb0ELi1EEEvPT0_PT_PfS4_S4_S4_diiiiiiib
; %bb.0:
	s_load_dwordx4 s[12:15], s[4:5], 0x38
	s_mov_b32 s7, 0
	s_waitcnt lgkmcnt(0)
	s_ashr_i32 s0, s12, 31
	v_mov_b32_e32 v2, s12
	v_mov_b32_e32 v3, s0
	v_cmp_ge_i64_e32 vcc, s[6:7], v[2:3]
	s_cbranch_vccnz .LBB148_4
; %bb.1:
	s_load_dwordx2 s[0:1], s[4:5], 0x18
	s_load_dwordx4 s[8:11], s[4:5], 0x28
	s_ashr_i32 s2, s14, 31
	s_mul_hi_u32 s3, s14, s6
	s_mul_i32 s2, s2, s6
	s_add_i32 s3, s3, s2
	s_mul_i32 s2, s14, s6
	s_lshl_b64 s[2:3], s[2:3], 1
	s_waitcnt lgkmcnt(0)
	s_add_u32 s0, s0, s2
	s_addc_u32 s1, s1, s3
	s_add_i32 s2, s13, 1
	s_lshr_b32 s3, s2, 31
	s_add_i32 s2, s2, s3
	s_lshl_b32 s2, s2, 1
	s_and_b32 s2, s2, -4
	s_and_b32 s1, s1, 0xffff
	s_mov_b32 s3, 0x20000
	v_lshlrev_b32_e32 v1, 4, v0
	buffer_load_dwordx4 v[14:17], v1, s[0:3], 0 offen glc slc
	s_mov_b32 s19, s3
	s_mov_b32 s16, s8
	s_and_b32 s17, s9, 0xffff
	s_mov_b32 s18, s2
	buffer_load_dwordx4 v[2:5], v1, s[16:19], 0 offen
	v_and_b32_e32 v22, 63, v0
	v_cmp_eq_u32_e32 vcc, 63, v22
	s_waitcnt vmcnt(1)
	v_cvt_f32_u32_sdwa v13, v14 dst_sel:DWORD dst_unused:UNUSED_PAD src0_sel:WORD_1
	v_cvt_f32_u32_sdwa v12, v14 dst_sel:DWORD dst_unused:UNUSED_PAD src0_sel:WORD_0
	v_cvt_f32_u32_sdwa v11, v15 dst_sel:DWORD dst_unused:UNUSED_PAD src0_sel:WORD_1
	v_cvt_f32_u32_sdwa v10, v15 dst_sel:DWORD dst_unused:UNUSED_PAD src0_sel:WORD_0
	;; [unrolled: 2-line block ×3, first 2 shown]
	v_pk_mul_f32 v[14:15], v[12:13], v[12:13]
	v_cvt_f32_u32_sdwa v7, v17 dst_sel:DWORD dst_unused:UNUSED_PAD src0_sel:WORD_1
	v_cvt_f32_u32_sdwa v6, v17 dst_sel:DWORD dst_unused:UNUSED_PAD src0_sel:WORD_0
	v_pk_mul_f32 v[16:17], v[10:11], v[10:11]
	v_add_f32_e32 v14, v14, v15
	v_add_f32_e32 v14, v16, v14
	v_pk_mul_f32 v[18:19], v[8:9], v[8:9]
	v_add_f32_e32 v14, v17, v14
	v_add_f32_e32 v14, v18, v14
	;; [unrolled: 3-line block ×3, first 2 shown]
	v_add_f32_e32 v14, v21, v14
	s_nop 1
	v_mov_b32_dpp v15, v14 quad_perm:[1,0,3,2] row_mask:0xf bank_mask:0xf
	v_add_f32_e32 v14, v14, v15
	s_nop 1
	v_mov_b32_dpp v15, v14 quad_perm:[2,3,0,1] row_mask:0xf bank_mask:0xf
	v_add_f32_e32 v14, v14, v15
	s_nop 1
	v_mov_b32_dpp v15, v14 row_half_mirror row_mask:0xf bank_mask:0xf
	v_add_f32_e32 v14, v14, v15
	s_nop 1
	v_mov_b32_dpp v15, v14 row_mirror row_mask:0xf bank_mask:0xf
	v_add_f32_e32 v14, v14, v15
	s_nop 1
	v_mov_b32_dpp v15, v14 row_bcast:15 row_mask:0xf bank_mask:0xf
	v_add_f32_e32 v14, v14, v15
	s_nop 1
	v_mov_b32_dpp v15, v14 row_bcast:31 row_mask:0xf bank_mask:0xf
	s_and_saveexec_b64 s[0:1], vcc
	s_cbranch_execz .LBB148_3
; %bb.2:
	v_lshrrev_b32_e32 v16, 4, v0
	v_and_b32_e32 v16, 60, v16
	v_add_f32_e32 v14, v14, v15
	ds_write_b32 v16, v14
.LBB148_3:
	s_or_b64 exec, exec, s[0:1]
	v_and_b32_e32 v0, 3, v0
	v_lshlrev_b32_e32 v0, 2, v0
	s_waitcnt lgkmcnt(0)
	s_barrier
	ds_read_b32 v0, v0
	s_load_dword s7, s[4:5], 0x4c
	s_load_dwordx2 s[0:1], s[4:5], 0x0
	s_waitcnt lgkmcnt(0)
	v_mov_b32_dpp v14, v0 quad_perm:[1,0,3,2] row_mask:0xf bank_mask:0xf
	v_add_f32_e32 v0, v0, v14
	v_cvt_f32_i32_e32 v14, s13
	s_ashr_i32 s8, s7, 31
	v_mov_b32_dpp v15, v0 quad_perm:[2,3,0,1] row_mask:0xf bank_mask:0xf
	v_add_f32_e32 v0, v0, v15
	v_div_scale_f32 v15, s[4:5], v14, v14, v0
	v_rcp_f32_e32 v16, v15
	s_mul_hi_u32 s9, s7, s6
	s_mul_i32 s8, s8, s6
	s_mul_i32 s4, s7, s6
	v_fma_f32 v17, -v15, v16, 1.0
	v_fmac_f32_e32 v16, v17, v16
	v_div_scale_f32 v17, vcc, v0, v14, v0
	v_mul_f32_e32 v18, v17, v16
	v_fma_f32 v19, -v15, v18, v17
	v_fmac_f32_e32 v18, v19, v16
	v_fma_f32 v15, -v15, v18, v17
	v_div_fmas_f32 v15, v15, v16, v18
	v_div_fixup_f32 v0, v15, v14, v0
	v_cvt_f64_f32_e32 v[14:15], v0
	v_add_f64 v[14:15], v[14:15], s[10:11]
	v_cvt_f32_f64_e32 v0, v[14:15]
	s_mov_b32 s6, 0x800000
	v_mul_f32_e32 v14, 0x4b800000, v0
	v_cmp_gt_f32_e32 vcc, s6, v0
	v_cndmask_b32_e32 v0, v0, v14, vcc
	v_rsq_f32_e32 v0, v0
	s_add_i32 s5, s9, s8
	s_lshl_b64 s[4:5], s[4:5], 1
	s_add_u32 s0, s0, s4
	v_mul_f32_e32 v14, 0x45800000, v0
	v_cndmask_b32_e32 v14, v0, v14, vcc
	v_mov_b32_e32 v15, v14
	s_addc_u32 s1, s1, s5
	;;#ASMSTART
	v_pk_mul_f32 v[12:13], v[12:13], v[14:15]
	;;#ASMEND
	;;#ASMSTART
	v_pk_mul_f32 v[10:11], v[10:11], v[14:15]
	;;#ASMEND
	;; [unrolled: 3-line block ×4, first 2 shown]
	s_waitcnt vmcnt(0)
	v_cvt_f32_u32_sdwa v15, v2 dst_sel:DWORD dst_unused:UNUSED_PAD src0_sel:WORD_1
	v_cvt_f32_u32_sdwa v14, v2 dst_sel:DWORD dst_unused:UNUSED_PAD src0_sel:WORD_0
	v_cvt_f32_u32_sdwa v17, v3 dst_sel:DWORD dst_unused:UNUSED_PAD src0_sel:WORD_1
	v_cvt_f32_u32_sdwa v16, v3 dst_sel:DWORD dst_unused:UNUSED_PAD src0_sel:WORD_0
	v_cvt_f32_u32_sdwa v3, v4 dst_sel:DWORD dst_unused:UNUSED_PAD src0_sel:WORD_1
	v_cvt_f32_u32_sdwa v2, v4 dst_sel:DWORD dst_unused:UNUSED_PAD src0_sel:WORD_0
	v_cvt_f32_u32_sdwa v19, v5 dst_sel:DWORD dst_unused:UNUSED_PAD src0_sel:WORD_1
	v_cvt_f32_u32_sdwa v18, v5 dst_sel:DWORD dst_unused:UNUSED_PAD src0_sel:WORD_0
	;;#ASMSTART
	v_pk_mul_f32 v[4:5], v[12:13], v[14:15]
	;;#ASMEND
	s_mov_b32 s4, 0x7060302
	;;#ASMSTART
	v_pk_mul_f32 v[10:11], v[10:11], v[16:17]
	;;#ASMEND
	;;#ASMSTART
	v_pk_mul_f32 v[8:9], v[8:9], v[2:3]
	;;#ASMEND
	;; [unrolled: 3-line block ×3, first 2 shown]
	s_and_b32 s1, s1, 0xffff
	v_perm_b32 v2, v5, v4, s4
	v_perm_b32 v3, v11, v10, s4
	;; [unrolled: 1-line block ×4, first 2 shown]
	buffer_store_dwordx4 v[2:5], v1, s[0:3], 0 offen
	;;#ASMSTART
	s_nop 0
	;;#ASMEND
.LBB148_4:
	s_endpgm
	.section	.rodata,"a",@progbits
	.p2align	6, 0x0
	.amdhsa_kernel _ZN5aiter24add_rmsnorm_quant_kernelIttLi256ELi8ELb0ELb0ELb0ELi1EEEvPT0_PT_PfS4_S4_S4_diiiiiiib
		.amdhsa_group_segment_fixed_size 16
		.amdhsa_private_segment_fixed_size 0
		.amdhsa_kernarg_size 88
		.amdhsa_user_sgpr_count 6
		.amdhsa_user_sgpr_private_segment_buffer 1
		.amdhsa_user_sgpr_dispatch_ptr 0
		.amdhsa_user_sgpr_queue_ptr 0
		.amdhsa_user_sgpr_kernarg_segment_ptr 1
		.amdhsa_user_sgpr_dispatch_id 0
		.amdhsa_user_sgpr_flat_scratch_init 0
		.amdhsa_user_sgpr_kernarg_preload_length 0
		.amdhsa_user_sgpr_kernarg_preload_offset 0
		.amdhsa_user_sgpr_private_segment_size 0
		.amdhsa_uses_dynamic_stack 0
		.amdhsa_system_sgpr_private_segment_wavefront_offset 0
		.amdhsa_system_sgpr_workgroup_id_x 1
		.amdhsa_system_sgpr_workgroup_id_y 0
		.amdhsa_system_sgpr_workgroup_id_z 0
		.amdhsa_system_sgpr_workgroup_info 0
		.amdhsa_system_vgpr_workitem_id 0
		.amdhsa_next_free_vgpr 23
		.amdhsa_next_free_sgpr 20
		.amdhsa_accum_offset 24
		.amdhsa_reserve_vcc 1
		.amdhsa_reserve_flat_scratch 0
		.amdhsa_float_round_mode_32 0
		.amdhsa_float_round_mode_16_64 0
		.amdhsa_float_denorm_mode_32 3
		.amdhsa_float_denorm_mode_16_64 3
		.amdhsa_dx10_clamp 1
		.amdhsa_ieee_mode 1
		.amdhsa_fp16_overflow 0
		.amdhsa_tg_split 0
		.amdhsa_exception_fp_ieee_invalid_op 0
		.amdhsa_exception_fp_denorm_src 0
		.amdhsa_exception_fp_ieee_div_zero 0
		.amdhsa_exception_fp_ieee_overflow 0
		.amdhsa_exception_fp_ieee_underflow 0
		.amdhsa_exception_fp_ieee_inexact 0
		.amdhsa_exception_int_div_zero 0
	.end_amdhsa_kernel
	.section	.text._ZN5aiter24add_rmsnorm_quant_kernelIttLi256ELi8ELb0ELb0ELb0ELi1EEEvPT0_PT_PfS4_S4_S4_diiiiiiib,"axG",@progbits,_ZN5aiter24add_rmsnorm_quant_kernelIttLi256ELi8ELb0ELb0ELb0ELi1EEEvPT0_PT_PfS4_S4_S4_diiiiiiib,comdat
.Lfunc_end148:
	.size	_ZN5aiter24add_rmsnorm_quant_kernelIttLi256ELi8ELb0ELb0ELb0ELi1EEEvPT0_PT_PfS4_S4_S4_diiiiiiib, .Lfunc_end148-_ZN5aiter24add_rmsnorm_quant_kernelIttLi256ELi8ELb0ELb0ELb0ELi1EEEvPT0_PT_PfS4_S4_S4_diiiiiiib
                                        ; -- End function
	.section	.AMDGPU.csdata,"",@progbits
; Kernel info:
; codeLenInByte = 860
; NumSgprs: 24
; NumVgprs: 23
; NumAgprs: 0
; TotalNumVgprs: 23
; ScratchSize: 0
; MemoryBound: 0
; FloatMode: 240
; IeeeMode: 1
; LDSByteSize: 16 bytes/workgroup (compile time only)
; SGPRBlocks: 2
; VGPRBlocks: 2
; NumSGPRsForWavesPerEU: 24
; NumVGPRsForWavesPerEU: 23
; AccumOffset: 24
; Occupancy: 8
; WaveLimiterHint : 1
; COMPUTE_PGM_RSRC2:SCRATCH_EN: 0
; COMPUTE_PGM_RSRC2:USER_SGPR: 6
; COMPUTE_PGM_RSRC2:TRAP_HANDLER: 0
; COMPUTE_PGM_RSRC2:TGID_X_EN: 1
; COMPUTE_PGM_RSRC2:TGID_Y_EN: 0
; COMPUTE_PGM_RSRC2:TGID_Z_EN: 0
; COMPUTE_PGM_RSRC2:TIDIG_COMP_CNT: 0
; COMPUTE_PGM_RSRC3_GFX90A:ACCUM_OFFSET: 5
; COMPUTE_PGM_RSRC3_GFX90A:TG_SPLIT: 0
	.section	.text._ZN5aiter24add_rmsnorm_quant_kernelIDF16_DF16_Li256ELi16ELb0ELb0ELb1ELi1EEEvPT0_PT_PfS4_S4_S4_diiiiiiib,"axG",@progbits,_ZN5aiter24add_rmsnorm_quant_kernelIDF16_DF16_Li256ELi16ELb0ELb0ELb1ELi1EEEvPT0_PT_PfS4_S4_S4_diiiiiiib,comdat
	.protected	_ZN5aiter24add_rmsnorm_quant_kernelIDF16_DF16_Li256ELi16ELb0ELb0ELb1ELi1EEEvPT0_PT_PfS4_S4_S4_diiiiiiib ; -- Begin function _ZN5aiter24add_rmsnorm_quant_kernelIDF16_DF16_Li256ELi16ELb0ELb0ELb1ELi1EEEvPT0_PT_PfS4_S4_S4_diiiiiiib
	.globl	_ZN5aiter24add_rmsnorm_quant_kernelIDF16_DF16_Li256ELi16ELb0ELb0ELb1ELi1EEEvPT0_PT_PfS4_S4_S4_diiiiiiib
	.p2align	8
	.type	_ZN5aiter24add_rmsnorm_quant_kernelIDF16_DF16_Li256ELi16ELb0ELb0ELb1ELi1EEEvPT0_PT_PfS4_S4_S4_diiiiiiib,@function
_ZN5aiter24add_rmsnorm_quant_kernelIDF16_DF16_Li256ELi16ELb0ELb0ELb1ELi1EEEvPT0_PT_PfS4_S4_S4_diiiiiiib: ; @_ZN5aiter24add_rmsnorm_quant_kernelIDF16_DF16_Li256ELi16ELb0ELb0ELb1ELi1EEEvPT0_PT_PfS4_S4_S4_diiiiiiib
; %bb.0:
	s_load_dwordx4 s[12:15], s[4:5], 0x38
	s_mov_b32 s7, 0
	s_waitcnt lgkmcnt(0)
	s_ashr_i32 s0, s12, 31
	v_mov_b32_e32 v2, s12
	v_mov_b32_e32 v3, s0
	v_cmp_ge_i64_e32 vcc, s[6:7], v[2:3]
	s_cbranch_vccnz .LBB149_4
; %bb.1:
	s_load_dwordx2 s[0:1], s[4:5], 0x18
	s_load_dwordx4 s[8:11], s[4:5], 0x28
	s_ashr_i32 s2, s14, 31
	s_mul_hi_u32 s3, s14, s6
	s_mul_i32 s2, s2, s6
	s_add_i32 s3, s3, s2
	s_mul_i32 s2, s14, s6
	s_lshl_b64 s[2:3], s[2:3], 1
	s_waitcnt lgkmcnt(0)
	s_add_u32 s0, s0, s2
	s_addc_u32 s1, s1, s3
	s_add_i32 s2, s13, 1
	s_lshr_b32 s3, s2, 31
	s_add_i32 s2, s2, s3
	v_lshlrev_b32_e32 v2, 5, v0
	s_lshl_b32 s2, s2, 1
	v_lshlrev_b32_e32 v1, 4, v0
	v_and_b32_e32 v2, 0x7800, v2
	s_movk_i32 s7, 0x3f0
	s_and_b32 s2, s2, -4
	s_and_b32 s1, s1, 0xffff
	s_mov_b32 s3, 0x20000
	v_and_or_b32 v1, v1, s7, v2
	buffer_load_dwordx4 v[10:13], v1, s[0:3], 0 offen glc slc
	s_movk_i32 s7, 0x400
	buffer_load_dwordx4 v[26:29], v1, s[0:3], s7 offen glc slc
	s_mov_b32 s19, s3
	s_mov_b32 s16, s8
	s_and_b32 s17, s9, 0xffff
	s_mov_b32 s18, s2
	buffer_load_dwordx4 v[6:9], v1, s[16:19], 0 offen
	buffer_load_dwordx4 v[2:5], v1, s[16:19], s7 offen
	v_and_b32_e32 v42, 63, v0
	v_cmp_eq_u32_e32 vcc, 63, v42
	s_waitcnt vmcnt(3)
	v_cvt_f32_f16_e32 v24, v10
	v_cvt_f32_f16_sdwa v25, v10 dst_sel:DWORD dst_unused:UNUSED_PAD src0_sel:WORD_1
	v_cvt_f32_f16_e32 v22, v11
	v_cvt_f32_f16_sdwa v23, v11 dst_sel:DWORD dst_unused:UNUSED_PAD src0_sel:WORD_1
	;; [unrolled: 2-line block ×3, first 2 shown]
	s_waitcnt vmcnt(2)
	v_cvt_f32_f16_e32 v16, v26
	v_cvt_f32_f16_sdwa v17, v26 dst_sel:DWORD dst_unused:UNUSED_PAD src0_sel:WORD_1
	v_cvt_f32_f16_e32 v14, v27
	v_cvt_f32_f16_sdwa v15, v27 dst_sel:DWORD dst_unused:UNUSED_PAD src0_sel:WORD_1
	v_pk_mul_f32 v[26:27], v[24:25], v[24:25]
	v_cvt_f32_f16_e32 v18, v13
	v_cvt_f32_f16_sdwa v19, v13 dst_sel:DWORD dst_unused:UNUSED_PAD src0_sel:WORD_1
	v_cvt_f32_f16_e32 v12, v28
	v_cvt_f32_f16_sdwa v13, v28 dst_sel:DWORD dst_unused:UNUSED_PAD src0_sel:WORD_1
	;; [unrolled: 2-line block ×3, first 2 shown]
	v_pk_mul_f32 v[28:29], v[22:23], v[22:23]
	v_add_f32_e32 v26, v26, v27
	v_add_f32_e32 v26, v28, v26
	v_pk_mul_f32 v[30:31], v[20:21], v[20:21]
	v_add_f32_e32 v26, v29, v26
	v_add_f32_e32 v26, v30, v26
	;; [unrolled: 3-line block ×7, first 2 shown]
	v_add_f32_e32 v26, v41, v26
	s_nop 1
	v_mov_b32_dpp v27, v26 quad_perm:[1,0,3,2] row_mask:0xf bank_mask:0xf
	v_add_f32_e32 v26, v26, v27
	s_nop 1
	v_mov_b32_dpp v27, v26 quad_perm:[2,3,0,1] row_mask:0xf bank_mask:0xf
	v_add_f32_e32 v26, v26, v27
	s_nop 1
	v_mov_b32_dpp v27, v26 row_half_mirror row_mask:0xf bank_mask:0xf
	v_add_f32_e32 v26, v26, v27
	s_nop 1
	v_mov_b32_dpp v27, v26 row_mirror row_mask:0xf bank_mask:0xf
	v_add_f32_e32 v26, v26, v27
	s_nop 1
	v_mov_b32_dpp v27, v26 row_bcast:15 row_mask:0xf bank_mask:0xf
	v_add_f32_e32 v26, v26, v27
	s_nop 1
	v_mov_b32_dpp v27, v26 row_bcast:31 row_mask:0xf bank_mask:0xf
	s_and_saveexec_b64 s[0:1], vcc
	s_cbranch_execz .LBB149_3
; %bb.2:
	v_lshrrev_b32_e32 v28, 4, v0
	v_and_b32_e32 v28, 60, v28
	v_add_f32_e32 v26, v26, v27
	ds_write_b32 v28, v26
.LBB149_3:
	s_or_b64 exec, exec, s[0:1]
	v_and_b32_e32 v0, 3, v0
	v_lshlrev_b32_e32 v0, 2, v0
	s_waitcnt lgkmcnt(0)
	s_barrier
	ds_read_b32 v0, v0
	s_load_dword s8, s[4:5], 0x4c
	s_load_dwordx2 s[0:1], s[4:5], 0x0
	s_waitcnt lgkmcnt(0)
	v_mov_b32_dpp v26, v0 quad_perm:[1,0,3,2] row_mask:0xf bank_mask:0xf
	v_add_f32_e32 v0, v0, v26
	v_cvt_f32_i32_e32 v26, s13
	s_ashr_i32 s9, s8, 31
	v_mov_b32_dpp v27, v0 quad_perm:[2,3,0,1] row_mask:0xf bank_mask:0xf
	v_add_f32_e32 v0, v0, v27
	v_div_scale_f32 v27, s[4:5], v26, v26, v0
	v_rcp_f32_e32 v28, v27
	s_mul_hi_u32 s12, s8, s6
	s_mul_i32 s9, s9, s6
	s_mul_i32 s4, s8, s6
	v_fma_f32 v29, -v27, v28, 1.0
	v_fmac_f32_e32 v28, v29, v28
	v_div_scale_f32 v29, vcc, v0, v26, v0
	v_mul_f32_e32 v30, v29, v28
	v_fma_f32 v31, -v27, v30, v29
	v_fmac_f32_e32 v30, v31, v28
	v_fma_f32 v27, -v27, v30, v29
	v_div_fmas_f32 v27, v27, v28, v30
	v_div_fixup_f32 v0, v27, v26, v0
	v_cvt_f64_f32_e32 v[26:27], v0
	v_add_f64 v[26:27], v[26:27], s[10:11]
	v_cvt_f32_f64_e32 v0, v[26:27]
	s_mov_b32 s6, 0x800000
	v_mul_f32_e32 v26, 0x4b800000, v0
	v_cmp_gt_f32_e32 vcc, s6, v0
	v_cndmask_b32_e32 v0, v0, v26, vcc
	v_rsq_f32_e32 v0, v0
	s_waitcnt vmcnt(1)
	v_cvt_f32_f16_sdwa v29, v7 dst_sel:DWORD dst_unused:UNUSED_PAD src0_sel:WORD_1
	v_cvt_f32_f16_e32 v28, v7
	v_cvt_f32_f16_sdwa v7, v8 dst_sel:DWORD dst_unused:UNUSED_PAD src0_sel:WORD_1
	v_mul_f32_e32 v26, 0x45800000, v0
	v_cndmask_b32_e32 v26, v0, v26, vcc
	v_mov_b32_e32 v27, v26
	;;#ASMSTART
	v_pk_mul_f32 v[24:25], v[24:25], v[26:27]
	;;#ASMEND
	;;#ASMSTART
	v_pk_mul_f32 v[22:23], v[22:23], v[26:27]
	;;#ASMEND
	;; [unrolled: 3-line block ×8, first 2 shown]
	v_cvt_f32_f16_sdwa v27, v6 dst_sel:DWORD dst_unused:UNUSED_PAD src0_sel:WORD_1
	v_cvt_f32_f16_e32 v26, v6
	v_cvt_f32_f16_e32 v6, v8
	v_cvt_f32_f16_sdwa v31, v9 dst_sel:DWORD dst_unused:UNUSED_PAD src0_sel:WORD_1
	v_cvt_f32_f16_e32 v30, v9
	;;#ASMSTART
	v_pk_mul_f32 v[8:9], v[24:25], v[26:27]
	;;#ASMEND
	;;#ASMSTART
	v_pk_mul_f32 v[22:23], v[22:23], v[28:29]
	;;#ASMEND
	;; [unrolled: 3-line block ×3, first 2 shown]
	s_waitcnt vmcnt(0)
	v_cvt_f32_f16_sdwa v21, v2 dst_sel:DWORD dst_unused:UNUSED_PAD src0_sel:WORD_1
	v_cvt_f32_f16_e32 v20, v2
	v_cvt_f32_f16_sdwa v25, v3 dst_sel:DWORD dst_unused:UNUSED_PAD src0_sel:WORD_1
	v_cvt_f32_f16_e32 v24, v3
	;; [unrolled: 2-line block ×3, first 2 shown]
	s_add_i32 s5, s12, s9
	;;#ASMSTART
	v_pk_mul_f32 v[18:19], v[18:19], v[30:31]
	;;#ASMEND
	v_cvt_f32_f16_sdwa v27, v5 dst_sel:DWORD dst_unused:UNUSED_PAD src0_sel:WORD_1
	v_cvt_f32_f16_e32 v26, v5
	;;#ASMSTART
	v_pk_mul_f32 v[16:17], v[16:17], v[20:21]
	;;#ASMEND
	;;#ASMSTART
	v_pk_mul_f32 v[14:15], v[14:15], v[24:25]
	;;#ASMEND
	;; [unrolled: 3-line block ×3, first 2 shown]
	v_cvt_f16_f32_e32 v0, v8
	v_cvt_f16_f32_e32 v2, v9
	;; [unrolled: 1-line block ×8, first 2 shown]
	s_lshl_b64 s[4:5], s[4:5], 1
	s_add_u32 s0, s0, s4
	s_addc_u32 s1, s1, s5
	s_and_b32 s1, s1, 0xffff
	v_pack_b32_f16 v2, v0, v2
	v_pack_b32_f16 v3, v3, v4
	v_pack_b32_f16 v4, v5, v6
	v_pack_b32_f16 v5, v7, v8
	;;#ASMSTART
	v_pk_mul_f32 v[10:11], v[10:11], v[26:27]
	;;#ASMEND
	buffer_store_dwordx4 v[2:5], v1, s[0:3], 0 offen
	v_cvt_f16_f32_e32 v0, v16
	v_cvt_f16_f32_e32 v2, v17
	;; [unrolled: 1-line block ×8, first 2 shown]
	v_pack_b32_f16 v2, v0, v2
	v_pack_b32_f16 v3, v3, v4
	;; [unrolled: 1-line block ×4, first 2 shown]
	;;#ASMSTART
	s_nop 0
	;;#ASMEND
	buffer_store_dwordx4 v[2:5], v1, s[0:3], s7 offen
	;;#ASMSTART
	s_nop 0
	;;#ASMEND
.LBB149_4:
	s_endpgm
	.section	.rodata,"a",@progbits
	.p2align	6, 0x0
	.amdhsa_kernel _ZN5aiter24add_rmsnorm_quant_kernelIDF16_DF16_Li256ELi16ELb0ELb0ELb1ELi1EEEvPT0_PT_PfS4_S4_S4_diiiiiiib
		.amdhsa_group_segment_fixed_size 16
		.amdhsa_private_segment_fixed_size 0
		.amdhsa_kernarg_size 88
		.amdhsa_user_sgpr_count 6
		.amdhsa_user_sgpr_private_segment_buffer 1
		.amdhsa_user_sgpr_dispatch_ptr 0
		.amdhsa_user_sgpr_queue_ptr 0
		.amdhsa_user_sgpr_kernarg_segment_ptr 1
		.amdhsa_user_sgpr_dispatch_id 0
		.amdhsa_user_sgpr_flat_scratch_init 0
		.amdhsa_user_sgpr_kernarg_preload_length 0
		.amdhsa_user_sgpr_kernarg_preload_offset 0
		.amdhsa_user_sgpr_private_segment_size 0
		.amdhsa_uses_dynamic_stack 0
		.amdhsa_system_sgpr_private_segment_wavefront_offset 0
		.amdhsa_system_sgpr_workgroup_id_x 1
		.amdhsa_system_sgpr_workgroup_id_y 0
		.amdhsa_system_sgpr_workgroup_id_z 0
		.amdhsa_system_sgpr_workgroup_info 0
		.amdhsa_system_vgpr_workitem_id 0
		.amdhsa_next_free_vgpr 43
		.amdhsa_next_free_sgpr 20
		.amdhsa_accum_offset 44
		.amdhsa_reserve_vcc 1
		.amdhsa_reserve_flat_scratch 0
		.amdhsa_float_round_mode_32 0
		.amdhsa_float_round_mode_16_64 0
		.amdhsa_float_denorm_mode_32 3
		.amdhsa_float_denorm_mode_16_64 3
		.amdhsa_dx10_clamp 1
		.amdhsa_ieee_mode 1
		.amdhsa_fp16_overflow 0
		.amdhsa_tg_split 0
		.amdhsa_exception_fp_ieee_invalid_op 0
		.amdhsa_exception_fp_denorm_src 0
		.amdhsa_exception_fp_ieee_div_zero 0
		.amdhsa_exception_fp_ieee_overflow 0
		.amdhsa_exception_fp_ieee_underflow 0
		.amdhsa_exception_fp_ieee_inexact 0
		.amdhsa_exception_int_div_zero 0
	.end_amdhsa_kernel
	.section	.text._ZN5aiter24add_rmsnorm_quant_kernelIDF16_DF16_Li256ELi16ELb0ELb0ELb1ELi1EEEvPT0_PT_PfS4_S4_S4_diiiiiiib,"axG",@progbits,_ZN5aiter24add_rmsnorm_quant_kernelIDF16_DF16_Li256ELi16ELb0ELb0ELb1ELi1EEEvPT0_PT_PfS4_S4_S4_diiiiiiib,comdat
.Lfunc_end149:
	.size	_ZN5aiter24add_rmsnorm_quant_kernelIDF16_DF16_Li256ELi16ELb0ELb0ELb1ELi1EEEvPT0_PT_PfS4_S4_S4_diiiiiiib, .Lfunc_end149-_ZN5aiter24add_rmsnorm_quant_kernelIDF16_DF16_Li256ELi16ELb0ELb0ELb1ELi1EEEvPT0_PT_PfS4_S4_S4_diiiiiiib
                                        ; -- End function
	.section	.AMDGPU.csdata,"",@progbits
; Kernel info:
; codeLenInByte = 1208
; NumSgprs: 24
; NumVgprs: 43
; NumAgprs: 0
; TotalNumVgprs: 43
; ScratchSize: 0
; MemoryBound: 0
; FloatMode: 240
; IeeeMode: 1
; LDSByteSize: 16 bytes/workgroup (compile time only)
; SGPRBlocks: 2
; VGPRBlocks: 5
; NumSGPRsForWavesPerEU: 24
; NumVGPRsForWavesPerEU: 43
; AccumOffset: 44
; Occupancy: 8
; WaveLimiterHint : 1
; COMPUTE_PGM_RSRC2:SCRATCH_EN: 0
; COMPUTE_PGM_RSRC2:USER_SGPR: 6
; COMPUTE_PGM_RSRC2:TRAP_HANDLER: 0
; COMPUTE_PGM_RSRC2:TGID_X_EN: 1
; COMPUTE_PGM_RSRC2:TGID_Y_EN: 0
; COMPUTE_PGM_RSRC2:TGID_Z_EN: 0
; COMPUTE_PGM_RSRC2:TIDIG_COMP_CNT: 0
; COMPUTE_PGM_RSRC3_GFX90A:ACCUM_OFFSET: 10
; COMPUTE_PGM_RSRC3_GFX90A:TG_SPLIT: 0
	.section	.text._ZN5aiter24add_rmsnorm_quant_kernelIttLi256ELi16ELb0ELb0ELb1ELi1EEEvPT0_PT_PfS4_S4_S4_diiiiiiib,"axG",@progbits,_ZN5aiter24add_rmsnorm_quant_kernelIttLi256ELi16ELb0ELb0ELb1ELi1EEEvPT0_PT_PfS4_S4_S4_diiiiiiib,comdat
	.protected	_ZN5aiter24add_rmsnorm_quant_kernelIttLi256ELi16ELb0ELb0ELb1ELi1EEEvPT0_PT_PfS4_S4_S4_diiiiiiib ; -- Begin function _ZN5aiter24add_rmsnorm_quant_kernelIttLi256ELi16ELb0ELb0ELb1ELi1EEEvPT0_PT_PfS4_S4_S4_diiiiiiib
	.globl	_ZN5aiter24add_rmsnorm_quant_kernelIttLi256ELi16ELb0ELb0ELb1ELi1EEEvPT0_PT_PfS4_S4_S4_diiiiiiib
	.p2align	8
	.type	_ZN5aiter24add_rmsnorm_quant_kernelIttLi256ELi16ELb0ELb0ELb1ELi1EEEvPT0_PT_PfS4_S4_S4_diiiiiiib,@function
_ZN5aiter24add_rmsnorm_quant_kernelIttLi256ELi16ELb0ELb0ELb1ELi1EEEvPT0_PT_PfS4_S4_S4_diiiiiiib: ; @_ZN5aiter24add_rmsnorm_quant_kernelIttLi256ELi16ELb0ELb0ELb1ELi1EEEvPT0_PT_PfS4_S4_S4_diiiiiiib
; %bb.0:
	s_load_dwordx4 s[12:15], s[4:5], 0x38
	s_mov_b32 s7, 0
	s_waitcnt lgkmcnt(0)
	s_ashr_i32 s0, s12, 31
	v_mov_b32_e32 v2, s12
	v_mov_b32_e32 v3, s0
	v_cmp_ge_i64_e32 vcc, s[6:7], v[2:3]
	s_cbranch_vccnz .LBB150_4
; %bb.1:
	s_load_dwordx2 s[0:1], s[4:5], 0x18
	s_load_dwordx4 s[8:11], s[4:5], 0x28
	s_ashr_i32 s2, s14, 31
	s_mul_hi_u32 s3, s14, s6
	s_mul_i32 s2, s2, s6
	s_add_i32 s3, s3, s2
	s_mul_i32 s2, s14, s6
	s_lshl_b64 s[2:3], s[2:3], 1
	s_waitcnt lgkmcnt(0)
	s_add_u32 s0, s0, s2
	s_addc_u32 s1, s1, s3
	s_add_i32 s2, s13, 1
	s_lshr_b32 s3, s2, 31
	s_add_i32 s2, s2, s3
	v_lshlrev_b32_e32 v2, 5, v0
	s_lshl_b32 s2, s2, 1
	v_lshlrev_b32_e32 v1, 4, v0
	v_and_b32_e32 v2, 0x7800, v2
	s_movk_i32 s7, 0x3f0
	s_and_b32 s2, s2, -4
	s_and_b32 s1, s1, 0xffff
	s_mov_b32 s3, 0x20000
	v_and_or_b32 v1, v1, s7, v2
	buffer_load_dwordx4 v[10:13], v1, s[0:3], 0 offen glc slc
	s_movk_i32 s7, 0x400
	buffer_load_dwordx4 v[26:29], v1, s[0:3], s7 offen glc slc
	s_mov_b32 s19, s3
	s_mov_b32 s16, s8
	s_and_b32 s17, s9, 0xffff
	s_mov_b32 s18, s2
	buffer_load_dwordx4 v[6:9], v1, s[16:19], 0 offen
	buffer_load_dwordx4 v[2:5], v1, s[16:19], s7 offen
	v_and_b32_e32 v42, 63, v0
	v_cmp_eq_u32_e32 vcc, 63, v42
	s_waitcnt vmcnt(3)
	v_cvt_f32_u32_sdwa v25, v10 dst_sel:DWORD dst_unused:UNUSED_PAD src0_sel:WORD_1
	v_cvt_f32_u32_sdwa v24, v10 dst_sel:DWORD dst_unused:UNUSED_PAD src0_sel:WORD_0
	v_cvt_f32_u32_sdwa v23, v11 dst_sel:DWORD dst_unused:UNUSED_PAD src0_sel:WORD_1
	v_cvt_f32_u32_sdwa v22, v11 dst_sel:DWORD dst_unused:UNUSED_PAD src0_sel:WORD_0
	;; [unrolled: 2-line block ×3, first 2 shown]
	s_waitcnt vmcnt(2)
	v_cvt_f32_u32_sdwa v17, v26 dst_sel:DWORD dst_unused:UNUSED_PAD src0_sel:WORD_1
	v_cvt_f32_u32_sdwa v16, v26 dst_sel:DWORD dst_unused:UNUSED_PAD src0_sel:WORD_0
	v_cvt_f32_u32_sdwa v15, v27 dst_sel:DWORD dst_unused:UNUSED_PAD src0_sel:WORD_1
	v_cvt_f32_u32_sdwa v14, v27 dst_sel:DWORD dst_unused:UNUSED_PAD src0_sel:WORD_0
	v_pk_mul_f32 v[26:27], v[24:25], v[24:25]
	v_cvt_f32_u32_sdwa v19, v13 dst_sel:DWORD dst_unused:UNUSED_PAD src0_sel:WORD_1
	v_cvt_f32_u32_sdwa v18, v13 dst_sel:DWORD dst_unused:UNUSED_PAD src0_sel:WORD_0
	v_cvt_f32_u32_sdwa v13, v28 dst_sel:DWORD dst_unused:UNUSED_PAD src0_sel:WORD_1
	v_cvt_f32_u32_sdwa v12, v28 dst_sel:DWORD dst_unused:UNUSED_PAD src0_sel:WORD_0
	v_cvt_f32_u32_sdwa v11, v29 dst_sel:DWORD dst_unused:UNUSED_PAD src0_sel:WORD_1
	v_cvt_f32_u32_sdwa v10, v29 dst_sel:DWORD dst_unused:UNUSED_PAD src0_sel:WORD_0
	v_pk_mul_f32 v[28:29], v[22:23], v[22:23]
	v_add_f32_e32 v26, v26, v27
	v_add_f32_e32 v26, v28, v26
	v_pk_mul_f32 v[30:31], v[20:21], v[20:21]
	v_add_f32_e32 v26, v29, v26
	v_add_f32_e32 v26, v30, v26
	;; [unrolled: 3-line block ×7, first 2 shown]
	v_add_f32_e32 v26, v41, v26
	s_nop 1
	v_mov_b32_dpp v27, v26 quad_perm:[1,0,3,2] row_mask:0xf bank_mask:0xf
	v_add_f32_e32 v26, v26, v27
	s_nop 1
	v_mov_b32_dpp v27, v26 quad_perm:[2,3,0,1] row_mask:0xf bank_mask:0xf
	v_add_f32_e32 v26, v26, v27
	s_nop 1
	v_mov_b32_dpp v27, v26 row_half_mirror row_mask:0xf bank_mask:0xf
	v_add_f32_e32 v26, v26, v27
	s_nop 1
	v_mov_b32_dpp v27, v26 row_mirror row_mask:0xf bank_mask:0xf
	v_add_f32_e32 v26, v26, v27
	s_nop 1
	v_mov_b32_dpp v27, v26 row_bcast:15 row_mask:0xf bank_mask:0xf
	v_add_f32_e32 v26, v26, v27
	s_nop 1
	v_mov_b32_dpp v27, v26 row_bcast:31 row_mask:0xf bank_mask:0xf
	s_and_saveexec_b64 s[0:1], vcc
	s_cbranch_execz .LBB150_3
; %bb.2:
	v_lshrrev_b32_e32 v28, 4, v0
	v_and_b32_e32 v28, 60, v28
	v_add_f32_e32 v26, v26, v27
	ds_write_b32 v28, v26
.LBB150_3:
	s_or_b64 exec, exec, s[0:1]
	v_and_b32_e32 v0, 3, v0
	v_lshlrev_b32_e32 v0, 2, v0
	s_waitcnt lgkmcnt(0)
	s_barrier
	ds_read_b32 v0, v0
	s_load_dword s8, s[4:5], 0x4c
	s_load_dwordx2 s[0:1], s[4:5], 0x0
	s_waitcnt lgkmcnt(0)
	v_mov_b32_dpp v26, v0 quad_perm:[1,0,3,2] row_mask:0xf bank_mask:0xf
	v_add_f32_e32 v0, v0, v26
	v_cvt_f32_i32_e32 v26, s13
	s_ashr_i32 s9, s8, 31
	v_mov_b32_dpp v27, v0 quad_perm:[2,3,0,1] row_mask:0xf bank_mask:0xf
	v_add_f32_e32 v0, v0, v27
	v_div_scale_f32 v27, s[4:5], v26, v26, v0
	v_rcp_f32_e32 v28, v27
	s_mul_hi_u32 s12, s8, s6
	s_mul_i32 s9, s9, s6
	s_mul_i32 s4, s8, s6
	v_fma_f32 v29, -v27, v28, 1.0
	v_fmac_f32_e32 v28, v29, v28
	v_div_scale_f32 v29, vcc, v0, v26, v0
	v_mul_f32_e32 v30, v29, v28
	v_fma_f32 v31, -v27, v30, v29
	v_fmac_f32_e32 v30, v31, v28
	v_fma_f32 v27, -v27, v30, v29
	v_div_fmas_f32 v27, v27, v28, v30
	v_div_fixup_f32 v0, v27, v26, v0
	v_cvt_f64_f32_e32 v[26:27], v0
	v_add_f64 v[26:27], v[26:27], s[10:11]
	v_cvt_f32_f64_e32 v0, v[26:27]
	s_mov_b32 s6, 0x800000
	v_mul_f32_e32 v26, 0x4b800000, v0
	v_cmp_gt_f32_e32 vcc, s6, v0
	v_cndmask_b32_e32 v0, v0, v26, vcc
	v_rsq_f32_e32 v0, v0
	s_add_i32 s5, s12, s9
	s_lshl_b64 s[4:5], s[4:5], 1
	s_add_u32 s0, s0, s4
	v_mul_f32_e32 v26, 0x45800000, v0
	v_cndmask_b32_e32 v26, v0, v26, vcc
	v_mov_b32_e32 v27, v26
	;;#ASMSTART
	v_pk_mul_f32 v[24:25], v[24:25], v[26:27]
	;;#ASMEND
	;;#ASMSTART
	v_pk_mul_f32 v[22:23], v[22:23], v[26:27]
	;;#ASMEND
	;; [unrolled: 3-line block ×8, first 2 shown]
	s_waitcnt vmcnt(1)
	v_cvt_f32_u32_sdwa v27, v6 dst_sel:DWORD dst_unused:UNUSED_PAD src0_sel:WORD_1
	v_cvt_f32_u32_sdwa v26, v6 dst_sel:DWORD dst_unused:UNUSED_PAD src0_sel:WORD_0
	v_cvt_f32_u32_sdwa v29, v7 dst_sel:DWORD dst_unused:UNUSED_PAD src0_sel:WORD_1
	v_cvt_f32_u32_sdwa v28, v7 dst_sel:DWORD dst_unused:UNUSED_PAD src0_sel:WORD_0
	;; [unrolled: 2-line block ×3, first 2 shown]
	s_addc_u32 s1, s1, s5
	v_cvt_f32_u32_sdwa v31, v9 dst_sel:DWORD dst_unused:UNUSED_PAD src0_sel:WORD_1
	v_cvt_f32_u32_sdwa v30, v9 dst_sel:DWORD dst_unused:UNUSED_PAD src0_sel:WORD_0
	;;#ASMSTART
	v_pk_mul_f32 v[8:9], v[24:25], v[26:27]
	;;#ASMEND
	;;#ASMSTART
	v_pk_mul_f32 v[22:23], v[22:23], v[28:29]
	;;#ASMEND
	;; [unrolled: 3-line block ×3, first 2 shown]
	s_waitcnt vmcnt(0)
	v_cvt_f32_u32_sdwa v21, v2 dst_sel:DWORD dst_unused:UNUSED_PAD src0_sel:WORD_1
	v_cvt_f32_u32_sdwa v20, v2 dst_sel:DWORD dst_unused:UNUSED_PAD src0_sel:WORD_0
	v_cvt_f32_u32_sdwa v25, v3 dst_sel:DWORD dst_unused:UNUSED_PAD src0_sel:WORD_1
	v_cvt_f32_u32_sdwa v24, v3 dst_sel:DWORD dst_unused:UNUSED_PAD src0_sel:WORD_0
	;; [unrolled: 2-line block ×3, first 2 shown]
	s_mov_b32 s4, 0x7060302
	;;#ASMSTART
	v_pk_mul_f32 v[18:19], v[18:19], v[30:31]
	;;#ASMEND
	v_cvt_f32_u32_sdwa v27, v5 dst_sel:DWORD dst_unused:UNUSED_PAD src0_sel:WORD_1
	v_cvt_f32_u32_sdwa v26, v5 dst_sel:DWORD dst_unused:UNUSED_PAD src0_sel:WORD_0
	;;#ASMSTART
	v_pk_mul_f32 v[16:17], v[16:17], v[20:21]
	;;#ASMEND
	;;#ASMSTART
	v_pk_mul_f32 v[14:15], v[14:15], v[24:25]
	;;#ASMEND
	;; [unrolled: 3-line block ×3, first 2 shown]
	s_and_b32 s1, s1, 0xffff
	v_perm_b32 v2, v9, v8, s4
	v_perm_b32 v3, v23, v22, s4
	;; [unrolled: 1-line block ×4, first 2 shown]
	;;#ASMSTART
	v_pk_mul_f32 v[10:11], v[10:11], v[26:27]
	;;#ASMEND
	buffer_store_dwordx4 v[2:5], v1, s[0:3], 0 offen
	;;#ASMSTART
	s_nop 0
	;;#ASMEND
	s_nop 0
	v_perm_b32 v2, v17, v16, s4
	v_perm_b32 v3, v15, v14, s4
	;; [unrolled: 1-line block ×4, first 2 shown]
	buffer_store_dwordx4 v[2:5], v1, s[0:3], s7 offen
	;;#ASMSTART
	s_nop 0
	;;#ASMEND
.LBB150_4:
	s_endpgm
	.section	.rodata,"a",@progbits
	.p2align	6, 0x0
	.amdhsa_kernel _ZN5aiter24add_rmsnorm_quant_kernelIttLi256ELi16ELb0ELb0ELb1ELi1EEEvPT0_PT_PfS4_S4_S4_diiiiiiib
		.amdhsa_group_segment_fixed_size 16
		.amdhsa_private_segment_fixed_size 0
		.amdhsa_kernarg_size 88
		.amdhsa_user_sgpr_count 6
		.amdhsa_user_sgpr_private_segment_buffer 1
		.amdhsa_user_sgpr_dispatch_ptr 0
		.amdhsa_user_sgpr_queue_ptr 0
		.amdhsa_user_sgpr_kernarg_segment_ptr 1
		.amdhsa_user_sgpr_dispatch_id 0
		.amdhsa_user_sgpr_flat_scratch_init 0
		.amdhsa_user_sgpr_kernarg_preload_length 0
		.amdhsa_user_sgpr_kernarg_preload_offset 0
		.amdhsa_user_sgpr_private_segment_size 0
		.amdhsa_uses_dynamic_stack 0
		.amdhsa_system_sgpr_private_segment_wavefront_offset 0
		.amdhsa_system_sgpr_workgroup_id_x 1
		.amdhsa_system_sgpr_workgroup_id_y 0
		.amdhsa_system_sgpr_workgroup_id_z 0
		.amdhsa_system_sgpr_workgroup_info 0
		.amdhsa_system_vgpr_workitem_id 0
		.amdhsa_next_free_vgpr 43
		.amdhsa_next_free_sgpr 20
		.amdhsa_accum_offset 44
		.amdhsa_reserve_vcc 1
		.amdhsa_reserve_flat_scratch 0
		.amdhsa_float_round_mode_32 0
		.amdhsa_float_round_mode_16_64 0
		.amdhsa_float_denorm_mode_32 3
		.amdhsa_float_denorm_mode_16_64 3
		.amdhsa_dx10_clamp 1
		.amdhsa_ieee_mode 1
		.amdhsa_fp16_overflow 0
		.amdhsa_tg_split 0
		.amdhsa_exception_fp_ieee_invalid_op 0
		.amdhsa_exception_fp_denorm_src 0
		.amdhsa_exception_fp_ieee_div_zero 0
		.amdhsa_exception_fp_ieee_overflow 0
		.amdhsa_exception_fp_ieee_underflow 0
		.amdhsa_exception_fp_ieee_inexact 0
		.amdhsa_exception_int_div_zero 0
	.end_amdhsa_kernel
	.section	.text._ZN5aiter24add_rmsnorm_quant_kernelIttLi256ELi16ELb0ELb0ELb1ELi1EEEvPT0_PT_PfS4_S4_S4_diiiiiiib,"axG",@progbits,_ZN5aiter24add_rmsnorm_quant_kernelIttLi256ELi16ELb0ELb0ELb1ELi1EEEvPT0_PT_PfS4_S4_S4_diiiiiiib,comdat
.Lfunc_end150:
	.size	_ZN5aiter24add_rmsnorm_quant_kernelIttLi256ELi16ELb0ELb0ELb1ELi1EEEvPT0_PT_PfS4_S4_S4_diiiiiiib, .Lfunc_end150-_ZN5aiter24add_rmsnorm_quant_kernelIttLi256ELi16ELb0ELb0ELb1ELi1EEEvPT0_PT_PfS4_S4_S4_diiiiiiib
                                        ; -- End function
	.section	.AMDGPU.csdata,"",@progbits
; Kernel info:
; codeLenInByte = 1220
; NumSgprs: 24
; NumVgprs: 43
; NumAgprs: 0
; TotalNumVgprs: 43
; ScratchSize: 0
; MemoryBound: 0
; FloatMode: 240
; IeeeMode: 1
; LDSByteSize: 16 bytes/workgroup (compile time only)
; SGPRBlocks: 2
; VGPRBlocks: 5
; NumSGPRsForWavesPerEU: 24
; NumVGPRsForWavesPerEU: 43
; AccumOffset: 44
; Occupancy: 8
; WaveLimiterHint : 1
; COMPUTE_PGM_RSRC2:SCRATCH_EN: 0
; COMPUTE_PGM_RSRC2:USER_SGPR: 6
; COMPUTE_PGM_RSRC2:TRAP_HANDLER: 0
; COMPUTE_PGM_RSRC2:TGID_X_EN: 1
; COMPUTE_PGM_RSRC2:TGID_Y_EN: 0
; COMPUTE_PGM_RSRC2:TGID_Z_EN: 0
; COMPUTE_PGM_RSRC2:TIDIG_COMP_CNT: 0
; COMPUTE_PGM_RSRC3_GFX90A:ACCUM_OFFSET: 10
; COMPUTE_PGM_RSRC3_GFX90A:TG_SPLIT: 0
	.section	.text._ZN5aiter24add_rmsnorm_quant_kernelIDF16_DF16_Li256ELi16ELb0ELb0ELb0ELi1EEEvPT0_PT_PfS4_S4_S4_diiiiiiib,"axG",@progbits,_ZN5aiter24add_rmsnorm_quant_kernelIDF16_DF16_Li256ELi16ELb0ELb0ELb0ELi1EEEvPT0_PT_PfS4_S4_S4_diiiiiiib,comdat
	.protected	_ZN5aiter24add_rmsnorm_quant_kernelIDF16_DF16_Li256ELi16ELb0ELb0ELb0ELi1EEEvPT0_PT_PfS4_S4_S4_diiiiiiib ; -- Begin function _ZN5aiter24add_rmsnorm_quant_kernelIDF16_DF16_Li256ELi16ELb0ELb0ELb0ELi1EEEvPT0_PT_PfS4_S4_S4_diiiiiiib
	.globl	_ZN5aiter24add_rmsnorm_quant_kernelIDF16_DF16_Li256ELi16ELb0ELb0ELb0ELi1EEEvPT0_PT_PfS4_S4_S4_diiiiiiib
	.p2align	8
	.type	_ZN5aiter24add_rmsnorm_quant_kernelIDF16_DF16_Li256ELi16ELb0ELb0ELb0ELi1EEEvPT0_PT_PfS4_S4_S4_diiiiiiib,@function
_ZN5aiter24add_rmsnorm_quant_kernelIDF16_DF16_Li256ELi16ELb0ELb0ELb0ELi1EEEvPT0_PT_PfS4_S4_S4_diiiiiiib: ; @_ZN5aiter24add_rmsnorm_quant_kernelIDF16_DF16_Li256ELi16ELb0ELb0ELb0ELi1EEEvPT0_PT_PfS4_S4_S4_diiiiiiib
; %bb.0:
	s_load_dwordx4 s[12:15], s[4:5], 0x38
	s_mov_b32 s7, 0
	s_waitcnt lgkmcnt(0)
	s_ashr_i32 s0, s12, 31
	v_mov_b32_e32 v2, s12
	v_mov_b32_e32 v3, s0
	v_cmp_ge_i64_e32 vcc, s[6:7], v[2:3]
	s_cbranch_vccnz .LBB151_4
; %bb.1:
	s_load_dwordx2 s[0:1], s[4:5], 0x18
	s_load_dwordx4 s[8:11], s[4:5], 0x28
	s_ashr_i32 s2, s14, 31
	s_mul_hi_u32 s3, s14, s6
	s_mul_i32 s2, s2, s6
	s_add_i32 s3, s3, s2
	s_mul_i32 s2, s14, s6
	s_lshl_b64 s[2:3], s[2:3], 1
	s_waitcnt lgkmcnt(0)
	s_add_u32 s0, s0, s2
	s_addc_u32 s1, s1, s3
	s_add_i32 s2, s13, 1
	s_lshr_b32 s3, s2, 31
	s_add_i32 s2, s2, s3
	s_lshl_b32 s2, s2, 1
	s_and_b32 s2, s2, -4
	s_and_b32 s1, s1, 0xffff
	s_mov_b32 s3, 0x20000
	v_lshlrev_b32_e32 v1, 5, v0
	buffer_load_dwordx4 v[10:13], v1, s[0:3], 0 offen
	buffer_load_dwordx4 v[26:29], v1, s[0:3], 16 offen
	s_mov_b32 s19, s3
	s_mov_b32 s16, s8
	s_and_b32 s17, s9, 0xffff
	s_mov_b32 s18, s2
	buffer_load_dwordx4 v[6:9], v1, s[16:19], 0 offen
	buffer_load_dwordx4 v[2:5], v1, s[16:19], 16 offen
	v_and_b32_e32 v42, 63, v0
	v_cmp_eq_u32_e32 vcc, 63, v42
	s_waitcnt vmcnt(3)
	v_cvt_f32_f16_e32 v24, v10
	v_cvt_f32_f16_sdwa v25, v10 dst_sel:DWORD dst_unused:UNUSED_PAD src0_sel:WORD_1
	v_cvt_f32_f16_e32 v22, v11
	v_cvt_f32_f16_sdwa v23, v11 dst_sel:DWORD dst_unused:UNUSED_PAD src0_sel:WORD_1
	;; [unrolled: 2-line block ×3, first 2 shown]
	s_waitcnt vmcnt(2)
	v_cvt_f32_f16_e32 v16, v26
	v_cvt_f32_f16_sdwa v17, v26 dst_sel:DWORD dst_unused:UNUSED_PAD src0_sel:WORD_1
	v_cvt_f32_f16_e32 v14, v27
	v_cvt_f32_f16_sdwa v15, v27 dst_sel:DWORD dst_unused:UNUSED_PAD src0_sel:WORD_1
	v_pk_mul_f32 v[26:27], v[24:25], v[24:25]
	v_cvt_f32_f16_e32 v18, v13
	v_cvt_f32_f16_sdwa v19, v13 dst_sel:DWORD dst_unused:UNUSED_PAD src0_sel:WORD_1
	v_cvt_f32_f16_e32 v12, v28
	v_cvt_f32_f16_sdwa v13, v28 dst_sel:DWORD dst_unused:UNUSED_PAD src0_sel:WORD_1
	;; [unrolled: 2-line block ×3, first 2 shown]
	v_pk_mul_f32 v[28:29], v[22:23], v[22:23]
	v_add_f32_e32 v26, v26, v27
	v_add_f32_e32 v26, v28, v26
	v_pk_mul_f32 v[30:31], v[20:21], v[20:21]
	v_add_f32_e32 v26, v29, v26
	v_add_f32_e32 v26, v30, v26
	;; [unrolled: 3-line block ×7, first 2 shown]
	v_add_f32_e32 v26, v41, v26
	s_nop 1
	v_mov_b32_dpp v27, v26 quad_perm:[1,0,3,2] row_mask:0xf bank_mask:0xf
	v_add_f32_e32 v26, v26, v27
	s_nop 1
	v_mov_b32_dpp v27, v26 quad_perm:[2,3,0,1] row_mask:0xf bank_mask:0xf
	v_add_f32_e32 v26, v26, v27
	s_nop 1
	v_mov_b32_dpp v27, v26 row_half_mirror row_mask:0xf bank_mask:0xf
	v_add_f32_e32 v26, v26, v27
	s_nop 1
	v_mov_b32_dpp v27, v26 row_mirror row_mask:0xf bank_mask:0xf
	v_add_f32_e32 v26, v26, v27
	s_nop 1
	v_mov_b32_dpp v27, v26 row_bcast:15 row_mask:0xf bank_mask:0xf
	v_add_f32_e32 v26, v26, v27
	s_nop 1
	v_mov_b32_dpp v27, v26 row_bcast:31 row_mask:0xf bank_mask:0xf
	s_and_saveexec_b64 s[0:1], vcc
	s_cbranch_execz .LBB151_3
; %bb.2:
	v_lshrrev_b32_e32 v28, 4, v0
	v_and_b32_e32 v28, 60, v28
	v_add_f32_e32 v26, v26, v27
	ds_write_b32 v28, v26
.LBB151_3:
	s_or_b64 exec, exec, s[0:1]
	v_and_b32_e32 v0, 3, v0
	v_lshlrev_b32_e32 v0, 2, v0
	s_waitcnt lgkmcnt(0)
	s_barrier
	ds_read_b32 v0, v0
	s_load_dword s7, s[4:5], 0x4c
	s_load_dwordx2 s[0:1], s[4:5], 0x0
	s_waitcnt lgkmcnt(0)
	v_mov_b32_dpp v26, v0 quad_perm:[1,0,3,2] row_mask:0xf bank_mask:0xf
	v_add_f32_e32 v0, v0, v26
	v_cvt_f32_i32_e32 v26, s13
	s_ashr_i32 s8, s7, 31
	v_mov_b32_dpp v27, v0 quad_perm:[2,3,0,1] row_mask:0xf bank_mask:0xf
	v_add_f32_e32 v0, v0, v27
	v_div_scale_f32 v27, s[4:5], v26, v26, v0
	v_rcp_f32_e32 v28, v27
	s_mul_hi_u32 s9, s7, s6
	s_mul_i32 s8, s8, s6
	s_mul_i32 s4, s7, s6
	v_fma_f32 v29, -v27, v28, 1.0
	v_fmac_f32_e32 v28, v29, v28
	v_div_scale_f32 v29, vcc, v0, v26, v0
	v_mul_f32_e32 v30, v29, v28
	v_fma_f32 v31, -v27, v30, v29
	v_fmac_f32_e32 v30, v31, v28
	v_fma_f32 v27, -v27, v30, v29
	v_div_fmas_f32 v27, v27, v28, v30
	v_div_fixup_f32 v0, v27, v26, v0
	v_cvt_f64_f32_e32 v[26:27], v0
	v_add_f64 v[26:27], v[26:27], s[10:11]
	v_cvt_f32_f64_e32 v0, v[26:27]
	s_mov_b32 s6, 0x800000
	v_mul_f32_e32 v26, 0x4b800000, v0
	v_cmp_gt_f32_e32 vcc, s6, v0
	v_cndmask_b32_e32 v0, v0, v26, vcc
	v_rsq_f32_e32 v0, v0
	s_waitcnt vmcnt(1)
	v_cvt_f32_f16_sdwa v29, v7 dst_sel:DWORD dst_unused:UNUSED_PAD src0_sel:WORD_1
	v_cvt_f32_f16_e32 v28, v7
	v_cvt_f32_f16_sdwa v7, v8 dst_sel:DWORD dst_unused:UNUSED_PAD src0_sel:WORD_1
	v_mul_f32_e32 v26, 0x45800000, v0
	v_cndmask_b32_e32 v26, v0, v26, vcc
	v_mov_b32_e32 v27, v26
	;;#ASMSTART
	v_pk_mul_f32 v[24:25], v[24:25], v[26:27]
	;;#ASMEND
	;;#ASMSTART
	v_pk_mul_f32 v[22:23], v[22:23], v[26:27]
	;;#ASMEND
	;; [unrolled: 3-line block ×8, first 2 shown]
	v_cvt_f32_f16_sdwa v27, v6 dst_sel:DWORD dst_unused:UNUSED_PAD src0_sel:WORD_1
	v_cvt_f32_f16_e32 v26, v6
	v_cvt_f32_f16_e32 v6, v8
	v_cvt_f32_f16_sdwa v31, v9 dst_sel:DWORD dst_unused:UNUSED_PAD src0_sel:WORD_1
	v_cvt_f32_f16_e32 v30, v9
	;;#ASMSTART
	v_pk_mul_f32 v[8:9], v[24:25], v[26:27]
	;;#ASMEND
	;;#ASMSTART
	v_pk_mul_f32 v[22:23], v[22:23], v[28:29]
	;;#ASMEND
	;; [unrolled: 3-line block ×3, first 2 shown]
	s_waitcnt vmcnt(0)
	v_cvt_f32_f16_sdwa v21, v2 dst_sel:DWORD dst_unused:UNUSED_PAD src0_sel:WORD_1
	v_cvt_f32_f16_e32 v20, v2
	v_cvt_f32_f16_sdwa v25, v3 dst_sel:DWORD dst_unused:UNUSED_PAD src0_sel:WORD_1
	v_cvt_f32_f16_e32 v24, v3
	;; [unrolled: 2-line block ×3, first 2 shown]
	s_add_i32 s5, s9, s8
	;;#ASMSTART
	v_pk_mul_f32 v[18:19], v[18:19], v[30:31]
	;;#ASMEND
	v_cvt_f32_f16_sdwa v27, v5 dst_sel:DWORD dst_unused:UNUSED_PAD src0_sel:WORD_1
	v_cvt_f32_f16_e32 v26, v5
	;;#ASMSTART
	v_pk_mul_f32 v[16:17], v[16:17], v[20:21]
	;;#ASMEND
	;;#ASMSTART
	v_pk_mul_f32 v[14:15], v[14:15], v[24:25]
	;;#ASMEND
	;; [unrolled: 3-line block ×3, first 2 shown]
	v_cvt_f16_f32_e32 v0, v8
	v_cvt_f16_f32_e32 v2, v9
	v_cvt_f16_f32_e32 v3, v22
	v_cvt_f16_f32_e32 v4, v23
	v_cvt_f16_f32_e32 v5, v6
	v_cvt_f16_f32_e32 v6, v7
	v_cvt_f16_f32_e32 v7, v18
	v_cvt_f16_f32_e32 v8, v19
	s_lshl_b64 s[4:5], s[4:5], 1
	s_add_u32 s0, s0, s4
	s_addc_u32 s1, s1, s5
	s_and_b32 s1, s1, 0xffff
	v_pack_b32_f16 v2, v0, v2
	v_pack_b32_f16 v3, v3, v4
	;; [unrolled: 1-line block ×4, first 2 shown]
	;;#ASMSTART
	v_pk_mul_f32 v[10:11], v[10:11], v[26:27]
	;;#ASMEND
	buffer_store_dwordx4 v[2:5], v1, s[0:3], 0 offen
	v_cvt_f16_f32_e32 v0, v16
	v_cvt_f16_f32_e32 v2, v17
	;; [unrolled: 1-line block ×8, first 2 shown]
	v_pack_b32_f16 v2, v0, v2
	v_pack_b32_f16 v3, v3, v4
	;; [unrolled: 1-line block ×4, first 2 shown]
	;;#ASMSTART
	s_nop 0
	;;#ASMEND
	buffer_store_dwordx4 v[2:5], v1, s[0:3], 16 offen
	;;#ASMSTART
	s_nop 0
	;;#ASMEND
.LBB151_4:
	s_endpgm
	.section	.rodata,"a",@progbits
	.p2align	6, 0x0
	.amdhsa_kernel _ZN5aiter24add_rmsnorm_quant_kernelIDF16_DF16_Li256ELi16ELb0ELb0ELb0ELi1EEEvPT0_PT_PfS4_S4_S4_diiiiiiib
		.amdhsa_group_segment_fixed_size 16
		.amdhsa_private_segment_fixed_size 0
		.amdhsa_kernarg_size 88
		.amdhsa_user_sgpr_count 6
		.amdhsa_user_sgpr_private_segment_buffer 1
		.amdhsa_user_sgpr_dispatch_ptr 0
		.amdhsa_user_sgpr_queue_ptr 0
		.amdhsa_user_sgpr_kernarg_segment_ptr 1
		.amdhsa_user_sgpr_dispatch_id 0
		.amdhsa_user_sgpr_flat_scratch_init 0
		.amdhsa_user_sgpr_kernarg_preload_length 0
		.amdhsa_user_sgpr_kernarg_preload_offset 0
		.amdhsa_user_sgpr_private_segment_size 0
		.amdhsa_uses_dynamic_stack 0
		.amdhsa_system_sgpr_private_segment_wavefront_offset 0
		.amdhsa_system_sgpr_workgroup_id_x 1
		.amdhsa_system_sgpr_workgroup_id_y 0
		.amdhsa_system_sgpr_workgroup_id_z 0
		.amdhsa_system_sgpr_workgroup_info 0
		.amdhsa_system_vgpr_workitem_id 0
		.amdhsa_next_free_vgpr 43
		.amdhsa_next_free_sgpr 20
		.amdhsa_accum_offset 44
		.amdhsa_reserve_vcc 1
		.amdhsa_reserve_flat_scratch 0
		.amdhsa_float_round_mode_32 0
		.amdhsa_float_round_mode_16_64 0
		.amdhsa_float_denorm_mode_32 3
		.amdhsa_float_denorm_mode_16_64 3
		.amdhsa_dx10_clamp 1
		.amdhsa_ieee_mode 1
		.amdhsa_fp16_overflow 0
		.amdhsa_tg_split 0
		.amdhsa_exception_fp_ieee_invalid_op 0
		.amdhsa_exception_fp_denorm_src 0
		.amdhsa_exception_fp_ieee_div_zero 0
		.amdhsa_exception_fp_ieee_overflow 0
		.amdhsa_exception_fp_ieee_underflow 0
		.amdhsa_exception_fp_ieee_inexact 0
		.amdhsa_exception_int_div_zero 0
	.end_amdhsa_kernel
	.section	.text._ZN5aiter24add_rmsnorm_quant_kernelIDF16_DF16_Li256ELi16ELb0ELb0ELb0ELi1EEEvPT0_PT_PfS4_S4_S4_diiiiiiib,"axG",@progbits,_ZN5aiter24add_rmsnorm_quant_kernelIDF16_DF16_Li256ELi16ELb0ELb0ELb0ELi1EEEvPT0_PT_PfS4_S4_S4_diiiiiiib,comdat
.Lfunc_end151:
	.size	_ZN5aiter24add_rmsnorm_quant_kernelIDF16_DF16_Li256ELi16ELb0ELb0ELb0ELi1EEEvPT0_PT_PfS4_S4_S4_diiiiiiib, .Lfunc_end151-_ZN5aiter24add_rmsnorm_quant_kernelIDF16_DF16_Li256ELi16ELb0ELb0ELb0ELi1EEEvPT0_PT_PfS4_S4_S4_diiiiiiib
                                        ; -- End function
	.section	.AMDGPU.csdata,"",@progbits
; Kernel info:
; codeLenInByte = 1180
; NumSgprs: 24
; NumVgprs: 43
; NumAgprs: 0
; TotalNumVgprs: 43
; ScratchSize: 0
; MemoryBound: 0
; FloatMode: 240
; IeeeMode: 1
; LDSByteSize: 16 bytes/workgroup (compile time only)
; SGPRBlocks: 2
; VGPRBlocks: 5
; NumSGPRsForWavesPerEU: 24
; NumVGPRsForWavesPerEU: 43
; AccumOffset: 44
; Occupancy: 8
; WaveLimiterHint : 1
; COMPUTE_PGM_RSRC2:SCRATCH_EN: 0
; COMPUTE_PGM_RSRC2:USER_SGPR: 6
; COMPUTE_PGM_RSRC2:TRAP_HANDLER: 0
; COMPUTE_PGM_RSRC2:TGID_X_EN: 1
; COMPUTE_PGM_RSRC2:TGID_Y_EN: 0
; COMPUTE_PGM_RSRC2:TGID_Z_EN: 0
; COMPUTE_PGM_RSRC2:TIDIG_COMP_CNT: 0
; COMPUTE_PGM_RSRC3_GFX90A:ACCUM_OFFSET: 10
; COMPUTE_PGM_RSRC3_GFX90A:TG_SPLIT: 0
	.section	.text._ZN5aiter24add_rmsnorm_quant_kernelIttLi256ELi16ELb0ELb0ELb0ELi1EEEvPT0_PT_PfS4_S4_S4_diiiiiiib,"axG",@progbits,_ZN5aiter24add_rmsnorm_quant_kernelIttLi256ELi16ELb0ELb0ELb0ELi1EEEvPT0_PT_PfS4_S4_S4_diiiiiiib,comdat
	.protected	_ZN5aiter24add_rmsnorm_quant_kernelIttLi256ELi16ELb0ELb0ELb0ELi1EEEvPT0_PT_PfS4_S4_S4_diiiiiiib ; -- Begin function _ZN5aiter24add_rmsnorm_quant_kernelIttLi256ELi16ELb0ELb0ELb0ELi1EEEvPT0_PT_PfS4_S4_S4_diiiiiiib
	.globl	_ZN5aiter24add_rmsnorm_quant_kernelIttLi256ELi16ELb0ELb0ELb0ELi1EEEvPT0_PT_PfS4_S4_S4_diiiiiiib
	.p2align	8
	.type	_ZN5aiter24add_rmsnorm_quant_kernelIttLi256ELi16ELb0ELb0ELb0ELi1EEEvPT0_PT_PfS4_S4_S4_diiiiiiib,@function
_ZN5aiter24add_rmsnorm_quant_kernelIttLi256ELi16ELb0ELb0ELb0ELi1EEEvPT0_PT_PfS4_S4_S4_diiiiiiib: ; @_ZN5aiter24add_rmsnorm_quant_kernelIttLi256ELi16ELb0ELb0ELb0ELi1EEEvPT0_PT_PfS4_S4_S4_diiiiiiib
; %bb.0:
	s_load_dwordx4 s[12:15], s[4:5], 0x38
	s_mov_b32 s7, 0
	s_waitcnt lgkmcnt(0)
	s_ashr_i32 s0, s12, 31
	v_mov_b32_e32 v2, s12
	v_mov_b32_e32 v3, s0
	v_cmp_ge_i64_e32 vcc, s[6:7], v[2:3]
	s_cbranch_vccnz .LBB152_4
; %bb.1:
	s_load_dwordx2 s[0:1], s[4:5], 0x18
	s_load_dwordx4 s[8:11], s[4:5], 0x28
	s_ashr_i32 s2, s14, 31
	s_mul_hi_u32 s3, s14, s6
	s_mul_i32 s2, s2, s6
	s_add_i32 s3, s3, s2
	s_mul_i32 s2, s14, s6
	s_lshl_b64 s[2:3], s[2:3], 1
	s_waitcnt lgkmcnt(0)
	s_add_u32 s0, s0, s2
	s_addc_u32 s1, s1, s3
	s_add_i32 s2, s13, 1
	s_lshr_b32 s3, s2, 31
	s_add_i32 s2, s2, s3
	s_lshl_b32 s2, s2, 1
	s_and_b32 s2, s2, -4
	s_and_b32 s1, s1, 0xffff
	s_mov_b32 s3, 0x20000
	v_lshlrev_b32_e32 v1, 5, v0
	buffer_load_dwordx4 v[10:13], v1, s[0:3], 0 offen
	buffer_load_dwordx4 v[26:29], v1, s[0:3], 16 offen
	s_mov_b32 s19, s3
	s_mov_b32 s16, s8
	s_and_b32 s17, s9, 0xffff
	s_mov_b32 s18, s2
	buffer_load_dwordx4 v[6:9], v1, s[16:19], 0 offen
	buffer_load_dwordx4 v[2:5], v1, s[16:19], 16 offen
	v_and_b32_e32 v42, 63, v0
	v_cmp_eq_u32_e32 vcc, 63, v42
	s_waitcnt vmcnt(3)
	v_cvt_f32_u32_sdwa v25, v10 dst_sel:DWORD dst_unused:UNUSED_PAD src0_sel:WORD_1
	v_cvt_f32_u32_sdwa v24, v10 dst_sel:DWORD dst_unused:UNUSED_PAD src0_sel:WORD_0
	v_cvt_f32_u32_sdwa v23, v11 dst_sel:DWORD dst_unused:UNUSED_PAD src0_sel:WORD_1
	v_cvt_f32_u32_sdwa v22, v11 dst_sel:DWORD dst_unused:UNUSED_PAD src0_sel:WORD_0
	;; [unrolled: 2-line block ×3, first 2 shown]
	s_waitcnt vmcnt(2)
	v_cvt_f32_u32_sdwa v17, v26 dst_sel:DWORD dst_unused:UNUSED_PAD src0_sel:WORD_1
	v_cvt_f32_u32_sdwa v16, v26 dst_sel:DWORD dst_unused:UNUSED_PAD src0_sel:WORD_0
	v_cvt_f32_u32_sdwa v15, v27 dst_sel:DWORD dst_unused:UNUSED_PAD src0_sel:WORD_1
	v_cvt_f32_u32_sdwa v14, v27 dst_sel:DWORD dst_unused:UNUSED_PAD src0_sel:WORD_0
	v_pk_mul_f32 v[26:27], v[24:25], v[24:25]
	v_cvt_f32_u32_sdwa v19, v13 dst_sel:DWORD dst_unused:UNUSED_PAD src0_sel:WORD_1
	v_cvt_f32_u32_sdwa v18, v13 dst_sel:DWORD dst_unused:UNUSED_PAD src0_sel:WORD_0
	v_cvt_f32_u32_sdwa v13, v28 dst_sel:DWORD dst_unused:UNUSED_PAD src0_sel:WORD_1
	v_cvt_f32_u32_sdwa v12, v28 dst_sel:DWORD dst_unused:UNUSED_PAD src0_sel:WORD_0
	;; [unrolled: 2-line block ×3, first 2 shown]
	v_pk_mul_f32 v[28:29], v[22:23], v[22:23]
	v_add_f32_e32 v26, v26, v27
	v_add_f32_e32 v26, v28, v26
	v_pk_mul_f32 v[30:31], v[20:21], v[20:21]
	v_add_f32_e32 v26, v29, v26
	v_add_f32_e32 v26, v30, v26
	;; [unrolled: 3-line block ×7, first 2 shown]
	v_add_f32_e32 v26, v41, v26
	s_nop 1
	v_mov_b32_dpp v27, v26 quad_perm:[1,0,3,2] row_mask:0xf bank_mask:0xf
	v_add_f32_e32 v26, v26, v27
	s_nop 1
	v_mov_b32_dpp v27, v26 quad_perm:[2,3,0,1] row_mask:0xf bank_mask:0xf
	v_add_f32_e32 v26, v26, v27
	s_nop 1
	v_mov_b32_dpp v27, v26 row_half_mirror row_mask:0xf bank_mask:0xf
	v_add_f32_e32 v26, v26, v27
	s_nop 1
	v_mov_b32_dpp v27, v26 row_mirror row_mask:0xf bank_mask:0xf
	v_add_f32_e32 v26, v26, v27
	s_nop 1
	v_mov_b32_dpp v27, v26 row_bcast:15 row_mask:0xf bank_mask:0xf
	v_add_f32_e32 v26, v26, v27
	s_nop 1
	v_mov_b32_dpp v27, v26 row_bcast:31 row_mask:0xf bank_mask:0xf
	s_and_saveexec_b64 s[0:1], vcc
	s_cbranch_execz .LBB152_3
; %bb.2:
	v_lshrrev_b32_e32 v28, 4, v0
	v_and_b32_e32 v28, 60, v28
	v_add_f32_e32 v26, v26, v27
	ds_write_b32 v28, v26
.LBB152_3:
	s_or_b64 exec, exec, s[0:1]
	v_and_b32_e32 v0, 3, v0
	v_lshlrev_b32_e32 v0, 2, v0
	s_waitcnt lgkmcnt(0)
	s_barrier
	ds_read_b32 v0, v0
	s_load_dword s7, s[4:5], 0x4c
	s_load_dwordx2 s[0:1], s[4:5], 0x0
	s_waitcnt lgkmcnt(0)
	v_mov_b32_dpp v26, v0 quad_perm:[1,0,3,2] row_mask:0xf bank_mask:0xf
	v_add_f32_e32 v0, v0, v26
	v_cvt_f32_i32_e32 v26, s13
	s_ashr_i32 s8, s7, 31
	v_mov_b32_dpp v27, v0 quad_perm:[2,3,0,1] row_mask:0xf bank_mask:0xf
	v_add_f32_e32 v0, v0, v27
	v_div_scale_f32 v27, s[4:5], v26, v26, v0
	v_rcp_f32_e32 v28, v27
	s_mul_hi_u32 s9, s7, s6
	s_mul_i32 s8, s8, s6
	s_mul_i32 s4, s7, s6
	v_fma_f32 v29, -v27, v28, 1.0
	v_fmac_f32_e32 v28, v29, v28
	v_div_scale_f32 v29, vcc, v0, v26, v0
	v_mul_f32_e32 v30, v29, v28
	v_fma_f32 v31, -v27, v30, v29
	v_fmac_f32_e32 v30, v31, v28
	v_fma_f32 v27, -v27, v30, v29
	v_div_fmas_f32 v27, v27, v28, v30
	v_div_fixup_f32 v0, v27, v26, v0
	v_cvt_f64_f32_e32 v[26:27], v0
	v_add_f64 v[26:27], v[26:27], s[10:11]
	v_cvt_f32_f64_e32 v0, v[26:27]
	s_mov_b32 s6, 0x800000
	v_mul_f32_e32 v26, 0x4b800000, v0
	v_cmp_gt_f32_e32 vcc, s6, v0
	v_cndmask_b32_e32 v0, v0, v26, vcc
	v_rsq_f32_e32 v0, v0
	s_add_i32 s5, s9, s8
	s_lshl_b64 s[4:5], s[4:5], 1
	s_add_u32 s0, s0, s4
	v_mul_f32_e32 v26, 0x45800000, v0
	v_cndmask_b32_e32 v26, v0, v26, vcc
	v_mov_b32_e32 v27, v26
	;;#ASMSTART
	v_pk_mul_f32 v[24:25], v[24:25], v[26:27]
	;;#ASMEND
	;;#ASMSTART
	v_pk_mul_f32 v[22:23], v[22:23], v[26:27]
	;;#ASMEND
	;; [unrolled: 3-line block ×8, first 2 shown]
	s_waitcnt vmcnt(1)
	v_cvt_f32_u32_sdwa v27, v6 dst_sel:DWORD dst_unused:UNUSED_PAD src0_sel:WORD_1
	v_cvt_f32_u32_sdwa v26, v6 dst_sel:DWORD dst_unused:UNUSED_PAD src0_sel:WORD_0
	v_cvt_f32_u32_sdwa v29, v7 dst_sel:DWORD dst_unused:UNUSED_PAD src0_sel:WORD_1
	v_cvt_f32_u32_sdwa v28, v7 dst_sel:DWORD dst_unused:UNUSED_PAD src0_sel:WORD_0
	;; [unrolled: 2-line block ×3, first 2 shown]
	s_addc_u32 s1, s1, s5
	v_cvt_f32_u32_sdwa v31, v9 dst_sel:DWORD dst_unused:UNUSED_PAD src0_sel:WORD_1
	v_cvt_f32_u32_sdwa v30, v9 dst_sel:DWORD dst_unused:UNUSED_PAD src0_sel:WORD_0
	;;#ASMSTART
	v_pk_mul_f32 v[8:9], v[24:25], v[26:27]
	;;#ASMEND
	;;#ASMSTART
	v_pk_mul_f32 v[22:23], v[22:23], v[28:29]
	;;#ASMEND
	;;#ASMSTART
	v_pk_mul_f32 v[6:7], v[20:21], v[6:7]
	;;#ASMEND
	s_waitcnt vmcnt(0)
	v_cvt_f32_u32_sdwa v21, v2 dst_sel:DWORD dst_unused:UNUSED_PAD src0_sel:WORD_1
	v_cvt_f32_u32_sdwa v20, v2 dst_sel:DWORD dst_unused:UNUSED_PAD src0_sel:WORD_0
	v_cvt_f32_u32_sdwa v25, v3 dst_sel:DWORD dst_unused:UNUSED_PAD src0_sel:WORD_1
	v_cvt_f32_u32_sdwa v24, v3 dst_sel:DWORD dst_unused:UNUSED_PAD src0_sel:WORD_0
	;; [unrolled: 2-line block ×3, first 2 shown]
	s_mov_b32 s4, 0x7060302
	;;#ASMSTART
	v_pk_mul_f32 v[18:19], v[18:19], v[30:31]
	;;#ASMEND
	v_cvt_f32_u32_sdwa v27, v5 dst_sel:DWORD dst_unused:UNUSED_PAD src0_sel:WORD_1
	v_cvt_f32_u32_sdwa v26, v5 dst_sel:DWORD dst_unused:UNUSED_PAD src0_sel:WORD_0
	;;#ASMSTART
	v_pk_mul_f32 v[16:17], v[16:17], v[20:21]
	;;#ASMEND
	;;#ASMSTART
	v_pk_mul_f32 v[14:15], v[14:15], v[24:25]
	;;#ASMEND
	;; [unrolled: 3-line block ×3, first 2 shown]
	s_and_b32 s1, s1, 0xffff
	v_perm_b32 v2, v9, v8, s4
	v_perm_b32 v3, v23, v22, s4
	;; [unrolled: 1-line block ×4, first 2 shown]
	;;#ASMSTART
	v_pk_mul_f32 v[10:11], v[10:11], v[26:27]
	;;#ASMEND
	buffer_store_dwordx4 v[2:5], v1, s[0:3], 0 offen
	;;#ASMSTART
	s_nop 0
	;;#ASMEND
	s_nop 0
	v_perm_b32 v2, v17, v16, s4
	v_perm_b32 v3, v15, v14, s4
	;; [unrolled: 1-line block ×4, first 2 shown]
	buffer_store_dwordx4 v[2:5], v1, s[0:3], 16 offen
	;;#ASMSTART
	s_nop 0
	;;#ASMEND
.LBB152_4:
	s_endpgm
	.section	.rodata,"a",@progbits
	.p2align	6, 0x0
	.amdhsa_kernel _ZN5aiter24add_rmsnorm_quant_kernelIttLi256ELi16ELb0ELb0ELb0ELi1EEEvPT0_PT_PfS4_S4_S4_diiiiiiib
		.amdhsa_group_segment_fixed_size 16
		.amdhsa_private_segment_fixed_size 0
		.amdhsa_kernarg_size 88
		.amdhsa_user_sgpr_count 6
		.amdhsa_user_sgpr_private_segment_buffer 1
		.amdhsa_user_sgpr_dispatch_ptr 0
		.amdhsa_user_sgpr_queue_ptr 0
		.amdhsa_user_sgpr_kernarg_segment_ptr 1
		.amdhsa_user_sgpr_dispatch_id 0
		.amdhsa_user_sgpr_flat_scratch_init 0
		.amdhsa_user_sgpr_kernarg_preload_length 0
		.amdhsa_user_sgpr_kernarg_preload_offset 0
		.amdhsa_user_sgpr_private_segment_size 0
		.amdhsa_uses_dynamic_stack 0
		.amdhsa_system_sgpr_private_segment_wavefront_offset 0
		.amdhsa_system_sgpr_workgroup_id_x 1
		.amdhsa_system_sgpr_workgroup_id_y 0
		.amdhsa_system_sgpr_workgroup_id_z 0
		.amdhsa_system_sgpr_workgroup_info 0
		.amdhsa_system_vgpr_workitem_id 0
		.amdhsa_next_free_vgpr 43
		.amdhsa_next_free_sgpr 20
		.amdhsa_accum_offset 44
		.amdhsa_reserve_vcc 1
		.amdhsa_reserve_flat_scratch 0
		.amdhsa_float_round_mode_32 0
		.amdhsa_float_round_mode_16_64 0
		.amdhsa_float_denorm_mode_32 3
		.amdhsa_float_denorm_mode_16_64 3
		.amdhsa_dx10_clamp 1
		.amdhsa_ieee_mode 1
		.amdhsa_fp16_overflow 0
		.amdhsa_tg_split 0
		.amdhsa_exception_fp_ieee_invalid_op 0
		.amdhsa_exception_fp_denorm_src 0
		.amdhsa_exception_fp_ieee_div_zero 0
		.amdhsa_exception_fp_ieee_overflow 0
		.amdhsa_exception_fp_ieee_underflow 0
		.amdhsa_exception_fp_ieee_inexact 0
		.amdhsa_exception_int_div_zero 0
	.end_amdhsa_kernel
	.section	.text._ZN5aiter24add_rmsnorm_quant_kernelIttLi256ELi16ELb0ELb0ELb0ELi1EEEvPT0_PT_PfS4_S4_S4_diiiiiiib,"axG",@progbits,_ZN5aiter24add_rmsnorm_quant_kernelIttLi256ELi16ELb0ELb0ELb0ELi1EEEvPT0_PT_PfS4_S4_S4_diiiiiiib,comdat
.Lfunc_end152:
	.size	_ZN5aiter24add_rmsnorm_quant_kernelIttLi256ELi16ELb0ELb0ELb0ELi1EEEvPT0_PT_PfS4_S4_S4_diiiiiiib, .Lfunc_end152-_ZN5aiter24add_rmsnorm_quant_kernelIttLi256ELi16ELb0ELb0ELb0ELi1EEEvPT0_PT_PfS4_S4_S4_diiiiiiib
                                        ; -- End function
	.section	.AMDGPU.csdata,"",@progbits
; Kernel info:
; codeLenInByte = 1192
; NumSgprs: 24
; NumVgprs: 43
; NumAgprs: 0
; TotalNumVgprs: 43
; ScratchSize: 0
; MemoryBound: 0
; FloatMode: 240
; IeeeMode: 1
; LDSByteSize: 16 bytes/workgroup (compile time only)
; SGPRBlocks: 2
; VGPRBlocks: 5
; NumSGPRsForWavesPerEU: 24
; NumVGPRsForWavesPerEU: 43
; AccumOffset: 44
; Occupancy: 8
; WaveLimiterHint : 1
; COMPUTE_PGM_RSRC2:SCRATCH_EN: 0
; COMPUTE_PGM_RSRC2:USER_SGPR: 6
; COMPUTE_PGM_RSRC2:TRAP_HANDLER: 0
; COMPUTE_PGM_RSRC2:TGID_X_EN: 1
; COMPUTE_PGM_RSRC2:TGID_Y_EN: 0
; COMPUTE_PGM_RSRC2:TGID_Z_EN: 0
; COMPUTE_PGM_RSRC2:TIDIG_COMP_CNT: 0
; COMPUTE_PGM_RSRC3_GFX90A:ACCUM_OFFSET: 10
; COMPUTE_PGM_RSRC3_GFX90A:TG_SPLIT: 0
	.section	.text._ZN5aiter24add_rmsnorm_quant_kernelIDF16_DF16_Li256ELi24ELb0ELb0ELb1ELi1EEEvPT0_PT_PfS4_S4_S4_diiiiiiib,"axG",@progbits,_ZN5aiter24add_rmsnorm_quant_kernelIDF16_DF16_Li256ELi24ELb0ELb0ELb1ELi1EEEvPT0_PT_PfS4_S4_S4_diiiiiiib,comdat
	.protected	_ZN5aiter24add_rmsnorm_quant_kernelIDF16_DF16_Li256ELi24ELb0ELb0ELb1ELi1EEEvPT0_PT_PfS4_S4_S4_diiiiiiib ; -- Begin function _ZN5aiter24add_rmsnorm_quant_kernelIDF16_DF16_Li256ELi24ELb0ELb0ELb1ELi1EEEvPT0_PT_PfS4_S4_S4_diiiiiiib
	.globl	_ZN5aiter24add_rmsnorm_quant_kernelIDF16_DF16_Li256ELi24ELb0ELb0ELb1ELi1EEEvPT0_PT_PfS4_S4_S4_diiiiiiib
	.p2align	8
	.type	_ZN5aiter24add_rmsnorm_quant_kernelIDF16_DF16_Li256ELi24ELb0ELb0ELb1ELi1EEEvPT0_PT_PfS4_S4_S4_diiiiiiib,@function
_ZN5aiter24add_rmsnorm_quant_kernelIDF16_DF16_Li256ELi24ELb0ELb0ELb1ELi1EEEvPT0_PT_PfS4_S4_S4_diiiiiiib: ; @_ZN5aiter24add_rmsnorm_quant_kernelIDF16_DF16_Li256ELi24ELb0ELb0ELb1ELi1EEEvPT0_PT_PfS4_S4_S4_diiiiiiib
; %bb.0:
	s_load_dwordx4 s[12:15], s[4:5], 0x38
	s_mov_b32 s7, 0
	s_waitcnt lgkmcnt(0)
	s_ashr_i32 s0, s12, 31
	v_mov_b32_e32 v2, s12
	v_mov_b32_e32 v3, s0
	v_cmp_ge_i64_e32 vcc, s[6:7], v[2:3]
	s_cbranch_vccnz .LBB153_4
; %bb.1:
	s_load_dwordx2 s[0:1], s[4:5], 0x18
	s_load_dwordx4 s[8:11], s[4:5], 0x28
	s_ashr_i32 s2, s14, 31
	s_mul_hi_u32 s3, s14, s6
	s_mul_i32 s2, s2, s6
	s_add_i32 s3, s3, s2
	s_mul_i32 s2, s14, s6
	s_lshl_b64 s[2:3], s[2:3], 1
	s_waitcnt lgkmcnt(0)
	s_add_u32 s0, s0, s2
	s_addc_u32 s1, s1, s3
	s_add_i32 s2, s13, 1
	s_lshr_b32 s3, s2, 31
	v_and_b32_e32 v2, 0x3c0, v0
	s_add_i32 s2, s2, s3
	v_lshlrev_b32_e32 v1, 3, v0
	v_mul_u32_u24_e32 v2, 24, v2
	s_movk_i32 s7, 0x1f8
	s_lshl_b32 s2, s2, 1
	v_and_or_b32 v1, v1, s7, v2
	s_and_b32 s2, s2, -4
	s_and_b32 s1, s1, 0xffff
	s_mov_b32 s3, 0x20000
	v_lshlrev_b32_e32 v1, 1, v1
	buffer_load_dwordx4 v[14:17], v1, s[0:3], 0 offen glc slc
	s_movk_i32 s12, 0x400
	s_movk_i32 s7, 0x800
	buffer_load_dwordx4 v[38:41], v1, s[0:3], s7 offen glc slc
	buffer_load_dwordx4 v[18:21], v1, s[0:3], s12 offen glc slc
	s_mov_b32 s19, s3
	s_mov_b32 s16, s8
	s_and_b32 s17, s9, 0xffff
	s_mov_b32 s18, s2
	buffer_load_dwordx4 v[10:13], v1, s[16:19], 0 offen
	buffer_load_dwordx4 v[6:9], v1, s[16:19], s12 offen
	;; [unrolled: 1-line block ×3, first 2 shown]
	v_and_b32_e32 v58, 63, v0
	v_cmp_eq_u32_e32 vcc, 63, v58
	s_waitcnt vmcnt(5)
	v_cvt_f32_f16_e32 v36, v14
	v_cvt_f32_f16_sdwa v37, v14 dst_sel:DWORD dst_unused:UNUSED_PAD src0_sel:WORD_1
	v_cvt_f32_f16_e32 v34, v15
	v_cvt_f32_f16_sdwa v35, v15 dst_sel:DWORD dst_unused:UNUSED_PAD src0_sel:WORD_1
	v_cvt_f32_f16_e32 v32, v16
	v_cvt_f32_f16_sdwa v33, v16 dst_sel:DWORD dst_unused:UNUSED_PAD src0_sel:WORD_1
	s_waitcnt vmcnt(3)
	v_cvt_f32_f16_e32 v28, v18
	v_cvt_f32_f16_sdwa v29, v18 dst_sel:DWORD dst_unused:UNUSED_PAD src0_sel:WORD_1
	v_cvt_f32_f16_e32 v26, v19
	v_cvt_f32_f16_sdwa v27, v19 dst_sel:DWORD dst_unused:UNUSED_PAD src0_sel:WORD_1
	;; [unrolled: 2-line block ×6, first 2 shown]
	v_pk_mul_f32 v[38:39], v[36:37], v[36:37]
	v_cvt_f32_f16_e32 v30, v17
	v_cvt_f32_f16_sdwa v31, v17 dst_sel:DWORD dst_unused:UNUSED_PAD src0_sel:WORD_1
	v_cvt_f32_f16_e32 v16, v40
	v_cvt_f32_f16_sdwa v17, v40 dst_sel:DWORD dst_unused:UNUSED_PAD src0_sel:WORD_1
	;; [unrolled: 2-line block ×3, first 2 shown]
	v_pk_mul_f32 v[40:41], v[34:35], v[34:35]
	v_add_f32_e32 v59, v38, v39
	v_add_f32_e32 v40, v40, v59
	v_pk_mul_f32 v[42:43], v[32:33], v[32:33]
	v_add_f32_e32 v59, v41, v40
	v_add_f32_e32 v42, v42, v59
	v_pk_mul_f32 v[44:45], v[30:31], v[30:31]
	v_add_f32_e32 v42, v43, v42
	v_add_f32_e32 v42, v44, v42
	v_pk_mul_f32 v[46:47], v[28:29], v[28:29]
	v_add_f32_e32 v42, v45, v42
	v_add_f32_e32 v42, v46, v42
	v_pk_mul_f32 v[48:49], v[26:27], v[26:27]
	v_add_f32_e32 v42, v47, v42
	v_add_f32_e32 v42, v48, v42
	v_pk_mul_f32 v[50:51], v[24:25], v[24:25]
	v_add_f32_e32 v42, v49, v42
	v_add_f32_e32 v42, v50, v42
	v_pk_mul_f32 v[52:53], v[22:23], v[22:23]
	v_add_f32_e32 v42, v51, v42
	v_add_f32_e32 v42, v52, v42
	v_pk_mul_f32 v[54:55], v[20:21], v[20:21]
	v_add_f32_e32 v42, v53, v42
	v_add_f32_e32 v42, v54, v42
	v_pk_mul_f32 v[56:57], v[18:19], v[18:19]
	v_add_f32_e32 v42, v55, v42
	v_add_f32_e32 v42, v56, v42
	v_pk_mul_f32 v[38:39], v[16:17], v[16:17]
	v_add_f32_e32 v42, v57, v42
	v_add_f32_e32 v38, v38, v42
	v_pk_mul_f32 v[40:41], v[14:15], v[14:15]
	v_add_f32_e32 v38, v39, v38
	v_add_f32_e32 v38, v40, v38
	v_add_f32_e32 v38, v41, v38
	s_nop 1
	v_mov_b32_dpp v39, v38 quad_perm:[1,0,3,2] row_mask:0xf bank_mask:0xf
	v_add_f32_e32 v38, v38, v39
	s_nop 1
	v_mov_b32_dpp v39, v38 quad_perm:[2,3,0,1] row_mask:0xf bank_mask:0xf
	v_add_f32_e32 v38, v38, v39
	s_nop 1
	v_mov_b32_dpp v39, v38 row_half_mirror row_mask:0xf bank_mask:0xf
	v_add_f32_e32 v38, v38, v39
	s_nop 1
	v_mov_b32_dpp v39, v38 row_mirror row_mask:0xf bank_mask:0xf
	v_add_f32_e32 v38, v38, v39
	s_nop 1
	v_mov_b32_dpp v39, v38 row_bcast:15 row_mask:0xf bank_mask:0xf
	v_add_f32_e32 v38, v38, v39
	s_nop 1
	v_mov_b32_dpp v39, v38 row_bcast:31 row_mask:0xf bank_mask:0xf
	s_and_saveexec_b64 s[0:1], vcc
	s_cbranch_execz .LBB153_3
; %bb.2:
	v_lshrrev_b32_e32 v40, 4, v0
	v_and_b32_e32 v40, 60, v40
	v_add_f32_e32 v38, v38, v39
	ds_write_b32 v40, v38
.LBB153_3:
	s_or_b64 exec, exec, s[0:1]
	v_and_b32_e32 v0, 3, v0
	v_lshlrev_b32_e32 v0, 2, v0
	s_waitcnt lgkmcnt(0)
	s_barrier
	ds_read_b32 v0, v0
	s_load_dword s8, s[4:5], 0x4c
	s_load_dwordx2 s[0:1], s[4:5], 0x0
	s_waitcnt lgkmcnt(0)
	v_mov_b32_dpp v38, v0 quad_perm:[1,0,3,2] row_mask:0xf bank_mask:0xf
	v_add_f32_e32 v0, v0, v38
	v_cvt_f32_i32_e32 v38, s13
	s_ashr_i32 s9, s8, 31
	v_mov_b32_dpp v39, v0 quad_perm:[2,3,0,1] row_mask:0xf bank_mask:0xf
	v_add_f32_e32 v0, v0, v39
	v_div_scale_f32 v39, s[4:5], v38, v38, v0
	v_rcp_f32_e32 v40, v39
	s_mul_hi_u32 s14, s8, s6
	s_mul_i32 s9, s9, s6
	s_mul_i32 s4, s8, s6
	v_fma_f32 v41, -v39, v40, 1.0
	v_fmac_f32_e32 v40, v41, v40
	v_div_scale_f32 v41, vcc, v0, v38, v0
	v_mul_f32_e32 v42, v41, v40
	v_fma_f32 v43, -v39, v42, v41
	v_fmac_f32_e32 v42, v43, v40
	v_fma_f32 v39, -v39, v42, v41
	v_div_fmas_f32 v39, v39, v40, v42
	v_div_fixup_f32 v0, v39, v38, v0
	v_cvt_f64_f32_e32 v[38:39], v0
	v_add_f64 v[38:39], v[38:39], s[10:11]
	v_cvt_f32_f64_e32 v0, v[38:39]
	s_mov_b32 s6, 0x800000
	v_mul_f32_e32 v38, 0x4b800000, v0
	v_cmp_gt_f32_e32 vcc, s6, v0
	v_cndmask_b32_e32 v0, v0, v38, vcc
	v_rsq_f32_e32 v0, v0
	s_waitcnt vmcnt(2)
	v_cvt_f32_f16_sdwa v41, v11 dst_sel:DWORD dst_unused:UNUSED_PAD src0_sel:WORD_1
	v_cvt_f32_f16_e32 v40, v11
	v_cvt_f32_f16_sdwa v11, v12 dst_sel:DWORD dst_unused:UNUSED_PAD src0_sel:WORD_1
	v_mul_f32_e32 v38, 0x45800000, v0
	v_cndmask_b32_e32 v38, v0, v38, vcc
	v_mov_b32_e32 v39, v38
	;;#ASMSTART
	v_pk_mul_f32 v[36:37], v[36:37], v[38:39]
	;;#ASMEND
	;;#ASMSTART
	v_pk_mul_f32 v[34:35], v[34:35], v[38:39]
	;;#ASMEND
	;; [unrolled: 3-line block ×12, first 2 shown]
	v_cvt_f32_f16_sdwa v39, v10 dst_sel:DWORD dst_unused:UNUSED_PAD src0_sel:WORD_1
	v_cvt_f32_f16_e32 v38, v10
	v_cvt_f32_f16_e32 v10, v12
	v_cvt_f32_f16_sdwa v43, v13 dst_sel:DWORD dst_unused:UNUSED_PAD src0_sel:WORD_1
	v_cvt_f32_f16_e32 v42, v13
	;;#ASMSTART
	v_pk_mul_f32 v[12:13], v[36:37], v[38:39]
	;;#ASMEND
	;;#ASMSTART
	v_pk_mul_f32 v[34:35], v[34:35], v[40:41]
	;;#ASMEND
	;; [unrolled: 3-line block ×3, first 2 shown]
	s_waitcnt vmcnt(1)
	v_cvt_f32_f16_sdwa v33, v6 dst_sel:DWORD dst_unused:UNUSED_PAD src0_sel:WORD_1
	v_cvt_f32_f16_e32 v32, v6
	v_cvt_f32_f16_sdwa v37, v7 dst_sel:DWORD dst_unused:UNUSED_PAD src0_sel:WORD_1
	v_cvt_f32_f16_e32 v36, v7
	;; [unrolled: 2-line block ×3, first 2 shown]
	;;#ASMSTART
	v_pk_mul_f32 v[30:31], v[30:31], v[42:43]
	;;#ASMEND
	v_cvt_f32_f16_sdwa v39, v9 dst_sel:DWORD dst_unused:UNUSED_PAD src0_sel:WORD_1
	v_cvt_f32_f16_e32 v38, v9
	;;#ASMSTART
	v_pk_mul_f32 v[8:9], v[28:29], v[32:33]
	;;#ASMEND
	;;#ASMSTART
	v_pk_mul_f32 v[26:27], v[26:27], v[36:37]
	;;#ASMEND
	;; [unrolled: 3-line block ×3, first 2 shown]
	s_waitcnt vmcnt(0)
	v_cvt_f32_f16_sdwa v25, v2 dst_sel:DWORD dst_unused:UNUSED_PAD src0_sel:WORD_1
	v_cvt_f32_f16_e32 v24, v2
	v_cvt_f32_f16_sdwa v29, v3 dst_sel:DWORD dst_unused:UNUSED_PAD src0_sel:WORD_1
	v_cvt_f32_f16_e32 v28, v3
	;; [unrolled: 2-line block ×3, first 2 shown]
	s_add_i32 s5, s14, s9
	;;#ASMSTART
	v_pk_mul_f32 v[22:23], v[22:23], v[38:39]
	;;#ASMEND
	v_cvt_f32_f16_sdwa v33, v5 dst_sel:DWORD dst_unused:UNUSED_PAD src0_sel:WORD_1
	v_cvt_f32_f16_e32 v32, v5
	;;#ASMSTART
	v_pk_mul_f32 v[20:21], v[20:21], v[24:25]
	;;#ASMEND
	;;#ASMSTART
	v_pk_mul_f32 v[18:19], v[18:19], v[28:29]
	;;#ASMEND
	;; [unrolled: 3-line block ×3, first 2 shown]
	v_cvt_f16_f32_e32 v0, v12
	v_cvt_f16_f32_e32 v2, v13
	;; [unrolled: 1-line block ×8, first 2 shown]
	s_lshl_b64 s[4:5], s[4:5], 1
	s_add_u32 s0, s0, s4
	s_addc_u32 s1, s1, s5
	s_and_b32 s1, s1, 0xffff
	v_pack_b32_f16 v2, v0, v2
	v_pack_b32_f16 v3, v3, v4
	;; [unrolled: 1-line block ×4, first 2 shown]
	;;#ASMSTART
	v_pk_mul_f32 v[14:15], v[14:15], v[32:33]
	;;#ASMEND
	buffer_store_dwordx4 v[2:5], v1, s[0:3], 0 offen
	v_cvt_f16_f32_e32 v0, v8
	v_cvt_f16_f32_e32 v2, v9
	;; [unrolled: 1-line block ×8, first 2 shown]
	v_pack_b32_f16 v2, v0, v2
	v_pack_b32_f16 v3, v3, v4
	;; [unrolled: 1-line block ×4, first 2 shown]
	;;#ASMSTART
	s_nop 0
	;;#ASMEND
	buffer_store_dwordx4 v[2:5], v1, s[0:3], s12 offen
	v_cvt_f16_f32_e32 v0, v20
	v_cvt_f16_f32_e32 v2, v21
	;; [unrolled: 1-line block ×8, first 2 shown]
	v_pack_b32_f16 v2, v0, v2
	v_pack_b32_f16 v3, v3, v4
	;; [unrolled: 1-line block ×4, first 2 shown]
	;;#ASMSTART
	s_nop 0
	;;#ASMEND
	buffer_store_dwordx4 v[2:5], v1, s[0:3], s7 offen
	;;#ASMSTART
	s_nop 0
	;;#ASMEND
.LBB153_4:
	s_endpgm
	.section	.rodata,"a",@progbits
	.p2align	6, 0x0
	.amdhsa_kernel _ZN5aiter24add_rmsnorm_quant_kernelIDF16_DF16_Li256ELi24ELb0ELb0ELb1ELi1EEEvPT0_PT_PfS4_S4_S4_diiiiiiib
		.amdhsa_group_segment_fixed_size 16
		.amdhsa_private_segment_fixed_size 0
		.amdhsa_kernarg_size 88
		.amdhsa_user_sgpr_count 6
		.amdhsa_user_sgpr_private_segment_buffer 1
		.amdhsa_user_sgpr_dispatch_ptr 0
		.amdhsa_user_sgpr_queue_ptr 0
		.amdhsa_user_sgpr_kernarg_segment_ptr 1
		.amdhsa_user_sgpr_dispatch_id 0
		.amdhsa_user_sgpr_flat_scratch_init 0
		.amdhsa_user_sgpr_kernarg_preload_length 0
		.amdhsa_user_sgpr_kernarg_preload_offset 0
		.amdhsa_user_sgpr_private_segment_size 0
		.amdhsa_uses_dynamic_stack 0
		.amdhsa_system_sgpr_private_segment_wavefront_offset 0
		.amdhsa_system_sgpr_workgroup_id_x 1
		.amdhsa_system_sgpr_workgroup_id_y 0
		.amdhsa_system_sgpr_workgroup_id_z 0
		.amdhsa_system_sgpr_workgroup_info 0
		.amdhsa_system_vgpr_workitem_id 0
		.amdhsa_next_free_vgpr 60
		.amdhsa_next_free_sgpr 20
		.amdhsa_accum_offset 60
		.amdhsa_reserve_vcc 1
		.amdhsa_reserve_flat_scratch 0
		.amdhsa_float_round_mode_32 0
		.amdhsa_float_round_mode_16_64 0
		.amdhsa_float_denorm_mode_32 3
		.amdhsa_float_denorm_mode_16_64 3
		.amdhsa_dx10_clamp 1
		.amdhsa_ieee_mode 1
		.amdhsa_fp16_overflow 0
		.amdhsa_tg_split 0
		.amdhsa_exception_fp_ieee_invalid_op 0
		.amdhsa_exception_fp_denorm_src 0
		.amdhsa_exception_fp_ieee_div_zero 0
		.amdhsa_exception_fp_ieee_overflow 0
		.amdhsa_exception_fp_ieee_underflow 0
		.amdhsa_exception_fp_ieee_inexact 0
		.amdhsa_exception_int_div_zero 0
	.end_amdhsa_kernel
	.section	.text._ZN5aiter24add_rmsnorm_quant_kernelIDF16_DF16_Li256ELi24ELb0ELb0ELb1ELi1EEEvPT0_PT_PfS4_S4_S4_diiiiiiib,"axG",@progbits,_ZN5aiter24add_rmsnorm_quant_kernelIDF16_DF16_Li256ELi24ELb0ELb0ELb1ELi1EEEvPT0_PT_PfS4_S4_S4_diiiiiiib,comdat
.Lfunc_end153:
	.size	_ZN5aiter24add_rmsnorm_quant_kernelIDF16_DF16_Li256ELi24ELb0ELb0ELb1ELi1EEEvPT0_PT_PfS4_S4_S4_diiiiiiib, .Lfunc_end153-_ZN5aiter24add_rmsnorm_quant_kernelIDF16_DF16_Li256ELi24ELb0ELb0ELb1ELi1EEEvPT0_PT_PfS4_S4_S4_diiiiiiib
                                        ; -- End function
	.section	.AMDGPU.csdata,"",@progbits
; Kernel info:
; codeLenInByte = 1540
; NumSgprs: 24
; NumVgprs: 60
; NumAgprs: 0
; TotalNumVgprs: 60
; ScratchSize: 0
; MemoryBound: 0
; FloatMode: 240
; IeeeMode: 1
; LDSByteSize: 16 bytes/workgroup (compile time only)
; SGPRBlocks: 2
; VGPRBlocks: 7
; NumSGPRsForWavesPerEU: 24
; NumVGPRsForWavesPerEU: 60
; AccumOffset: 60
; Occupancy: 8
; WaveLimiterHint : 1
; COMPUTE_PGM_RSRC2:SCRATCH_EN: 0
; COMPUTE_PGM_RSRC2:USER_SGPR: 6
; COMPUTE_PGM_RSRC2:TRAP_HANDLER: 0
; COMPUTE_PGM_RSRC2:TGID_X_EN: 1
; COMPUTE_PGM_RSRC2:TGID_Y_EN: 0
; COMPUTE_PGM_RSRC2:TGID_Z_EN: 0
; COMPUTE_PGM_RSRC2:TIDIG_COMP_CNT: 0
; COMPUTE_PGM_RSRC3_GFX90A:ACCUM_OFFSET: 14
; COMPUTE_PGM_RSRC3_GFX90A:TG_SPLIT: 0
	.section	.text._ZN5aiter24add_rmsnorm_quant_kernelIttLi256ELi24ELb0ELb0ELb1ELi1EEEvPT0_PT_PfS4_S4_S4_diiiiiiib,"axG",@progbits,_ZN5aiter24add_rmsnorm_quant_kernelIttLi256ELi24ELb0ELb0ELb1ELi1EEEvPT0_PT_PfS4_S4_S4_diiiiiiib,comdat
	.protected	_ZN5aiter24add_rmsnorm_quant_kernelIttLi256ELi24ELb0ELb0ELb1ELi1EEEvPT0_PT_PfS4_S4_S4_diiiiiiib ; -- Begin function _ZN5aiter24add_rmsnorm_quant_kernelIttLi256ELi24ELb0ELb0ELb1ELi1EEEvPT0_PT_PfS4_S4_S4_diiiiiiib
	.globl	_ZN5aiter24add_rmsnorm_quant_kernelIttLi256ELi24ELb0ELb0ELb1ELi1EEEvPT0_PT_PfS4_S4_S4_diiiiiiib
	.p2align	8
	.type	_ZN5aiter24add_rmsnorm_quant_kernelIttLi256ELi24ELb0ELb0ELb1ELi1EEEvPT0_PT_PfS4_S4_S4_diiiiiiib,@function
_ZN5aiter24add_rmsnorm_quant_kernelIttLi256ELi24ELb0ELb0ELb1ELi1EEEvPT0_PT_PfS4_S4_S4_diiiiiiib: ; @_ZN5aiter24add_rmsnorm_quant_kernelIttLi256ELi24ELb0ELb0ELb1ELi1EEEvPT0_PT_PfS4_S4_S4_diiiiiiib
; %bb.0:
	s_load_dwordx4 s[12:15], s[4:5], 0x38
	s_mov_b32 s7, 0
	s_waitcnt lgkmcnt(0)
	s_ashr_i32 s0, s12, 31
	v_mov_b32_e32 v2, s12
	v_mov_b32_e32 v3, s0
	v_cmp_ge_i64_e32 vcc, s[6:7], v[2:3]
	s_cbranch_vccnz .LBB154_4
; %bb.1:
	s_load_dwordx2 s[0:1], s[4:5], 0x18
	s_load_dwordx4 s[8:11], s[4:5], 0x28
	s_ashr_i32 s2, s14, 31
	s_mul_hi_u32 s3, s14, s6
	s_mul_i32 s2, s2, s6
	s_add_i32 s3, s3, s2
	s_mul_i32 s2, s14, s6
	s_lshl_b64 s[2:3], s[2:3], 1
	s_waitcnt lgkmcnt(0)
	s_add_u32 s0, s0, s2
	s_addc_u32 s1, s1, s3
	s_add_i32 s2, s13, 1
	s_lshr_b32 s3, s2, 31
	v_and_b32_e32 v2, 0x3c0, v0
	s_add_i32 s2, s2, s3
	v_lshlrev_b32_e32 v1, 3, v0
	v_mul_u32_u24_e32 v2, 24, v2
	s_movk_i32 s7, 0x1f8
	s_lshl_b32 s2, s2, 1
	v_and_or_b32 v1, v1, s7, v2
	s_and_b32 s2, s2, -4
	s_and_b32 s1, s1, 0xffff
	s_mov_b32 s3, 0x20000
	v_lshlrev_b32_e32 v1, 1, v1
	buffer_load_dwordx4 v[14:17], v1, s[0:3], 0 offen glc slc
	s_movk_i32 s12, 0x400
	s_movk_i32 s7, 0x800
	buffer_load_dwordx4 v[38:41], v1, s[0:3], s7 offen glc slc
	buffer_load_dwordx4 v[18:21], v1, s[0:3], s12 offen glc slc
	s_mov_b32 s19, s3
	s_mov_b32 s16, s8
	s_and_b32 s17, s9, 0xffff
	s_mov_b32 s18, s2
	buffer_load_dwordx4 v[10:13], v1, s[16:19], 0 offen
	buffer_load_dwordx4 v[6:9], v1, s[16:19], s12 offen
	;; [unrolled: 1-line block ×3, first 2 shown]
	v_and_b32_e32 v58, 63, v0
	v_cmp_eq_u32_e32 vcc, 63, v58
	s_waitcnt vmcnt(5)
	v_cvt_f32_u32_sdwa v37, v14 dst_sel:DWORD dst_unused:UNUSED_PAD src0_sel:WORD_1
	v_cvt_f32_u32_sdwa v36, v14 dst_sel:DWORD dst_unused:UNUSED_PAD src0_sel:WORD_0
	v_cvt_f32_u32_sdwa v35, v15 dst_sel:DWORD dst_unused:UNUSED_PAD src0_sel:WORD_1
	v_cvt_f32_u32_sdwa v34, v15 dst_sel:DWORD dst_unused:UNUSED_PAD src0_sel:WORD_0
	;; [unrolled: 2-line block ×3, first 2 shown]
	s_waitcnt vmcnt(3)
	v_cvt_f32_u32_sdwa v29, v18 dst_sel:DWORD dst_unused:UNUSED_PAD src0_sel:WORD_1
	v_cvt_f32_u32_sdwa v28, v18 dst_sel:DWORD dst_unused:UNUSED_PAD src0_sel:WORD_0
	v_cvt_f32_u32_sdwa v27, v19 dst_sel:DWORD dst_unused:UNUSED_PAD src0_sel:WORD_1
	v_cvt_f32_u32_sdwa v26, v19 dst_sel:DWORD dst_unused:UNUSED_PAD src0_sel:WORD_0
	;; [unrolled: 2-line block ×6, first 2 shown]
	v_pk_mul_f32 v[38:39], v[36:37], v[36:37]
	v_cvt_f32_u32_sdwa v31, v17 dst_sel:DWORD dst_unused:UNUSED_PAD src0_sel:WORD_1
	v_cvt_f32_u32_sdwa v30, v17 dst_sel:DWORD dst_unused:UNUSED_PAD src0_sel:WORD_0
	v_cvt_f32_u32_sdwa v17, v40 dst_sel:DWORD dst_unused:UNUSED_PAD src0_sel:WORD_1
	v_cvt_f32_u32_sdwa v16, v40 dst_sel:DWORD dst_unused:UNUSED_PAD src0_sel:WORD_0
	;; [unrolled: 2-line block ×3, first 2 shown]
	v_pk_mul_f32 v[40:41], v[34:35], v[34:35]
	v_add_f32_e32 v59, v38, v39
	v_add_f32_e32 v40, v40, v59
	v_pk_mul_f32 v[42:43], v[32:33], v[32:33]
	v_add_f32_e32 v59, v41, v40
	v_add_f32_e32 v42, v42, v59
	;; [unrolled: 3-line block ×11, first 2 shown]
	v_add_f32_e32 v38, v41, v38
	s_nop 1
	v_mov_b32_dpp v39, v38 quad_perm:[1,0,3,2] row_mask:0xf bank_mask:0xf
	v_add_f32_e32 v38, v38, v39
	s_nop 1
	v_mov_b32_dpp v39, v38 quad_perm:[2,3,0,1] row_mask:0xf bank_mask:0xf
	v_add_f32_e32 v38, v38, v39
	s_nop 1
	v_mov_b32_dpp v39, v38 row_half_mirror row_mask:0xf bank_mask:0xf
	v_add_f32_e32 v38, v38, v39
	s_nop 1
	v_mov_b32_dpp v39, v38 row_mirror row_mask:0xf bank_mask:0xf
	v_add_f32_e32 v38, v38, v39
	s_nop 1
	v_mov_b32_dpp v39, v38 row_bcast:15 row_mask:0xf bank_mask:0xf
	v_add_f32_e32 v38, v38, v39
	s_nop 1
	v_mov_b32_dpp v39, v38 row_bcast:31 row_mask:0xf bank_mask:0xf
	s_and_saveexec_b64 s[0:1], vcc
	s_cbranch_execz .LBB154_3
; %bb.2:
	v_lshrrev_b32_e32 v40, 4, v0
	v_and_b32_e32 v40, 60, v40
	v_add_f32_e32 v38, v38, v39
	ds_write_b32 v40, v38
.LBB154_3:
	s_or_b64 exec, exec, s[0:1]
	v_and_b32_e32 v0, 3, v0
	v_lshlrev_b32_e32 v0, 2, v0
	s_waitcnt lgkmcnt(0)
	s_barrier
	ds_read_b32 v0, v0
	s_load_dword s8, s[4:5], 0x4c
	s_load_dwordx2 s[0:1], s[4:5], 0x0
	s_waitcnt lgkmcnt(0)
	v_mov_b32_dpp v38, v0 quad_perm:[1,0,3,2] row_mask:0xf bank_mask:0xf
	v_add_f32_e32 v0, v0, v38
	v_cvt_f32_i32_e32 v38, s13
	s_ashr_i32 s9, s8, 31
	v_mov_b32_dpp v39, v0 quad_perm:[2,3,0,1] row_mask:0xf bank_mask:0xf
	v_add_f32_e32 v0, v0, v39
	v_div_scale_f32 v39, s[4:5], v38, v38, v0
	v_rcp_f32_e32 v40, v39
	s_mul_hi_u32 s14, s8, s6
	s_mul_i32 s9, s9, s6
	s_mul_i32 s4, s8, s6
	v_fma_f32 v41, -v39, v40, 1.0
	v_fmac_f32_e32 v40, v41, v40
	v_div_scale_f32 v41, vcc, v0, v38, v0
	v_mul_f32_e32 v42, v41, v40
	v_fma_f32 v43, -v39, v42, v41
	v_fmac_f32_e32 v42, v43, v40
	v_fma_f32 v39, -v39, v42, v41
	v_div_fmas_f32 v39, v39, v40, v42
	v_div_fixup_f32 v0, v39, v38, v0
	v_cvt_f64_f32_e32 v[38:39], v0
	v_add_f64 v[38:39], v[38:39], s[10:11]
	v_cvt_f32_f64_e32 v0, v[38:39]
	s_mov_b32 s6, 0x800000
	v_mul_f32_e32 v38, 0x4b800000, v0
	v_cmp_gt_f32_e32 vcc, s6, v0
	v_cndmask_b32_e32 v0, v0, v38, vcc
	v_rsq_f32_e32 v0, v0
	s_add_i32 s5, s14, s9
	s_lshl_b64 s[4:5], s[4:5], 1
	s_waitcnt vmcnt(2)
	v_cvt_f32_u32_sdwa v41, v11 dst_sel:DWORD dst_unused:UNUSED_PAD src0_sel:WORD_1
	v_mul_f32_e32 v38, 0x45800000, v0
	v_cndmask_b32_e32 v38, v0, v38, vcc
	v_mov_b32_e32 v39, v38
	;;#ASMSTART
	v_pk_mul_f32 v[36:37], v[36:37], v[38:39]
	;;#ASMEND
	;;#ASMSTART
	v_pk_mul_f32 v[34:35], v[34:35], v[38:39]
	;;#ASMEND
	;; [unrolled: 3-line block ×12, first 2 shown]
	v_cvt_f32_u32_sdwa v39, v10 dst_sel:DWORD dst_unused:UNUSED_PAD src0_sel:WORD_1
	v_cvt_f32_u32_sdwa v38, v10 dst_sel:DWORD dst_unused:UNUSED_PAD src0_sel:WORD_0
	v_cvt_f32_u32_sdwa v40, v11 dst_sel:DWORD dst_unused:UNUSED_PAD src0_sel:WORD_0
	v_cvt_f32_u32_sdwa v11, v12 dst_sel:DWORD dst_unused:UNUSED_PAD src0_sel:WORD_1
	v_cvt_f32_u32_sdwa v10, v12 dst_sel:DWORD dst_unused:UNUSED_PAD src0_sel:WORD_0
	s_add_u32 s0, s0, s4
	v_cvt_f32_u32_sdwa v43, v13 dst_sel:DWORD dst_unused:UNUSED_PAD src0_sel:WORD_1
	v_cvt_f32_u32_sdwa v42, v13 dst_sel:DWORD dst_unused:UNUSED_PAD src0_sel:WORD_0
	;;#ASMSTART
	v_pk_mul_f32 v[12:13], v[36:37], v[38:39]
	;;#ASMEND
	;;#ASMSTART
	v_pk_mul_f32 v[34:35], v[34:35], v[40:41]
	;;#ASMEND
	;;#ASMSTART
	v_pk_mul_f32 v[10:11], v[32:33], v[10:11]
	;;#ASMEND
	s_waitcnt vmcnt(1)
	v_cvt_f32_u32_sdwa v33, v6 dst_sel:DWORD dst_unused:UNUSED_PAD src0_sel:WORD_1
	v_cvt_f32_u32_sdwa v32, v6 dst_sel:DWORD dst_unused:UNUSED_PAD src0_sel:WORD_0
	v_cvt_f32_u32_sdwa v37, v7 dst_sel:DWORD dst_unused:UNUSED_PAD src0_sel:WORD_1
	v_cvt_f32_u32_sdwa v36, v7 dst_sel:DWORD dst_unused:UNUSED_PAD src0_sel:WORD_0
	;; [unrolled: 2-line block ×3, first 2 shown]
	s_addc_u32 s1, s1, s5
	;;#ASMSTART
	v_pk_mul_f32 v[30:31], v[30:31], v[42:43]
	;;#ASMEND
	v_cvt_f32_u32_sdwa v39, v9 dst_sel:DWORD dst_unused:UNUSED_PAD src0_sel:WORD_1
	v_cvt_f32_u32_sdwa v38, v9 dst_sel:DWORD dst_unused:UNUSED_PAD src0_sel:WORD_0
	;;#ASMSTART
	v_pk_mul_f32 v[8:9], v[28:29], v[32:33]
	;;#ASMEND
	;;#ASMSTART
	v_pk_mul_f32 v[26:27], v[26:27], v[36:37]
	;;#ASMEND
	;; [unrolled: 3-line block ×3, first 2 shown]
	s_waitcnt vmcnt(0)
	v_cvt_f32_u32_sdwa v25, v2 dst_sel:DWORD dst_unused:UNUSED_PAD src0_sel:WORD_1
	v_cvt_f32_u32_sdwa v24, v2 dst_sel:DWORD dst_unused:UNUSED_PAD src0_sel:WORD_0
	v_cvt_f32_u32_sdwa v29, v3 dst_sel:DWORD dst_unused:UNUSED_PAD src0_sel:WORD_1
	v_cvt_f32_u32_sdwa v28, v3 dst_sel:DWORD dst_unused:UNUSED_PAD src0_sel:WORD_0
	;; [unrolled: 2-line block ×3, first 2 shown]
	s_mov_b32 s4, 0x7060302
	;;#ASMSTART
	v_pk_mul_f32 v[22:23], v[22:23], v[38:39]
	;;#ASMEND
	v_cvt_f32_u32_sdwa v33, v5 dst_sel:DWORD dst_unused:UNUSED_PAD src0_sel:WORD_1
	v_cvt_f32_u32_sdwa v32, v5 dst_sel:DWORD dst_unused:UNUSED_PAD src0_sel:WORD_0
	;;#ASMSTART
	v_pk_mul_f32 v[20:21], v[20:21], v[24:25]
	;;#ASMEND
	;;#ASMSTART
	v_pk_mul_f32 v[18:19], v[18:19], v[28:29]
	;;#ASMEND
	;; [unrolled: 3-line block ×3, first 2 shown]
	s_and_b32 s1, s1, 0xffff
	v_perm_b32 v2, v13, v12, s4
	v_perm_b32 v3, v35, v34, s4
	v_perm_b32 v4, v11, v10, s4
	v_perm_b32 v5, v31, v30, s4
	;;#ASMSTART
	v_pk_mul_f32 v[14:15], v[14:15], v[32:33]
	;;#ASMEND
	buffer_store_dwordx4 v[2:5], v1, s[0:3], 0 offen
	;;#ASMSTART
	s_nop 0
	;;#ASMEND
	s_nop 0
	v_perm_b32 v2, v9, v8, s4
	v_perm_b32 v3, v27, v26, s4
	;; [unrolled: 1-line block ×4, first 2 shown]
	buffer_store_dwordx4 v[2:5], v1, s[0:3], s12 offen
	v_perm_b32 v2, v21, v20, s4
	v_perm_b32 v3, v19, v18, s4
	;; [unrolled: 1-line block ×4, first 2 shown]
	;;#ASMSTART
	s_nop 0
	;;#ASMEND
	buffer_store_dwordx4 v[2:5], v1, s[0:3], s7 offen
	;;#ASMSTART
	s_nop 0
	;;#ASMEND
.LBB154_4:
	s_endpgm
	.section	.rodata,"a",@progbits
	.p2align	6, 0x0
	.amdhsa_kernel _ZN5aiter24add_rmsnorm_quant_kernelIttLi256ELi24ELb0ELb0ELb1ELi1EEEvPT0_PT_PfS4_S4_S4_diiiiiiib
		.amdhsa_group_segment_fixed_size 16
		.amdhsa_private_segment_fixed_size 0
		.amdhsa_kernarg_size 88
		.amdhsa_user_sgpr_count 6
		.amdhsa_user_sgpr_private_segment_buffer 1
		.amdhsa_user_sgpr_dispatch_ptr 0
		.amdhsa_user_sgpr_queue_ptr 0
		.amdhsa_user_sgpr_kernarg_segment_ptr 1
		.amdhsa_user_sgpr_dispatch_id 0
		.amdhsa_user_sgpr_flat_scratch_init 0
		.amdhsa_user_sgpr_kernarg_preload_length 0
		.amdhsa_user_sgpr_kernarg_preload_offset 0
		.amdhsa_user_sgpr_private_segment_size 0
		.amdhsa_uses_dynamic_stack 0
		.amdhsa_system_sgpr_private_segment_wavefront_offset 0
		.amdhsa_system_sgpr_workgroup_id_x 1
		.amdhsa_system_sgpr_workgroup_id_y 0
		.amdhsa_system_sgpr_workgroup_id_z 0
		.amdhsa_system_sgpr_workgroup_info 0
		.amdhsa_system_vgpr_workitem_id 0
		.amdhsa_next_free_vgpr 60
		.amdhsa_next_free_sgpr 20
		.amdhsa_accum_offset 60
		.amdhsa_reserve_vcc 1
		.amdhsa_reserve_flat_scratch 0
		.amdhsa_float_round_mode_32 0
		.amdhsa_float_round_mode_16_64 0
		.amdhsa_float_denorm_mode_32 3
		.amdhsa_float_denorm_mode_16_64 3
		.amdhsa_dx10_clamp 1
		.amdhsa_ieee_mode 1
		.amdhsa_fp16_overflow 0
		.amdhsa_tg_split 0
		.amdhsa_exception_fp_ieee_invalid_op 0
		.amdhsa_exception_fp_denorm_src 0
		.amdhsa_exception_fp_ieee_div_zero 0
		.amdhsa_exception_fp_ieee_overflow 0
		.amdhsa_exception_fp_ieee_underflow 0
		.amdhsa_exception_fp_ieee_inexact 0
		.amdhsa_exception_int_div_zero 0
	.end_amdhsa_kernel
	.section	.text._ZN5aiter24add_rmsnorm_quant_kernelIttLi256ELi24ELb0ELb0ELb1ELi1EEEvPT0_PT_PfS4_S4_S4_diiiiiiib,"axG",@progbits,_ZN5aiter24add_rmsnorm_quant_kernelIttLi256ELi24ELb0ELb0ELb1ELi1EEEvPT0_PT_PfS4_S4_S4_diiiiiiib,comdat
.Lfunc_end154:
	.size	_ZN5aiter24add_rmsnorm_quant_kernelIttLi256ELi24ELb0ELb0ELb1ELi1EEEvPT0_PT_PfS4_S4_S4_diiiiiiib, .Lfunc_end154-_ZN5aiter24add_rmsnorm_quant_kernelIttLi256ELi24ELb0ELb0ELb1ELi1EEEvPT0_PT_PfS4_S4_S4_diiiiiiib
                                        ; -- End function
	.section	.AMDGPU.csdata,"",@progbits
; Kernel info:
; codeLenInByte = 1552
; NumSgprs: 24
; NumVgprs: 60
; NumAgprs: 0
; TotalNumVgprs: 60
; ScratchSize: 0
; MemoryBound: 0
; FloatMode: 240
; IeeeMode: 1
; LDSByteSize: 16 bytes/workgroup (compile time only)
; SGPRBlocks: 2
; VGPRBlocks: 7
; NumSGPRsForWavesPerEU: 24
; NumVGPRsForWavesPerEU: 60
; AccumOffset: 60
; Occupancy: 8
; WaveLimiterHint : 1
; COMPUTE_PGM_RSRC2:SCRATCH_EN: 0
; COMPUTE_PGM_RSRC2:USER_SGPR: 6
; COMPUTE_PGM_RSRC2:TRAP_HANDLER: 0
; COMPUTE_PGM_RSRC2:TGID_X_EN: 1
; COMPUTE_PGM_RSRC2:TGID_Y_EN: 0
; COMPUTE_PGM_RSRC2:TGID_Z_EN: 0
; COMPUTE_PGM_RSRC2:TIDIG_COMP_CNT: 0
; COMPUTE_PGM_RSRC3_GFX90A:ACCUM_OFFSET: 14
; COMPUTE_PGM_RSRC3_GFX90A:TG_SPLIT: 0
	.section	.text._ZN5aiter24add_rmsnorm_quant_kernelIDF16_DF16_Li256ELi24ELb0ELb0ELb0ELi1EEEvPT0_PT_PfS4_S4_S4_diiiiiiib,"axG",@progbits,_ZN5aiter24add_rmsnorm_quant_kernelIDF16_DF16_Li256ELi24ELb0ELb0ELb0ELi1EEEvPT0_PT_PfS4_S4_S4_diiiiiiib,comdat
	.protected	_ZN5aiter24add_rmsnorm_quant_kernelIDF16_DF16_Li256ELi24ELb0ELb0ELb0ELi1EEEvPT0_PT_PfS4_S4_S4_diiiiiiib ; -- Begin function _ZN5aiter24add_rmsnorm_quant_kernelIDF16_DF16_Li256ELi24ELb0ELb0ELb0ELi1EEEvPT0_PT_PfS4_S4_S4_diiiiiiib
	.globl	_ZN5aiter24add_rmsnorm_quant_kernelIDF16_DF16_Li256ELi24ELb0ELb0ELb0ELi1EEEvPT0_PT_PfS4_S4_S4_diiiiiiib
	.p2align	8
	.type	_ZN5aiter24add_rmsnorm_quant_kernelIDF16_DF16_Li256ELi24ELb0ELb0ELb0ELi1EEEvPT0_PT_PfS4_S4_S4_diiiiiiib,@function
_ZN5aiter24add_rmsnorm_quant_kernelIDF16_DF16_Li256ELi24ELb0ELb0ELb0ELi1EEEvPT0_PT_PfS4_S4_S4_diiiiiiib: ; @_ZN5aiter24add_rmsnorm_quant_kernelIDF16_DF16_Li256ELi24ELb0ELb0ELb0ELi1EEEvPT0_PT_PfS4_S4_S4_diiiiiiib
; %bb.0:
	s_load_dwordx4 s[12:15], s[4:5], 0x38
	s_mov_b32 s7, 0
	s_waitcnt lgkmcnt(0)
	s_ashr_i32 s0, s12, 31
	v_mov_b32_e32 v2, s12
	v_mov_b32_e32 v3, s0
	v_cmp_ge_i64_e32 vcc, s[6:7], v[2:3]
	s_cbranch_vccnz .LBB155_4
; %bb.1:
	s_load_dwordx2 s[0:1], s[4:5], 0x18
	s_load_dwordx4 s[8:11], s[4:5], 0x28
	s_ashr_i32 s2, s14, 31
	s_mul_hi_u32 s3, s14, s6
	s_mul_i32 s2, s2, s6
	s_add_i32 s3, s3, s2
	s_mul_i32 s2, s14, s6
	s_lshl_b64 s[2:3], s[2:3], 1
	s_waitcnt lgkmcnt(0)
	s_add_u32 s0, s0, s2
	s_addc_u32 s1, s1, s3
	s_add_i32 s2, s13, 1
	s_lshr_b32 s3, s2, 31
	s_add_i32 s2, s2, s3
	s_lshl_b32 s2, s2, 1
	s_and_b32 s2, s2, -4
	s_and_b32 s1, s1, 0xffff
	s_mov_b32 s3, 0x20000
	v_mul_u32_u24_e32 v1, 48, v0
	buffer_load_dwordx4 v[14:17], v1, s[0:3], 0 offen
	buffer_load_dwordx4 v[18:21], v1, s[0:3], 16 offen
	;; [unrolled: 1-line block ×3, first 2 shown]
	s_mov_b32 s19, s3
	s_mov_b32 s16, s8
	s_and_b32 s17, s9, 0xffff
	s_mov_b32 s18, s2
	buffer_load_dwordx4 v[10:13], v1, s[16:19], 0 offen
	buffer_load_dwordx4 v[6:9], v1, s[16:19], 16 offen
	;; [unrolled: 1-line block ×3, first 2 shown]
	v_and_b32_e32 v58, 63, v0
	v_cmp_eq_u32_e32 vcc, 63, v58
	s_waitcnt vmcnt(5)
	v_cvt_f32_f16_e32 v36, v14
	v_cvt_f32_f16_sdwa v37, v14 dst_sel:DWORD dst_unused:UNUSED_PAD src0_sel:WORD_1
	v_cvt_f32_f16_e32 v34, v15
	v_cvt_f32_f16_sdwa v35, v15 dst_sel:DWORD dst_unused:UNUSED_PAD src0_sel:WORD_1
	;; [unrolled: 2-line block ×3, first 2 shown]
	s_waitcnt vmcnt(4)
	v_cvt_f32_f16_e32 v28, v18
	v_cvt_f32_f16_sdwa v29, v18 dst_sel:DWORD dst_unused:UNUSED_PAD src0_sel:WORD_1
	v_cvt_f32_f16_e32 v26, v19
	v_cvt_f32_f16_sdwa v27, v19 dst_sel:DWORD dst_unused:UNUSED_PAD src0_sel:WORD_1
	;; [unrolled: 2-line block ×4, first 2 shown]
	s_waitcnt vmcnt(3)
	v_cvt_f32_f16_e32 v20, v38
	v_cvt_f32_f16_sdwa v21, v38 dst_sel:DWORD dst_unused:UNUSED_PAD src0_sel:WORD_1
	v_cvt_f32_f16_e32 v18, v39
	v_cvt_f32_f16_sdwa v19, v39 dst_sel:DWORD dst_unused:UNUSED_PAD src0_sel:WORD_1
	v_pk_mul_f32 v[38:39], v[36:37], v[36:37]
	v_cvt_f32_f16_e32 v30, v17
	v_cvt_f32_f16_sdwa v31, v17 dst_sel:DWORD dst_unused:UNUSED_PAD src0_sel:WORD_1
	v_cvt_f32_f16_e32 v16, v40
	v_cvt_f32_f16_sdwa v17, v40 dst_sel:DWORD dst_unused:UNUSED_PAD src0_sel:WORD_1
	;; [unrolled: 2-line block ×3, first 2 shown]
	v_pk_mul_f32 v[40:41], v[34:35], v[34:35]
	v_add_f32_e32 v59, v38, v39
	v_add_f32_e32 v40, v40, v59
	v_pk_mul_f32 v[42:43], v[32:33], v[32:33]
	v_add_f32_e32 v59, v41, v40
	v_add_f32_e32 v42, v42, v59
	;; [unrolled: 3-line block ×11, first 2 shown]
	v_add_f32_e32 v38, v41, v38
	s_nop 1
	v_mov_b32_dpp v39, v38 quad_perm:[1,0,3,2] row_mask:0xf bank_mask:0xf
	v_add_f32_e32 v38, v38, v39
	s_nop 1
	v_mov_b32_dpp v39, v38 quad_perm:[2,3,0,1] row_mask:0xf bank_mask:0xf
	v_add_f32_e32 v38, v38, v39
	s_nop 1
	v_mov_b32_dpp v39, v38 row_half_mirror row_mask:0xf bank_mask:0xf
	v_add_f32_e32 v38, v38, v39
	s_nop 1
	v_mov_b32_dpp v39, v38 row_mirror row_mask:0xf bank_mask:0xf
	v_add_f32_e32 v38, v38, v39
	s_nop 1
	v_mov_b32_dpp v39, v38 row_bcast:15 row_mask:0xf bank_mask:0xf
	v_add_f32_e32 v38, v38, v39
	s_nop 1
	v_mov_b32_dpp v39, v38 row_bcast:31 row_mask:0xf bank_mask:0xf
	s_and_saveexec_b64 s[0:1], vcc
	s_cbranch_execz .LBB155_3
; %bb.2:
	v_lshrrev_b32_e32 v40, 4, v0
	v_and_b32_e32 v40, 60, v40
	v_add_f32_e32 v38, v38, v39
	ds_write_b32 v40, v38
.LBB155_3:
	s_or_b64 exec, exec, s[0:1]
	v_and_b32_e32 v0, 3, v0
	v_lshlrev_b32_e32 v0, 2, v0
	s_waitcnt lgkmcnt(0)
	s_barrier
	ds_read_b32 v0, v0
	s_load_dword s7, s[4:5], 0x4c
	s_load_dwordx2 s[0:1], s[4:5], 0x0
	s_waitcnt lgkmcnt(0)
	v_mov_b32_dpp v38, v0 quad_perm:[1,0,3,2] row_mask:0xf bank_mask:0xf
	v_add_f32_e32 v0, v0, v38
	v_cvt_f32_i32_e32 v38, s13
	s_ashr_i32 s8, s7, 31
	v_mov_b32_dpp v39, v0 quad_perm:[2,3,0,1] row_mask:0xf bank_mask:0xf
	v_add_f32_e32 v0, v0, v39
	v_div_scale_f32 v39, s[4:5], v38, v38, v0
	v_rcp_f32_e32 v40, v39
	s_mul_hi_u32 s9, s7, s6
	s_mul_i32 s8, s8, s6
	s_mul_i32 s4, s7, s6
	v_fma_f32 v41, -v39, v40, 1.0
	v_fmac_f32_e32 v40, v41, v40
	v_div_scale_f32 v41, vcc, v0, v38, v0
	v_mul_f32_e32 v42, v41, v40
	v_fma_f32 v43, -v39, v42, v41
	v_fmac_f32_e32 v42, v43, v40
	v_fma_f32 v39, -v39, v42, v41
	v_div_fmas_f32 v39, v39, v40, v42
	v_div_fixup_f32 v0, v39, v38, v0
	v_cvt_f64_f32_e32 v[38:39], v0
	v_add_f64 v[38:39], v[38:39], s[10:11]
	v_cvt_f32_f64_e32 v0, v[38:39]
	s_mov_b32 s6, 0x800000
	v_mul_f32_e32 v38, 0x4b800000, v0
	v_cmp_gt_f32_e32 vcc, s6, v0
	v_cndmask_b32_e32 v0, v0, v38, vcc
	v_rsq_f32_e32 v0, v0
	s_waitcnt vmcnt(2)
	v_cvt_f32_f16_sdwa v41, v11 dst_sel:DWORD dst_unused:UNUSED_PAD src0_sel:WORD_1
	v_cvt_f32_f16_e32 v40, v11
	v_cvt_f32_f16_sdwa v11, v12 dst_sel:DWORD dst_unused:UNUSED_PAD src0_sel:WORD_1
	v_mul_f32_e32 v38, 0x45800000, v0
	v_cndmask_b32_e32 v38, v0, v38, vcc
	v_mov_b32_e32 v39, v38
	;;#ASMSTART
	v_pk_mul_f32 v[36:37], v[36:37], v[38:39]
	;;#ASMEND
	;;#ASMSTART
	v_pk_mul_f32 v[34:35], v[34:35], v[38:39]
	;;#ASMEND
	;; [unrolled: 3-line block ×12, first 2 shown]
	v_cvt_f32_f16_sdwa v39, v10 dst_sel:DWORD dst_unused:UNUSED_PAD src0_sel:WORD_1
	v_cvt_f32_f16_e32 v38, v10
	v_cvt_f32_f16_e32 v10, v12
	v_cvt_f32_f16_sdwa v43, v13 dst_sel:DWORD dst_unused:UNUSED_PAD src0_sel:WORD_1
	v_cvt_f32_f16_e32 v42, v13
	;;#ASMSTART
	v_pk_mul_f32 v[12:13], v[36:37], v[38:39]
	;;#ASMEND
	;;#ASMSTART
	v_pk_mul_f32 v[34:35], v[34:35], v[40:41]
	;;#ASMEND
	;; [unrolled: 3-line block ×3, first 2 shown]
	s_waitcnt vmcnt(1)
	v_cvt_f32_f16_sdwa v33, v6 dst_sel:DWORD dst_unused:UNUSED_PAD src0_sel:WORD_1
	v_cvt_f32_f16_e32 v32, v6
	v_cvt_f32_f16_sdwa v37, v7 dst_sel:DWORD dst_unused:UNUSED_PAD src0_sel:WORD_1
	v_cvt_f32_f16_e32 v36, v7
	;; [unrolled: 2-line block ×3, first 2 shown]
	;;#ASMSTART
	v_pk_mul_f32 v[30:31], v[30:31], v[42:43]
	;;#ASMEND
	v_cvt_f32_f16_sdwa v39, v9 dst_sel:DWORD dst_unused:UNUSED_PAD src0_sel:WORD_1
	v_cvt_f32_f16_e32 v38, v9
	;;#ASMSTART
	v_pk_mul_f32 v[8:9], v[28:29], v[32:33]
	;;#ASMEND
	;;#ASMSTART
	v_pk_mul_f32 v[26:27], v[26:27], v[36:37]
	;;#ASMEND
	;; [unrolled: 3-line block ×3, first 2 shown]
	s_waitcnt vmcnt(0)
	v_cvt_f32_f16_sdwa v25, v2 dst_sel:DWORD dst_unused:UNUSED_PAD src0_sel:WORD_1
	v_cvt_f32_f16_e32 v24, v2
	v_cvt_f32_f16_sdwa v29, v3 dst_sel:DWORD dst_unused:UNUSED_PAD src0_sel:WORD_1
	v_cvt_f32_f16_e32 v28, v3
	;; [unrolled: 2-line block ×3, first 2 shown]
	s_add_i32 s5, s9, s8
	;;#ASMSTART
	v_pk_mul_f32 v[22:23], v[22:23], v[38:39]
	;;#ASMEND
	v_cvt_f32_f16_sdwa v33, v5 dst_sel:DWORD dst_unused:UNUSED_PAD src0_sel:WORD_1
	v_cvt_f32_f16_e32 v32, v5
	;;#ASMSTART
	v_pk_mul_f32 v[20:21], v[20:21], v[24:25]
	;;#ASMEND
	;;#ASMSTART
	v_pk_mul_f32 v[18:19], v[18:19], v[28:29]
	;;#ASMEND
	;; [unrolled: 3-line block ×3, first 2 shown]
	v_cvt_f16_f32_e32 v0, v12
	v_cvt_f16_f32_e32 v2, v13
	;; [unrolled: 1-line block ×8, first 2 shown]
	s_lshl_b64 s[4:5], s[4:5], 1
	s_add_u32 s0, s0, s4
	s_addc_u32 s1, s1, s5
	s_and_b32 s1, s1, 0xffff
	v_pack_b32_f16 v2, v0, v2
	v_pack_b32_f16 v3, v3, v4
	;; [unrolled: 1-line block ×4, first 2 shown]
	;;#ASMSTART
	v_pk_mul_f32 v[14:15], v[14:15], v[32:33]
	;;#ASMEND
	buffer_store_dwordx4 v[2:5], v1, s[0:3], 0 offen
	v_cvt_f16_f32_e32 v0, v8
	v_cvt_f16_f32_e32 v2, v9
	;; [unrolled: 1-line block ×8, first 2 shown]
	v_pack_b32_f16 v2, v0, v2
	v_pack_b32_f16 v3, v3, v4
	;; [unrolled: 1-line block ×4, first 2 shown]
	;;#ASMSTART
	s_nop 0
	;;#ASMEND
	buffer_store_dwordx4 v[2:5], v1, s[0:3], 16 offen
	v_cvt_f16_f32_e32 v0, v20
	v_cvt_f16_f32_e32 v2, v21
	;; [unrolled: 1-line block ×8, first 2 shown]
	v_pack_b32_f16 v2, v0, v2
	v_pack_b32_f16 v3, v3, v4
	;; [unrolled: 1-line block ×4, first 2 shown]
	;;#ASMSTART
	s_nop 0
	;;#ASMEND
	buffer_store_dwordx4 v[2:5], v1, s[0:3], 32 offen
	;;#ASMSTART
	s_nop 0
	;;#ASMEND
.LBB155_4:
	s_endpgm
	.section	.rodata,"a",@progbits
	.p2align	6, 0x0
	.amdhsa_kernel _ZN5aiter24add_rmsnorm_quant_kernelIDF16_DF16_Li256ELi24ELb0ELb0ELb0ELi1EEEvPT0_PT_PfS4_S4_S4_diiiiiiib
		.amdhsa_group_segment_fixed_size 16
		.amdhsa_private_segment_fixed_size 0
		.amdhsa_kernarg_size 88
		.amdhsa_user_sgpr_count 6
		.amdhsa_user_sgpr_private_segment_buffer 1
		.amdhsa_user_sgpr_dispatch_ptr 0
		.amdhsa_user_sgpr_queue_ptr 0
		.amdhsa_user_sgpr_kernarg_segment_ptr 1
		.amdhsa_user_sgpr_dispatch_id 0
		.amdhsa_user_sgpr_flat_scratch_init 0
		.amdhsa_user_sgpr_kernarg_preload_length 0
		.amdhsa_user_sgpr_kernarg_preload_offset 0
		.amdhsa_user_sgpr_private_segment_size 0
		.amdhsa_uses_dynamic_stack 0
		.amdhsa_system_sgpr_private_segment_wavefront_offset 0
		.amdhsa_system_sgpr_workgroup_id_x 1
		.amdhsa_system_sgpr_workgroup_id_y 0
		.amdhsa_system_sgpr_workgroup_id_z 0
		.amdhsa_system_sgpr_workgroup_info 0
		.amdhsa_system_vgpr_workitem_id 0
		.amdhsa_next_free_vgpr 60
		.amdhsa_next_free_sgpr 20
		.amdhsa_accum_offset 60
		.amdhsa_reserve_vcc 1
		.amdhsa_reserve_flat_scratch 0
		.amdhsa_float_round_mode_32 0
		.amdhsa_float_round_mode_16_64 0
		.amdhsa_float_denorm_mode_32 3
		.amdhsa_float_denorm_mode_16_64 3
		.amdhsa_dx10_clamp 1
		.amdhsa_ieee_mode 1
		.amdhsa_fp16_overflow 0
		.amdhsa_tg_split 0
		.amdhsa_exception_fp_ieee_invalid_op 0
		.amdhsa_exception_fp_denorm_src 0
		.amdhsa_exception_fp_ieee_div_zero 0
		.amdhsa_exception_fp_ieee_overflow 0
		.amdhsa_exception_fp_ieee_underflow 0
		.amdhsa_exception_fp_ieee_inexact 0
		.amdhsa_exception_int_div_zero 0
	.end_amdhsa_kernel
	.section	.text._ZN5aiter24add_rmsnorm_quant_kernelIDF16_DF16_Li256ELi24ELb0ELb0ELb0ELi1EEEvPT0_PT_PfS4_S4_S4_diiiiiiib,"axG",@progbits,_ZN5aiter24add_rmsnorm_quant_kernelIDF16_DF16_Li256ELi24ELb0ELb0ELb0ELi1EEEvPT0_PT_PfS4_S4_S4_diiiiiiib,comdat
.Lfunc_end155:
	.size	_ZN5aiter24add_rmsnorm_quant_kernelIDF16_DF16_Li256ELi24ELb0ELb0ELb0ELi1EEEvPT0_PT_PfS4_S4_S4_diiiiiiib, .Lfunc_end155-_ZN5aiter24add_rmsnorm_quant_kernelIDF16_DF16_Li256ELi24ELb0ELb0ELb0ELi1EEEvPT0_PT_PfS4_S4_S4_diiiiiiib
                                        ; -- End function
	.section	.AMDGPU.csdata,"",@progbits
; Kernel info:
; codeLenInByte = 1508
; NumSgprs: 24
; NumVgprs: 60
; NumAgprs: 0
; TotalNumVgprs: 60
; ScratchSize: 0
; MemoryBound: 0
; FloatMode: 240
; IeeeMode: 1
; LDSByteSize: 16 bytes/workgroup (compile time only)
; SGPRBlocks: 2
; VGPRBlocks: 7
; NumSGPRsForWavesPerEU: 24
; NumVGPRsForWavesPerEU: 60
; AccumOffset: 60
; Occupancy: 8
; WaveLimiterHint : 1
; COMPUTE_PGM_RSRC2:SCRATCH_EN: 0
; COMPUTE_PGM_RSRC2:USER_SGPR: 6
; COMPUTE_PGM_RSRC2:TRAP_HANDLER: 0
; COMPUTE_PGM_RSRC2:TGID_X_EN: 1
; COMPUTE_PGM_RSRC2:TGID_Y_EN: 0
; COMPUTE_PGM_RSRC2:TGID_Z_EN: 0
; COMPUTE_PGM_RSRC2:TIDIG_COMP_CNT: 0
; COMPUTE_PGM_RSRC3_GFX90A:ACCUM_OFFSET: 14
; COMPUTE_PGM_RSRC3_GFX90A:TG_SPLIT: 0
	.section	.text._ZN5aiter24add_rmsnorm_quant_kernelIttLi256ELi24ELb0ELb0ELb0ELi1EEEvPT0_PT_PfS4_S4_S4_diiiiiiib,"axG",@progbits,_ZN5aiter24add_rmsnorm_quant_kernelIttLi256ELi24ELb0ELb0ELb0ELi1EEEvPT0_PT_PfS4_S4_S4_diiiiiiib,comdat
	.protected	_ZN5aiter24add_rmsnorm_quant_kernelIttLi256ELi24ELb0ELb0ELb0ELi1EEEvPT0_PT_PfS4_S4_S4_diiiiiiib ; -- Begin function _ZN5aiter24add_rmsnorm_quant_kernelIttLi256ELi24ELb0ELb0ELb0ELi1EEEvPT0_PT_PfS4_S4_S4_diiiiiiib
	.globl	_ZN5aiter24add_rmsnorm_quant_kernelIttLi256ELi24ELb0ELb0ELb0ELi1EEEvPT0_PT_PfS4_S4_S4_diiiiiiib
	.p2align	8
	.type	_ZN5aiter24add_rmsnorm_quant_kernelIttLi256ELi24ELb0ELb0ELb0ELi1EEEvPT0_PT_PfS4_S4_S4_diiiiiiib,@function
_ZN5aiter24add_rmsnorm_quant_kernelIttLi256ELi24ELb0ELb0ELb0ELi1EEEvPT0_PT_PfS4_S4_S4_diiiiiiib: ; @_ZN5aiter24add_rmsnorm_quant_kernelIttLi256ELi24ELb0ELb0ELb0ELi1EEEvPT0_PT_PfS4_S4_S4_diiiiiiib
; %bb.0:
	s_load_dwordx4 s[12:15], s[4:5], 0x38
	s_mov_b32 s7, 0
	s_waitcnt lgkmcnt(0)
	s_ashr_i32 s0, s12, 31
	v_mov_b32_e32 v2, s12
	v_mov_b32_e32 v3, s0
	v_cmp_ge_i64_e32 vcc, s[6:7], v[2:3]
	s_cbranch_vccnz .LBB156_4
; %bb.1:
	s_load_dwordx2 s[0:1], s[4:5], 0x18
	s_load_dwordx4 s[8:11], s[4:5], 0x28
	s_ashr_i32 s2, s14, 31
	s_mul_hi_u32 s3, s14, s6
	s_mul_i32 s2, s2, s6
	s_add_i32 s3, s3, s2
	s_mul_i32 s2, s14, s6
	s_lshl_b64 s[2:3], s[2:3], 1
	s_waitcnt lgkmcnt(0)
	s_add_u32 s0, s0, s2
	s_addc_u32 s1, s1, s3
	s_add_i32 s2, s13, 1
	s_lshr_b32 s3, s2, 31
	s_add_i32 s2, s2, s3
	s_lshl_b32 s2, s2, 1
	s_and_b32 s2, s2, -4
	s_and_b32 s1, s1, 0xffff
	s_mov_b32 s3, 0x20000
	v_mul_u32_u24_e32 v1, 48, v0
	buffer_load_dwordx4 v[14:17], v1, s[0:3], 0 offen
	buffer_load_dwordx4 v[18:21], v1, s[0:3], 16 offen
	;; [unrolled: 1-line block ×3, first 2 shown]
	s_mov_b32 s19, s3
	s_mov_b32 s16, s8
	s_and_b32 s17, s9, 0xffff
	s_mov_b32 s18, s2
	buffer_load_dwordx4 v[10:13], v1, s[16:19], 0 offen
	buffer_load_dwordx4 v[6:9], v1, s[16:19], 16 offen
	;; [unrolled: 1-line block ×3, first 2 shown]
	v_and_b32_e32 v58, 63, v0
	v_cmp_eq_u32_e32 vcc, 63, v58
	s_waitcnt vmcnt(5)
	v_cvt_f32_u32_sdwa v37, v14 dst_sel:DWORD dst_unused:UNUSED_PAD src0_sel:WORD_1
	v_cvt_f32_u32_sdwa v36, v14 dst_sel:DWORD dst_unused:UNUSED_PAD src0_sel:WORD_0
	v_cvt_f32_u32_sdwa v35, v15 dst_sel:DWORD dst_unused:UNUSED_PAD src0_sel:WORD_1
	v_cvt_f32_u32_sdwa v34, v15 dst_sel:DWORD dst_unused:UNUSED_PAD src0_sel:WORD_0
	;; [unrolled: 2-line block ×3, first 2 shown]
	s_waitcnt vmcnt(4)
	v_cvt_f32_u32_sdwa v29, v18 dst_sel:DWORD dst_unused:UNUSED_PAD src0_sel:WORD_1
	v_cvt_f32_u32_sdwa v28, v18 dst_sel:DWORD dst_unused:UNUSED_PAD src0_sel:WORD_0
	v_cvt_f32_u32_sdwa v27, v19 dst_sel:DWORD dst_unused:UNUSED_PAD src0_sel:WORD_1
	v_cvt_f32_u32_sdwa v26, v19 dst_sel:DWORD dst_unused:UNUSED_PAD src0_sel:WORD_0
	;; [unrolled: 2-line block ×4, first 2 shown]
	s_waitcnt vmcnt(3)
	v_cvt_f32_u32_sdwa v21, v38 dst_sel:DWORD dst_unused:UNUSED_PAD src0_sel:WORD_1
	v_cvt_f32_u32_sdwa v20, v38 dst_sel:DWORD dst_unused:UNUSED_PAD src0_sel:WORD_0
	v_cvt_f32_u32_sdwa v19, v39 dst_sel:DWORD dst_unused:UNUSED_PAD src0_sel:WORD_1
	v_cvt_f32_u32_sdwa v18, v39 dst_sel:DWORD dst_unused:UNUSED_PAD src0_sel:WORD_0
	v_pk_mul_f32 v[38:39], v[36:37], v[36:37]
	v_cvt_f32_u32_sdwa v31, v17 dst_sel:DWORD dst_unused:UNUSED_PAD src0_sel:WORD_1
	v_cvt_f32_u32_sdwa v30, v17 dst_sel:DWORD dst_unused:UNUSED_PAD src0_sel:WORD_0
	v_cvt_f32_u32_sdwa v17, v40 dst_sel:DWORD dst_unused:UNUSED_PAD src0_sel:WORD_1
	v_cvt_f32_u32_sdwa v16, v40 dst_sel:DWORD dst_unused:UNUSED_PAD src0_sel:WORD_0
	;; [unrolled: 2-line block ×3, first 2 shown]
	v_pk_mul_f32 v[40:41], v[34:35], v[34:35]
	v_add_f32_e32 v59, v38, v39
	v_add_f32_e32 v40, v40, v59
	v_pk_mul_f32 v[42:43], v[32:33], v[32:33]
	v_add_f32_e32 v59, v41, v40
	v_add_f32_e32 v42, v42, v59
	;; [unrolled: 3-line block ×11, first 2 shown]
	v_add_f32_e32 v38, v41, v38
	s_nop 1
	v_mov_b32_dpp v39, v38 quad_perm:[1,0,3,2] row_mask:0xf bank_mask:0xf
	v_add_f32_e32 v38, v38, v39
	s_nop 1
	v_mov_b32_dpp v39, v38 quad_perm:[2,3,0,1] row_mask:0xf bank_mask:0xf
	v_add_f32_e32 v38, v38, v39
	s_nop 1
	v_mov_b32_dpp v39, v38 row_half_mirror row_mask:0xf bank_mask:0xf
	v_add_f32_e32 v38, v38, v39
	s_nop 1
	v_mov_b32_dpp v39, v38 row_mirror row_mask:0xf bank_mask:0xf
	v_add_f32_e32 v38, v38, v39
	s_nop 1
	v_mov_b32_dpp v39, v38 row_bcast:15 row_mask:0xf bank_mask:0xf
	v_add_f32_e32 v38, v38, v39
	s_nop 1
	v_mov_b32_dpp v39, v38 row_bcast:31 row_mask:0xf bank_mask:0xf
	s_and_saveexec_b64 s[0:1], vcc
	s_cbranch_execz .LBB156_3
; %bb.2:
	v_lshrrev_b32_e32 v40, 4, v0
	v_and_b32_e32 v40, 60, v40
	v_add_f32_e32 v38, v38, v39
	ds_write_b32 v40, v38
.LBB156_3:
	s_or_b64 exec, exec, s[0:1]
	v_and_b32_e32 v0, 3, v0
	v_lshlrev_b32_e32 v0, 2, v0
	s_waitcnt lgkmcnt(0)
	s_barrier
	ds_read_b32 v0, v0
	s_load_dword s7, s[4:5], 0x4c
	s_load_dwordx2 s[0:1], s[4:5], 0x0
	s_waitcnt lgkmcnt(0)
	v_mov_b32_dpp v38, v0 quad_perm:[1,0,3,2] row_mask:0xf bank_mask:0xf
	v_add_f32_e32 v0, v0, v38
	v_cvt_f32_i32_e32 v38, s13
	s_ashr_i32 s8, s7, 31
	v_mov_b32_dpp v39, v0 quad_perm:[2,3,0,1] row_mask:0xf bank_mask:0xf
	v_add_f32_e32 v0, v0, v39
	v_div_scale_f32 v39, s[4:5], v38, v38, v0
	v_rcp_f32_e32 v40, v39
	s_mul_hi_u32 s9, s7, s6
	s_mul_i32 s8, s8, s6
	s_mul_i32 s4, s7, s6
	v_fma_f32 v41, -v39, v40, 1.0
	v_fmac_f32_e32 v40, v41, v40
	v_div_scale_f32 v41, vcc, v0, v38, v0
	v_mul_f32_e32 v42, v41, v40
	v_fma_f32 v43, -v39, v42, v41
	v_fmac_f32_e32 v42, v43, v40
	v_fma_f32 v39, -v39, v42, v41
	v_div_fmas_f32 v39, v39, v40, v42
	v_div_fixup_f32 v0, v39, v38, v0
	v_cvt_f64_f32_e32 v[38:39], v0
	v_add_f64 v[38:39], v[38:39], s[10:11]
	v_cvt_f32_f64_e32 v0, v[38:39]
	s_mov_b32 s6, 0x800000
	v_mul_f32_e32 v38, 0x4b800000, v0
	v_cmp_gt_f32_e32 vcc, s6, v0
	v_cndmask_b32_e32 v0, v0, v38, vcc
	v_rsq_f32_e32 v0, v0
	s_add_i32 s5, s9, s8
	s_lshl_b64 s[4:5], s[4:5], 1
	s_waitcnt vmcnt(2)
	v_cvt_f32_u32_sdwa v41, v11 dst_sel:DWORD dst_unused:UNUSED_PAD src0_sel:WORD_1
	v_mul_f32_e32 v38, 0x45800000, v0
	v_cndmask_b32_e32 v38, v0, v38, vcc
	v_mov_b32_e32 v39, v38
	;;#ASMSTART
	v_pk_mul_f32 v[36:37], v[36:37], v[38:39]
	;;#ASMEND
	;;#ASMSTART
	v_pk_mul_f32 v[34:35], v[34:35], v[38:39]
	;;#ASMEND
	;; [unrolled: 3-line block ×12, first 2 shown]
	v_cvt_f32_u32_sdwa v39, v10 dst_sel:DWORD dst_unused:UNUSED_PAD src0_sel:WORD_1
	v_cvt_f32_u32_sdwa v38, v10 dst_sel:DWORD dst_unused:UNUSED_PAD src0_sel:WORD_0
	v_cvt_f32_u32_sdwa v40, v11 dst_sel:DWORD dst_unused:UNUSED_PAD src0_sel:WORD_0
	v_cvt_f32_u32_sdwa v11, v12 dst_sel:DWORD dst_unused:UNUSED_PAD src0_sel:WORD_1
	v_cvt_f32_u32_sdwa v10, v12 dst_sel:DWORD dst_unused:UNUSED_PAD src0_sel:WORD_0
	s_add_u32 s0, s0, s4
	v_cvt_f32_u32_sdwa v43, v13 dst_sel:DWORD dst_unused:UNUSED_PAD src0_sel:WORD_1
	v_cvt_f32_u32_sdwa v42, v13 dst_sel:DWORD dst_unused:UNUSED_PAD src0_sel:WORD_0
	;;#ASMSTART
	v_pk_mul_f32 v[12:13], v[36:37], v[38:39]
	;;#ASMEND
	;;#ASMSTART
	v_pk_mul_f32 v[34:35], v[34:35], v[40:41]
	;;#ASMEND
	;; [unrolled: 3-line block ×3, first 2 shown]
	s_waitcnt vmcnt(1)
	v_cvt_f32_u32_sdwa v33, v6 dst_sel:DWORD dst_unused:UNUSED_PAD src0_sel:WORD_1
	v_cvt_f32_u32_sdwa v32, v6 dst_sel:DWORD dst_unused:UNUSED_PAD src0_sel:WORD_0
	v_cvt_f32_u32_sdwa v37, v7 dst_sel:DWORD dst_unused:UNUSED_PAD src0_sel:WORD_1
	v_cvt_f32_u32_sdwa v36, v7 dst_sel:DWORD dst_unused:UNUSED_PAD src0_sel:WORD_0
	;; [unrolled: 2-line block ×3, first 2 shown]
	s_addc_u32 s1, s1, s5
	;;#ASMSTART
	v_pk_mul_f32 v[30:31], v[30:31], v[42:43]
	;;#ASMEND
	v_cvt_f32_u32_sdwa v39, v9 dst_sel:DWORD dst_unused:UNUSED_PAD src0_sel:WORD_1
	v_cvt_f32_u32_sdwa v38, v9 dst_sel:DWORD dst_unused:UNUSED_PAD src0_sel:WORD_0
	;;#ASMSTART
	v_pk_mul_f32 v[8:9], v[28:29], v[32:33]
	;;#ASMEND
	;;#ASMSTART
	v_pk_mul_f32 v[26:27], v[26:27], v[36:37]
	;;#ASMEND
	;; [unrolled: 3-line block ×3, first 2 shown]
	s_waitcnt vmcnt(0)
	v_cvt_f32_u32_sdwa v25, v2 dst_sel:DWORD dst_unused:UNUSED_PAD src0_sel:WORD_1
	v_cvt_f32_u32_sdwa v24, v2 dst_sel:DWORD dst_unused:UNUSED_PAD src0_sel:WORD_0
	v_cvt_f32_u32_sdwa v29, v3 dst_sel:DWORD dst_unused:UNUSED_PAD src0_sel:WORD_1
	v_cvt_f32_u32_sdwa v28, v3 dst_sel:DWORD dst_unused:UNUSED_PAD src0_sel:WORD_0
	;; [unrolled: 2-line block ×3, first 2 shown]
	s_mov_b32 s4, 0x7060302
	;;#ASMSTART
	v_pk_mul_f32 v[22:23], v[22:23], v[38:39]
	;;#ASMEND
	v_cvt_f32_u32_sdwa v33, v5 dst_sel:DWORD dst_unused:UNUSED_PAD src0_sel:WORD_1
	v_cvt_f32_u32_sdwa v32, v5 dst_sel:DWORD dst_unused:UNUSED_PAD src0_sel:WORD_0
	;;#ASMSTART
	v_pk_mul_f32 v[20:21], v[20:21], v[24:25]
	;;#ASMEND
	;;#ASMSTART
	v_pk_mul_f32 v[18:19], v[18:19], v[28:29]
	;;#ASMEND
	;; [unrolled: 3-line block ×3, first 2 shown]
	s_and_b32 s1, s1, 0xffff
	v_perm_b32 v2, v13, v12, s4
	v_perm_b32 v3, v35, v34, s4
	;; [unrolled: 1-line block ×4, first 2 shown]
	;;#ASMSTART
	v_pk_mul_f32 v[14:15], v[14:15], v[32:33]
	;;#ASMEND
	buffer_store_dwordx4 v[2:5], v1, s[0:3], 0 offen
	;;#ASMSTART
	s_nop 0
	;;#ASMEND
	s_nop 0
	v_perm_b32 v2, v9, v8, s4
	v_perm_b32 v3, v27, v26, s4
	;; [unrolled: 1-line block ×4, first 2 shown]
	buffer_store_dwordx4 v[2:5], v1, s[0:3], 16 offen
	;;#ASMSTART
	s_nop 0
	;;#ASMEND
	s_nop 0
	v_perm_b32 v2, v21, v20, s4
	v_perm_b32 v3, v19, v18, s4
	;; [unrolled: 1-line block ×4, first 2 shown]
	buffer_store_dwordx4 v[2:5], v1, s[0:3], 32 offen
	;;#ASMSTART
	s_nop 0
	;;#ASMEND
.LBB156_4:
	s_endpgm
	.section	.rodata,"a",@progbits
	.p2align	6, 0x0
	.amdhsa_kernel _ZN5aiter24add_rmsnorm_quant_kernelIttLi256ELi24ELb0ELb0ELb0ELi1EEEvPT0_PT_PfS4_S4_S4_diiiiiiib
		.amdhsa_group_segment_fixed_size 16
		.amdhsa_private_segment_fixed_size 0
		.amdhsa_kernarg_size 88
		.amdhsa_user_sgpr_count 6
		.amdhsa_user_sgpr_private_segment_buffer 1
		.amdhsa_user_sgpr_dispatch_ptr 0
		.amdhsa_user_sgpr_queue_ptr 0
		.amdhsa_user_sgpr_kernarg_segment_ptr 1
		.amdhsa_user_sgpr_dispatch_id 0
		.amdhsa_user_sgpr_flat_scratch_init 0
		.amdhsa_user_sgpr_kernarg_preload_length 0
		.amdhsa_user_sgpr_kernarg_preload_offset 0
		.amdhsa_user_sgpr_private_segment_size 0
		.amdhsa_uses_dynamic_stack 0
		.amdhsa_system_sgpr_private_segment_wavefront_offset 0
		.amdhsa_system_sgpr_workgroup_id_x 1
		.amdhsa_system_sgpr_workgroup_id_y 0
		.amdhsa_system_sgpr_workgroup_id_z 0
		.amdhsa_system_sgpr_workgroup_info 0
		.amdhsa_system_vgpr_workitem_id 0
		.amdhsa_next_free_vgpr 60
		.amdhsa_next_free_sgpr 20
		.amdhsa_accum_offset 60
		.amdhsa_reserve_vcc 1
		.amdhsa_reserve_flat_scratch 0
		.amdhsa_float_round_mode_32 0
		.amdhsa_float_round_mode_16_64 0
		.amdhsa_float_denorm_mode_32 3
		.amdhsa_float_denorm_mode_16_64 3
		.amdhsa_dx10_clamp 1
		.amdhsa_ieee_mode 1
		.amdhsa_fp16_overflow 0
		.amdhsa_tg_split 0
		.amdhsa_exception_fp_ieee_invalid_op 0
		.amdhsa_exception_fp_denorm_src 0
		.amdhsa_exception_fp_ieee_div_zero 0
		.amdhsa_exception_fp_ieee_overflow 0
		.amdhsa_exception_fp_ieee_underflow 0
		.amdhsa_exception_fp_ieee_inexact 0
		.amdhsa_exception_int_div_zero 0
	.end_amdhsa_kernel
	.section	.text._ZN5aiter24add_rmsnorm_quant_kernelIttLi256ELi24ELb0ELb0ELb0ELi1EEEvPT0_PT_PfS4_S4_S4_diiiiiiib,"axG",@progbits,_ZN5aiter24add_rmsnorm_quant_kernelIttLi256ELi24ELb0ELb0ELb0ELi1EEEvPT0_PT_PfS4_S4_S4_diiiiiiib,comdat
.Lfunc_end156:
	.size	_ZN5aiter24add_rmsnorm_quant_kernelIttLi256ELi24ELb0ELb0ELb0ELi1EEEvPT0_PT_PfS4_S4_S4_diiiiiiib, .Lfunc_end156-_ZN5aiter24add_rmsnorm_quant_kernelIttLi256ELi24ELb0ELb0ELb0ELi1EEEvPT0_PT_PfS4_S4_S4_diiiiiiib
                                        ; -- End function
	.section	.AMDGPU.csdata,"",@progbits
; Kernel info:
; codeLenInByte = 1524
; NumSgprs: 24
; NumVgprs: 60
; NumAgprs: 0
; TotalNumVgprs: 60
; ScratchSize: 0
; MemoryBound: 0
; FloatMode: 240
; IeeeMode: 1
; LDSByteSize: 16 bytes/workgroup (compile time only)
; SGPRBlocks: 2
; VGPRBlocks: 7
; NumSGPRsForWavesPerEU: 24
; NumVGPRsForWavesPerEU: 60
; AccumOffset: 60
; Occupancy: 8
; WaveLimiterHint : 1
; COMPUTE_PGM_RSRC2:SCRATCH_EN: 0
; COMPUTE_PGM_RSRC2:USER_SGPR: 6
; COMPUTE_PGM_RSRC2:TRAP_HANDLER: 0
; COMPUTE_PGM_RSRC2:TGID_X_EN: 1
; COMPUTE_PGM_RSRC2:TGID_Y_EN: 0
; COMPUTE_PGM_RSRC2:TGID_Z_EN: 0
; COMPUTE_PGM_RSRC2:TIDIG_COMP_CNT: 0
; COMPUTE_PGM_RSRC3_GFX90A:ACCUM_OFFSET: 14
; COMPUTE_PGM_RSRC3_GFX90A:TG_SPLIT: 0
	.section	.text._ZN5aiter24add_rmsnorm_quant_kernelIDF16_DF16_Li256ELi32ELb0ELb0ELb1ELi1EEEvPT0_PT_PfS4_S4_S4_diiiiiiib,"axG",@progbits,_ZN5aiter24add_rmsnorm_quant_kernelIDF16_DF16_Li256ELi32ELb0ELb0ELb1ELi1EEEvPT0_PT_PfS4_S4_S4_diiiiiiib,comdat
	.protected	_ZN5aiter24add_rmsnorm_quant_kernelIDF16_DF16_Li256ELi32ELb0ELb0ELb1ELi1EEEvPT0_PT_PfS4_S4_S4_diiiiiiib ; -- Begin function _ZN5aiter24add_rmsnorm_quant_kernelIDF16_DF16_Li256ELi32ELb0ELb0ELb1ELi1EEEvPT0_PT_PfS4_S4_S4_diiiiiiib
	.globl	_ZN5aiter24add_rmsnorm_quant_kernelIDF16_DF16_Li256ELi32ELb0ELb0ELb1ELi1EEEvPT0_PT_PfS4_S4_S4_diiiiiiib
	.p2align	8
	.type	_ZN5aiter24add_rmsnorm_quant_kernelIDF16_DF16_Li256ELi32ELb0ELb0ELb1ELi1EEEvPT0_PT_PfS4_S4_S4_diiiiiiib,@function
_ZN5aiter24add_rmsnorm_quant_kernelIDF16_DF16_Li256ELi32ELb0ELb0ELb1ELi1EEEvPT0_PT_PfS4_S4_S4_diiiiiiib: ; @_ZN5aiter24add_rmsnorm_quant_kernelIDF16_DF16_Li256ELi32ELb0ELb0ELb1ELi1EEEvPT0_PT_PfS4_S4_S4_diiiiiiib
; %bb.0:
	s_load_dwordx4 s[12:15], s[4:5], 0x38
	s_mov_b32 s7, 0
	s_waitcnt lgkmcnt(0)
	s_ashr_i32 s0, s12, 31
	v_mov_b32_e32 v2, s12
	v_mov_b32_e32 v3, s0
	v_cmp_ge_i64_e32 vcc, s[6:7], v[2:3]
	s_cbranch_vccnz .LBB157_4
; %bb.1:
	s_load_dwordx2 s[0:1], s[4:5], 0x18
	s_load_dwordx4 s[8:11], s[4:5], 0x28
	s_ashr_i32 s2, s14, 31
	s_mul_hi_u32 s3, s14, s6
	s_mul_i32 s2, s2, s6
	s_add_i32 s3, s3, s2
	s_mul_i32 s2, s14, s6
	s_lshl_b64 s[2:3], s[2:3], 1
	s_waitcnt lgkmcnt(0)
	s_add_u32 s0, s0, s2
	s_addc_u32 s1, s1, s3
	s_add_i32 s2, s13, 1
	s_lshr_b32 s3, s2, 31
	s_add_i32 s2, s2, s3
	v_lshlrev_b32_e32 v2, 6, v0
	s_lshl_b32 s2, s2, 1
	v_lshlrev_b32_e32 v1, 4, v0
	v_and_b32_e32 v2, 0xf000, v2
	s_movk_i32 s7, 0x3f0
	s_and_b32 s2, s2, -4
	s_and_b32 s1, s1, 0xffff
	s_mov_b32 s3, 0x20000
	v_and_or_b32 v1, v1, s7, v2
	buffer_load_dwordx4 v[30:33], v1, s[0:3], 0 offen glc slc
	s_movk_i32 s14, 0x400
	s_movk_i32 s12, 0x800
	;; [unrolled: 1-line block ×3, first 2 shown]
	buffer_load_dwordx4 v[18:21], v1, s[0:3], s7 offen glc slc
	buffer_load_dwordx4 v[26:29], v1, s[0:3], s14 offen glc slc
	;; [unrolled: 1-line block ×3, first 2 shown]
	s_mov_b32 s19, s3
	s_mov_b32 s16, s8
	s_and_b32 s17, s9, 0xffff
	s_mov_b32 s18, s2
	buffer_load_dwordx4 v[14:17], v1, s[16:19], 0 offen
	buffer_load_dwordx4 v[10:13], v1, s[16:19], s14 offen
	;; [unrolled: 1-line block ×4, first 2 shown]
	v_and_b32_e32 v58, 63, v0
	v_cmp_eq_u32_e32 vcc, 63, v58
	s_waitcnt vmcnt(7)
	v_cvt_f32_f16_e32 v50, v30
	v_cvt_f32_f16_sdwa v51, v30 dst_sel:DWORD dst_unused:UNUSED_PAD src0_sel:WORD_1
	v_cvt_f32_f16_e32 v48, v31
	v_cvt_f32_f16_sdwa v49, v31 dst_sel:DWORD dst_unused:UNUSED_PAD src0_sel:WORD_1
	v_cvt_f32_f16_e32 v46, v32
	v_cvt_f32_f16_sdwa v47, v32 dst_sel:DWORD dst_unused:UNUSED_PAD src0_sel:WORD_1
	v_cvt_f32_f16_e32 v44, v33
	v_cvt_f32_f16_sdwa v45, v33 dst_sel:DWORD dst_unused:UNUSED_PAD src0_sel:WORD_1
	s_waitcnt vmcnt(5)
	v_cvt_f32_f16_e32 v42, v26
	v_cvt_f32_f16_sdwa v43, v26 dst_sel:DWORD dst_unused:UNUSED_PAD src0_sel:WORD_1
	v_cvt_f32_f16_e32 v40, v27
	v_cvt_f32_f16_sdwa v41, v27 dst_sel:DWORD dst_unused:UNUSED_PAD src0_sel:WORD_1
	v_cvt_f32_f16_e32 v38, v28
	v_cvt_f32_f16_sdwa v39, v28 dst_sel:DWORD dst_unused:UNUSED_PAD src0_sel:WORD_1
	v_cvt_f32_f16_e32 v36, v29
	v_cvt_f32_f16_sdwa v37, v29 dst_sel:DWORD dst_unused:UNUSED_PAD src0_sel:WORD_1
	;; [unrolled: 9-line block ×3, first 2 shown]
	v_cvt_f32_f16_e32 v26, v18
	v_cvt_f32_f16_sdwa v27, v18 dst_sel:DWORD dst_unused:UNUSED_PAD src0_sel:WORD_1
	v_cvt_f32_f16_e32 v24, v19
	v_cvt_f32_f16_sdwa v25, v19 dst_sel:DWORD dst_unused:UNUSED_PAD src0_sel:WORD_1
	;; [unrolled: 2-line block ×4, first 2 shown]
	v_pk_mul_f32 v[20:21], v[50:51], v[50:51]
	v_pk_mul_f32 v[52:53], v[48:49], v[48:49]
	v_add_f32_e32 v59, v20, v21
	v_add_f32_e32 v52, v52, v59
	v_pk_mul_f32 v[54:55], v[46:47], v[46:47]
	v_add_f32_e32 v59, v53, v52
	v_add_f32_e32 v54, v54, v59
	v_pk_mul_f32 v[56:57], v[44:45], v[44:45]
	v_add_f32_e32 v59, v55, v54
	v_add_f32_e32 v56, v56, v59
	v_pk_mul_f32 v[20:21], v[42:43], v[42:43]
	v_add_f32_e32 v59, v57, v56
	v_add_f32_e32 v20, v20, v59
	v_pk_mul_f32 v[52:53], v[40:41], v[40:41]
	v_add_f32_e32 v59, v21, v20
	v_add_f32_e32 v52, v52, v59
	v_pk_mul_f32 v[54:55], v[38:39], v[38:39]
	v_add_f32_e32 v59, v53, v52
	v_add_f32_e32 v54, v54, v59
	v_pk_mul_f32 v[56:57], v[36:37], v[36:37]
	v_add_f32_e32 v59, v55, v54
	v_add_f32_e32 v56, v56, v59
	v_pk_mul_f32 v[20:21], v[34:35], v[34:35]
	v_add_f32_e32 v59, v57, v56
	v_add_f32_e32 v20, v20, v59
	v_pk_mul_f32 v[52:53], v[32:33], v[32:33]
	v_add_f32_e32 v59, v21, v20
	v_add_f32_e32 v52, v52, v59
	v_pk_mul_f32 v[54:55], v[30:31], v[30:31]
	v_add_f32_e32 v59, v53, v52
	v_add_f32_e32 v54, v54, v59
	v_pk_mul_f32 v[56:57], v[28:29], v[28:29]
	v_add_f32_e32 v59, v55, v54
	v_add_f32_e32 v56, v56, v59
	v_pk_mul_f32 v[20:21], v[26:27], v[26:27]
	v_add_f32_e32 v59, v57, v56
	v_add_f32_e32 v20, v20, v59
	v_pk_mul_f32 v[52:53], v[24:25], v[24:25]
	v_add_f32_e32 v20, v21, v20
	v_add_f32_e32 v20, v52, v20
	v_pk_mul_f32 v[54:55], v[22:23], v[22:23]
	v_add_f32_e32 v20, v53, v20
	v_add_f32_e32 v20, v54, v20
	v_pk_mul_f32 v[56:57], v[18:19], v[18:19]
	v_add_f32_e32 v20, v55, v20
	v_add_f32_e32 v20, v56, v20
	v_add_f32_e32 v20, v57, v20
	s_nop 1
	v_mov_b32_dpp v21, v20 quad_perm:[1,0,3,2] row_mask:0xf bank_mask:0xf
	v_add_f32_e32 v20, v20, v21
	s_nop 1
	v_mov_b32_dpp v21, v20 quad_perm:[2,3,0,1] row_mask:0xf bank_mask:0xf
	v_add_f32_e32 v20, v20, v21
	s_nop 1
	v_mov_b32_dpp v21, v20 row_half_mirror row_mask:0xf bank_mask:0xf
	v_add_f32_e32 v20, v20, v21
	s_nop 1
	v_mov_b32_dpp v21, v20 row_mirror row_mask:0xf bank_mask:0xf
	v_add_f32_e32 v20, v20, v21
	s_nop 1
	v_mov_b32_dpp v21, v20 row_bcast:15 row_mask:0xf bank_mask:0xf
	v_add_f32_e32 v20, v20, v21
	s_nop 1
	v_mov_b32_dpp v21, v20 row_bcast:31 row_mask:0xf bank_mask:0xf
	s_and_saveexec_b64 s[0:1], vcc
	s_cbranch_execz .LBB157_3
; %bb.2:
	v_lshrrev_b32_e32 v52, 4, v0
	v_and_b32_e32 v52, 60, v52
	v_add_f32_e32 v20, v20, v21
	ds_write_b32 v52, v20
.LBB157_3:
	s_or_b64 exec, exec, s[0:1]
	v_and_b32_e32 v0, 3, v0
	v_lshlrev_b32_e32 v0, 2, v0
	s_waitcnt lgkmcnt(0)
	s_barrier
	ds_read_b32 v0, v0
	s_load_dword s8, s[4:5], 0x4c
	s_load_dwordx2 s[0:1], s[4:5], 0x0
	s_waitcnt lgkmcnt(0)
	v_mov_b32_dpp v20, v0 quad_perm:[1,0,3,2] row_mask:0xf bank_mask:0xf
	v_add_f32_e32 v0, v0, v20
	v_cvt_f32_i32_e32 v20, s13
	s_ashr_i32 s9, s8, 31
	v_mov_b32_dpp v21, v0 quad_perm:[2,3,0,1] row_mask:0xf bank_mask:0xf
	v_add_f32_e32 v0, v0, v21
	v_div_scale_f32 v21, s[4:5], v20, v20, v0
	v_rcp_f32_e32 v52, v21
	s_mul_hi_u32 s15, s8, s6
	s_mul_i32 s9, s9, s6
	s_mul_i32 s4, s8, s6
	v_fma_f32 v53, -v21, v52, 1.0
	v_fmac_f32_e32 v52, v53, v52
	v_div_scale_f32 v53, vcc, v0, v20, v0
	v_mul_f32_e32 v54, v53, v52
	v_fma_f32 v55, -v21, v54, v53
	v_fmac_f32_e32 v54, v55, v52
	v_fma_f32 v21, -v21, v54, v53
	v_div_fmas_f32 v21, v21, v52, v54
	v_div_fixup_f32 v0, v21, v20, v0
	v_cvt_f64_f32_e32 v[20:21], v0
	v_add_f64 v[20:21], v[20:21], s[10:11]
	v_cvt_f32_f64_e32 v0, v[20:21]
	s_mov_b32 s6, 0x800000
	v_mul_f32_e32 v20, 0x4b800000, v0
	v_cmp_gt_f32_e32 vcc, s6, v0
	v_cndmask_b32_e32 v0, v0, v20, vcc
	v_rsq_f32_e32 v0, v0
	s_waitcnt vmcnt(3)
	v_cvt_f32_f16_sdwa v53, v15 dst_sel:DWORD dst_unused:UNUSED_PAD src0_sel:WORD_1
	v_cvt_f32_f16_e32 v52, v15
	v_cvt_f32_f16_sdwa v15, v16 dst_sel:DWORD dst_unused:UNUSED_PAD src0_sel:WORD_1
	v_mul_f32_e32 v20, 0x45800000, v0
	v_cndmask_b32_e32 v20, v0, v20, vcc
	v_mov_b32_e32 v21, v20
	;;#ASMSTART
	v_pk_mul_f32 v[50:51], v[50:51], v[20:21]
	;;#ASMEND
	;;#ASMSTART
	v_pk_mul_f32 v[48:49], v[48:49], v[20:21]
	;;#ASMEND
	;; [unrolled: 3-line block ×16, first 2 shown]
	v_cvt_f32_f16_sdwa v21, v14 dst_sel:DWORD dst_unused:UNUSED_PAD src0_sel:WORD_1
	v_cvt_f32_f16_e32 v20, v14
	v_cvt_f32_f16_e32 v14, v16
	v_cvt_f32_f16_sdwa v55, v17 dst_sel:DWORD dst_unused:UNUSED_PAD src0_sel:WORD_1
	v_cvt_f32_f16_e32 v54, v17
	;;#ASMSTART
	v_pk_mul_f32 v[16:17], v[50:51], v[20:21]
	;;#ASMEND
	;;#ASMSTART
	v_pk_mul_f32 v[20:21], v[48:49], v[52:53]
	;;#ASMEND
	;; [unrolled: 3-line block ×3, first 2 shown]
	s_waitcnt vmcnt(2)
	v_cvt_f32_f16_sdwa v47, v10 dst_sel:DWORD dst_unused:UNUSED_PAD src0_sel:WORD_1
	v_cvt_f32_f16_e32 v46, v10
	v_cvt_f32_f16_sdwa v49, v11 dst_sel:DWORD dst_unused:UNUSED_PAD src0_sel:WORD_1
	v_cvt_f32_f16_e32 v48, v11
	;; [unrolled: 2-line block ×3, first 2 shown]
	;;#ASMSTART
	v_pk_mul_f32 v[44:45], v[44:45], v[54:55]
	;;#ASMEND
	v_cvt_f32_f16_sdwa v51, v13 dst_sel:DWORD dst_unused:UNUSED_PAD src0_sel:WORD_1
	v_cvt_f32_f16_e32 v50, v13
	;;#ASMSTART
	v_pk_mul_f32 v[12:13], v[42:43], v[46:47]
	;;#ASMEND
	;;#ASMSTART
	v_pk_mul_f32 v[40:41], v[40:41], v[48:49]
	;;#ASMEND
	;; [unrolled: 3-line block ×3, first 2 shown]
	s_waitcnt vmcnt(1)
	v_cvt_f32_f16_sdwa v39, v6 dst_sel:DWORD dst_unused:UNUSED_PAD src0_sel:WORD_1
	v_cvt_f32_f16_e32 v38, v6
	v_cvt_f32_f16_sdwa v43, v7 dst_sel:DWORD dst_unused:UNUSED_PAD src0_sel:WORD_1
	v_cvt_f32_f16_e32 v42, v7
	;; [unrolled: 2-line block ×3, first 2 shown]
	;;#ASMSTART
	v_pk_mul_f32 v[36:37], v[36:37], v[50:51]
	;;#ASMEND
	v_cvt_f32_f16_sdwa v47, v9 dst_sel:DWORD dst_unused:UNUSED_PAD src0_sel:WORD_1
	v_cvt_f32_f16_e32 v46, v9
	;;#ASMSTART
	v_pk_mul_f32 v[8:9], v[34:35], v[38:39]
	;;#ASMEND
	;;#ASMSTART
	v_pk_mul_f32 v[32:33], v[32:33], v[42:43]
	;;#ASMEND
	;; [unrolled: 3-line block ×3, first 2 shown]
	s_waitcnt vmcnt(0)
	v_cvt_f32_f16_sdwa v31, v2 dst_sel:DWORD dst_unused:UNUSED_PAD src0_sel:WORD_1
	v_cvt_f32_f16_e32 v30, v2
	v_cvt_f32_f16_sdwa v35, v3 dst_sel:DWORD dst_unused:UNUSED_PAD src0_sel:WORD_1
	v_cvt_f32_f16_e32 v34, v3
	;; [unrolled: 2-line block ×3, first 2 shown]
	s_add_i32 s5, s15, s9
	;;#ASMSTART
	v_pk_mul_f32 v[28:29], v[28:29], v[46:47]
	;;#ASMEND
	v_cvt_f32_f16_sdwa v39, v5 dst_sel:DWORD dst_unused:UNUSED_PAD src0_sel:WORD_1
	v_cvt_f32_f16_e32 v38, v5
	;;#ASMSTART
	v_pk_mul_f32 v[26:27], v[26:27], v[30:31]
	;;#ASMEND
	;;#ASMSTART
	v_pk_mul_f32 v[24:25], v[24:25], v[34:35]
	;;#ASMEND
	;;#ASMSTART
	v_pk_mul_f32 v[22:23], v[22:23], v[2:3]
	;;#ASMEND
	v_cvt_f16_f32_e32 v0, v16
	v_cvt_f16_f32_e32 v2, v17
	v_cvt_f16_f32_e32 v3, v20
	v_cvt_f16_f32_e32 v4, v21
	v_cvt_f16_f32_e32 v5, v14
	v_cvt_f16_f32_e32 v14, v15
	v_cvt_f16_f32_e32 v15, v44
	v_cvt_f16_f32_e32 v16, v45
	s_lshl_b64 s[4:5], s[4:5], 1
	s_add_u32 s0, s0, s4
	s_addc_u32 s1, s1, s5
	s_and_b32 s1, s1, 0xffff
	v_pack_b32_f16 v2, v0, v2
	v_pack_b32_f16 v3, v3, v4
	v_pack_b32_f16 v4, v5, v14
	v_pack_b32_f16 v5, v15, v16
	;;#ASMSTART
	v_pk_mul_f32 v[18:19], v[18:19], v[38:39]
	;;#ASMEND
	buffer_store_dwordx4 v[2:5], v1, s[0:3], 0 offen
	v_cvt_f16_f32_e32 v0, v12
	v_cvt_f16_f32_e32 v2, v13
	v_cvt_f16_f32_e32 v3, v40
	v_cvt_f16_f32_e32 v4, v41
	v_cvt_f16_f32_e32 v5, v10
	v_cvt_f16_f32_e32 v10, v11
	v_cvt_f16_f32_e32 v11, v36
	v_cvt_f16_f32_e32 v12, v37
	v_pack_b32_f16 v2, v0, v2
	v_pack_b32_f16 v3, v3, v4
	v_pack_b32_f16 v4, v5, v10
	v_pack_b32_f16 v5, v11, v12
	;;#ASMSTART
	s_nop 0
	;;#ASMEND
	buffer_store_dwordx4 v[2:5], v1, s[0:3], s14 offen
	v_cvt_f16_f32_e32 v0, v8
	v_cvt_f16_f32_e32 v2, v9
	v_cvt_f16_f32_e32 v3, v32
	v_cvt_f16_f32_e32 v4, v33
	v_cvt_f16_f32_e32 v5, v6
	v_cvt_f16_f32_e32 v6, v7
	v_cvt_f16_f32_e32 v7, v28
	v_cvt_f16_f32_e32 v8, v29
	v_pack_b32_f16 v2, v0, v2
	v_pack_b32_f16 v3, v3, v4
	v_pack_b32_f16 v4, v5, v6
	v_pack_b32_f16 v5, v7, v8
	;;#ASMSTART
	s_nop 0
	;; [unrolled: 16-line block ×3, first 2 shown]
	;;#ASMEND
	buffer_store_dwordx4 v[2:5], v1, s[0:3], s7 offen
	;;#ASMSTART
	s_nop 0
	;;#ASMEND
.LBB157_4:
	s_endpgm
	.section	.rodata,"a",@progbits
	.p2align	6, 0x0
	.amdhsa_kernel _ZN5aiter24add_rmsnorm_quant_kernelIDF16_DF16_Li256ELi32ELb0ELb0ELb1ELi1EEEvPT0_PT_PfS4_S4_S4_diiiiiiib
		.amdhsa_group_segment_fixed_size 16
		.amdhsa_private_segment_fixed_size 0
		.amdhsa_kernarg_size 88
		.amdhsa_user_sgpr_count 6
		.amdhsa_user_sgpr_private_segment_buffer 1
		.amdhsa_user_sgpr_dispatch_ptr 0
		.amdhsa_user_sgpr_queue_ptr 0
		.amdhsa_user_sgpr_kernarg_segment_ptr 1
		.amdhsa_user_sgpr_dispatch_id 0
		.amdhsa_user_sgpr_flat_scratch_init 0
		.amdhsa_user_sgpr_kernarg_preload_length 0
		.amdhsa_user_sgpr_kernarg_preload_offset 0
		.amdhsa_user_sgpr_private_segment_size 0
		.amdhsa_uses_dynamic_stack 0
		.amdhsa_system_sgpr_private_segment_wavefront_offset 0
		.amdhsa_system_sgpr_workgroup_id_x 1
		.amdhsa_system_sgpr_workgroup_id_y 0
		.amdhsa_system_sgpr_workgroup_id_z 0
		.amdhsa_system_sgpr_workgroup_info 0
		.amdhsa_system_vgpr_workitem_id 0
		.amdhsa_next_free_vgpr 60
		.amdhsa_next_free_sgpr 20
		.amdhsa_accum_offset 60
		.amdhsa_reserve_vcc 1
		.amdhsa_reserve_flat_scratch 0
		.amdhsa_float_round_mode_32 0
		.amdhsa_float_round_mode_16_64 0
		.amdhsa_float_denorm_mode_32 3
		.amdhsa_float_denorm_mode_16_64 3
		.amdhsa_dx10_clamp 1
		.amdhsa_ieee_mode 1
		.amdhsa_fp16_overflow 0
		.amdhsa_tg_split 0
		.amdhsa_exception_fp_ieee_invalid_op 0
		.amdhsa_exception_fp_denorm_src 0
		.amdhsa_exception_fp_ieee_div_zero 0
		.amdhsa_exception_fp_ieee_overflow 0
		.amdhsa_exception_fp_ieee_underflow 0
		.amdhsa_exception_fp_ieee_inexact 0
		.amdhsa_exception_int_div_zero 0
	.end_amdhsa_kernel
	.section	.text._ZN5aiter24add_rmsnorm_quant_kernelIDF16_DF16_Li256ELi32ELb0ELb0ELb1ELi1EEEvPT0_PT_PfS4_S4_S4_diiiiiiib,"axG",@progbits,_ZN5aiter24add_rmsnorm_quant_kernelIDF16_DF16_Li256ELi32ELb0ELb0ELb1ELi1EEEvPT0_PT_PfS4_S4_S4_diiiiiiib,comdat
.Lfunc_end157:
	.size	_ZN5aiter24add_rmsnorm_quant_kernelIDF16_DF16_Li256ELi32ELb0ELb0ELb1ELi1EEEvPT0_PT_PfS4_S4_S4_diiiiiiib, .Lfunc_end157-_ZN5aiter24add_rmsnorm_quant_kernelIDF16_DF16_Li256ELi32ELb0ELb0ELb1ELi1EEEvPT0_PT_PfS4_S4_S4_diiiiiiib
                                        ; -- End function
	.section	.AMDGPU.csdata,"",@progbits
; Kernel info:
; codeLenInByte = 1868
; NumSgprs: 24
; NumVgprs: 60
; NumAgprs: 0
; TotalNumVgprs: 60
; ScratchSize: 0
; MemoryBound: 0
; FloatMode: 240
; IeeeMode: 1
; LDSByteSize: 16 bytes/workgroup (compile time only)
; SGPRBlocks: 2
; VGPRBlocks: 7
; NumSGPRsForWavesPerEU: 24
; NumVGPRsForWavesPerEU: 60
; AccumOffset: 60
; Occupancy: 8
; WaveLimiterHint : 1
; COMPUTE_PGM_RSRC2:SCRATCH_EN: 0
; COMPUTE_PGM_RSRC2:USER_SGPR: 6
; COMPUTE_PGM_RSRC2:TRAP_HANDLER: 0
; COMPUTE_PGM_RSRC2:TGID_X_EN: 1
; COMPUTE_PGM_RSRC2:TGID_Y_EN: 0
; COMPUTE_PGM_RSRC2:TGID_Z_EN: 0
; COMPUTE_PGM_RSRC2:TIDIG_COMP_CNT: 0
; COMPUTE_PGM_RSRC3_GFX90A:ACCUM_OFFSET: 14
; COMPUTE_PGM_RSRC3_GFX90A:TG_SPLIT: 0
	.section	.text._ZN5aiter24add_rmsnorm_quant_kernelIttLi256ELi32ELb0ELb0ELb1ELi1EEEvPT0_PT_PfS4_S4_S4_diiiiiiib,"axG",@progbits,_ZN5aiter24add_rmsnorm_quant_kernelIttLi256ELi32ELb0ELb0ELb1ELi1EEEvPT0_PT_PfS4_S4_S4_diiiiiiib,comdat
	.protected	_ZN5aiter24add_rmsnorm_quant_kernelIttLi256ELi32ELb0ELb0ELb1ELi1EEEvPT0_PT_PfS4_S4_S4_diiiiiiib ; -- Begin function _ZN5aiter24add_rmsnorm_quant_kernelIttLi256ELi32ELb0ELb0ELb1ELi1EEEvPT0_PT_PfS4_S4_S4_diiiiiiib
	.globl	_ZN5aiter24add_rmsnorm_quant_kernelIttLi256ELi32ELb0ELb0ELb1ELi1EEEvPT0_PT_PfS4_S4_S4_diiiiiiib
	.p2align	8
	.type	_ZN5aiter24add_rmsnorm_quant_kernelIttLi256ELi32ELb0ELb0ELb1ELi1EEEvPT0_PT_PfS4_S4_S4_diiiiiiib,@function
_ZN5aiter24add_rmsnorm_quant_kernelIttLi256ELi32ELb0ELb0ELb1ELi1EEEvPT0_PT_PfS4_S4_S4_diiiiiiib: ; @_ZN5aiter24add_rmsnorm_quant_kernelIttLi256ELi32ELb0ELb0ELb1ELi1EEEvPT0_PT_PfS4_S4_S4_diiiiiiib
; %bb.0:
	s_load_dwordx4 s[12:15], s[4:5], 0x38
	s_mov_b32 s7, 0
	s_waitcnt lgkmcnt(0)
	s_ashr_i32 s0, s12, 31
	v_mov_b32_e32 v2, s12
	v_mov_b32_e32 v3, s0
	v_cmp_ge_i64_e32 vcc, s[6:7], v[2:3]
	s_cbranch_vccnz .LBB158_4
; %bb.1:
	s_load_dwordx2 s[0:1], s[4:5], 0x18
	s_load_dwordx4 s[8:11], s[4:5], 0x28
	s_ashr_i32 s2, s14, 31
	s_mul_hi_u32 s3, s14, s6
	s_mul_i32 s2, s2, s6
	s_add_i32 s3, s3, s2
	s_mul_i32 s2, s14, s6
	s_lshl_b64 s[2:3], s[2:3], 1
	s_waitcnt lgkmcnt(0)
	s_add_u32 s0, s0, s2
	s_addc_u32 s1, s1, s3
	s_add_i32 s2, s13, 1
	s_lshr_b32 s3, s2, 31
	s_add_i32 s2, s2, s3
	v_lshlrev_b32_e32 v2, 6, v0
	s_lshl_b32 s2, s2, 1
	v_lshlrev_b32_e32 v1, 4, v0
	v_and_b32_e32 v2, 0xf000, v2
	s_movk_i32 s7, 0x3f0
	s_and_b32 s2, s2, -4
	s_and_b32 s1, s1, 0xffff
	s_mov_b32 s3, 0x20000
	v_and_or_b32 v1, v1, s7, v2
	buffer_load_dwordx4 v[30:33], v1, s[0:3], 0 offen glc slc
	s_movk_i32 s14, 0x400
	s_movk_i32 s12, 0x800
	;; [unrolled: 1-line block ×3, first 2 shown]
	buffer_load_dwordx4 v[18:21], v1, s[0:3], s7 offen glc slc
	buffer_load_dwordx4 v[26:29], v1, s[0:3], s14 offen glc slc
	;; [unrolled: 1-line block ×3, first 2 shown]
	s_mov_b32 s19, s3
	s_mov_b32 s16, s8
	s_and_b32 s17, s9, 0xffff
	s_mov_b32 s18, s2
	buffer_load_dwordx4 v[14:17], v1, s[16:19], 0 offen
	buffer_load_dwordx4 v[10:13], v1, s[16:19], s14 offen
	;; [unrolled: 1-line block ×4, first 2 shown]
	v_and_b32_e32 v58, 63, v0
	v_cmp_eq_u32_e32 vcc, 63, v58
	s_waitcnt vmcnt(7)
	v_cvt_f32_u32_sdwa v51, v30 dst_sel:DWORD dst_unused:UNUSED_PAD src0_sel:WORD_1
	v_cvt_f32_u32_sdwa v50, v30 dst_sel:DWORD dst_unused:UNUSED_PAD src0_sel:WORD_0
	v_cvt_f32_u32_sdwa v49, v31 dst_sel:DWORD dst_unused:UNUSED_PAD src0_sel:WORD_1
	v_cvt_f32_u32_sdwa v48, v31 dst_sel:DWORD dst_unused:UNUSED_PAD src0_sel:WORD_0
	v_cvt_f32_u32_sdwa v47, v32 dst_sel:DWORD dst_unused:UNUSED_PAD src0_sel:WORD_1
	v_cvt_f32_u32_sdwa v46, v32 dst_sel:DWORD dst_unused:UNUSED_PAD src0_sel:WORD_0
	v_cvt_f32_u32_sdwa v45, v33 dst_sel:DWORD dst_unused:UNUSED_PAD src0_sel:WORD_1
	v_cvt_f32_u32_sdwa v44, v33 dst_sel:DWORD dst_unused:UNUSED_PAD src0_sel:WORD_0
	s_waitcnt vmcnt(5)
	v_cvt_f32_u32_sdwa v43, v26 dst_sel:DWORD dst_unused:UNUSED_PAD src0_sel:WORD_1
	v_cvt_f32_u32_sdwa v42, v26 dst_sel:DWORD dst_unused:UNUSED_PAD src0_sel:WORD_0
	v_cvt_f32_u32_sdwa v41, v27 dst_sel:DWORD dst_unused:UNUSED_PAD src0_sel:WORD_1
	v_cvt_f32_u32_sdwa v40, v27 dst_sel:DWORD dst_unused:UNUSED_PAD src0_sel:WORD_0
	v_cvt_f32_u32_sdwa v39, v28 dst_sel:DWORD dst_unused:UNUSED_PAD src0_sel:WORD_1
	v_cvt_f32_u32_sdwa v38, v28 dst_sel:DWORD dst_unused:UNUSED_PAD src0_sel:WORD_0
	v_cvt_f32_u32_sdwa v37, v29 dst_sel:DWORD dst_unused:UNUSED_PAD src0_sel:WORD_1
	v_cvt_f32_u32_sdwa v36, v29 dst_sel:DWORD dst_unused:UNUSED_PAD src0_sel:WORD_0
	;; [unrolled: 9-line block ×3, first 2 shown]
	v_cvt_f32_u32_sdwa v27, v18 dst_sel:DWORD dst_unused:UNUSED_PAD src0_sel:WORD_1
	v_cvt_f32_u32_sdwa v26, v18 dst_sel:DWORD dst_unused:UNUSED_PAD src0_sel:WORD_0
	v_cvt_f32_u32_sdwa v25, v19 dst_sel:DWORD dst_unused:UNUSED_PAD src0_sel:WORD_1
	v_cvt_f32_u32_sdwa v24, v19 dst_sel:DWORD dst_unused:UNUSED_PAD src0_sel:WORD_0
	;; [unrolled: 2-line block ×4, first 2 shown]
	v_pk_mul_f32 v[20:21], v[50:51], v[50:51]
	v_pk_mul_f32 v[52:53], v[48:49], v[48:49]
	v_add_f32_e32 v59, v20, v21
	v_add_f32_e32 v52, v52, v59
	v_pk_mul_f32 v[54:55], v[46:47], v[46:47]
	v_add_f32_e32 v59, v53, v52
	v_add_f32_e32 v54, v54, v59
	v_pk_mul_f32 v[56:57], v[44:45], v[44:45]
	v_add_f32_e32 v59, v55, v54
	v_add_f32_e32 v56, v56, v59
	v_pk_mul_f32 v[20:21], v[42:43], v[42:43]
	v_add_f32_e32 v59, v57, v56
	v_add_f32_e32 v20, v20, v59
	v_pk_mul_f32 v[52:53], v[40:41], v[40:41]
	v_add_f32_e32 v59, v21, v20
	v_add_f32_e32 v52, v52, v59
	v_pk_mul_f32 v[54:55], v[38:39], v[38:39]
	v_add_f32_e32 v59, v53, v52
	v_add_f32_e32 v54, v54, v59
	v_pk_mul_f32 v[56:57], v[36:37], v[36:37]
	v_add_f32_e32 v59, v55, v54
	v_add_f32_e32 v56, v56, v59
	v_pk_mul_f32 v[20:21], v[34:35], v[34:35]
	v_add_f32_e32 v59, v57, v56
	v_add_f32_e32 v20, v20, v59
	v_pk_mul_f32 v[52:53], v[32:33], v[32:33]
	v_add_f32_e32 v59, v21, v20
	v_add_f32_e32 v52, v52, v59
	v_pk_mul_f32 v[54:55], v[30:31], v[30:31]
	v_add_f32_e32 v59, v53, v52
	v_add_f32_e32 v54, v54, v59
	v_pk_mul_f32 v[56:57], v[28:29], v[28:29]
	v_add_f32_e32 v59, v55, v54
	v_add_f32_e32 v56, v56, v59
	v_pk_mul_f32 v[20:21], v[26:27], v[26:27]
	v_add_f32_e32 v59, v57, v56
	v_add_f32_e32 v20, v20, v59
	v_pk_mul_f32 v[52:53], v[24:25], v[24:25]
	v_add_f32_e32 v20, v21, v20
	v_add_f32_e32 v20, v52, v20
	v_pk_mul_f32 v[54:55], v[22:23], v[22:23]
	v_add_f32_e32 v20, v53, v20
	v_add_f32_e32 v20, v54, v20
	v_pk_mul_f32 v[56:57], v[18:19], v[18:19]
	v_add_f32_e32 v20, v55, v20
	v_add_f32_e32 v20, v56, v20
	v_add_f32_e32 v20, v57, v20
	s_nop 1
	v_mov_b32_dpp v21, v20 quad_perm:[1,0,3,2] row_mask:0xf bank_mask:0xf
	v_add_f32_e32 v20, v20, v21
	s_nop 1
	v_mov_b32_dpp v21, v20 quad_perm:[2,3,0,1] row_mask:0xf bank_mask:0xf
	v_add_f32_e32 v20, v20, v21
	s_nop 1
	v_mov_b32_dpp v21, v20 row_half_mirror row_mask:0xf bank_mask:0xf
	v_add_f32_e32 v20, v20, v21
	s_nop 1
	v_mov_b32_dpp v21, v20 row_mirror row_mask:0xf bank_mask:0xf
	v_add_f32_e32 v20, v20, v21
	s_nop 1
	v_mov_b32_dpp v21, v20 row_bcast:15 row_mask:0xf bank_mask:0xf
	v_add_f32_e32 v20, v20, v21
	s_nop 1
	v_mov_b32_dpp v21, v20 row_bcast:31 row_mask:0xf bank_mask:0xf
	s_and_saveexec_b64 s[0:1], vcc
	s_cbranch_execz .LBB158_3
; %bb.2:
	v_lshrrev_b32_e32 v52, 4, v0
	v_and_b32_e32 v52, 60, v52
	v_add_f32_e32 v20, v20, v21
	ds_write_b32 v52, v20
.LBB158_3:
	s_or_b64 exec, exec, s[0:1]
	v_and_b32_e32 v0, 3, v0
	v_lshlrev_b32_e32 v0, 2, v0
	s_waitcnt lgkmcnt(0)
	s_barrier
	ds_read_b32 v0, v0
	s_load_dword s8, s[4:5], 0x4c
	s_load_dwordx2 s[0:1], s[4:5], 0x0
	s_waitcnt lgkmcnt(0)
	v_mov_b32_dpp v20, v0 quad_perm:[1,0,3,2] row_mask:0xf bank_mask:0xf
	v_add_f32_e32 v0, v0, v20
	v_cvt_f32_i32_e32 v20, s13
	s_ashr_i32 s9, s8, 31
	v_mov_b32_dpp v21, v0 quad_perm:[2,3,0,1] row_mask:0xf bank_mask:0xf
	v_add_f32_e32 v0, v0, v21
	v_div_scale_f32 v21, s[4:5], v20, v20, v0
	v_rcp_f32_e32 v52, v21
	s_mul_hi_u32 s15, s8, s6
	s_mul_i32 s9, s9, s6
	s_mul_i32 s4, s8, s6
	v_fma_f32 v53, -v21, v52, 1.0
	v_fmac_f32_e32 v52, v53, v52
	v_div_scale_f32 v53, vcc, v0, v20, v0
	v_mul_f32_e32 v54, v53, v52
	v_fma_f32 v55, -v21, v54, v53
	v_fmac_f32_e32 v54, v55, v52
	v_fma_f32 v21, -v21, v54, v53
	v_div_fmas_f32 v21, v21, v52, v54
	v_div_fixup_f32 v0, v21, v20, v0
	v_cvt_f64_f32_e32 v[20:21], v0
	v_add_f64 v[20:21], v[20:21], s[10:11]
	v_cvt_f32_f64_e32 v0, v[20:21]
	s_mov_b32 s6, 0x800000
	v_mul_f32_e32 v20, 0x4b800000, v0
	v_cmp_gt_f32_e32 vcc, s6, v0
	v_cndmask_b32_e32 v0, v0, v20, vcc
	v_rsq_f32_e32 v0, v0
	s_add_i32 s5, s15, s9
	s_waitcnt vmcnt(3)
	v_cvt_f32_u32_sdwa v53, v15 dst_sel:DWORD dst_unused:UNUSED_PAD src0_sel:WORD_1
	v_cvt_f32_u32_sdwa v52, v15 dst_sel:DWORD dst_unused:UNUSED_PAD src0_sel:WORD_0
	v_mul_f32_e32 v20, 0x45800000, v0
	v_cndmask_b32_e32 v20, v0, v20, vcc
	v_mov_b32_e32 v21, v20
	;;#ASMSTART
	v_pk_mul_f32 v[50:51], v[50:51], v[20:21]
	;;#ASMEND
	;;#ASMSTART
	v_pk_mul_f32 v[48:49], v[48:49], v[20:21]
	;;#ASMEND
	;; [unrolled: 3-line block ×16, first 2 shown]
	v_cvt_f32_u32_sdwa v21, v14 dst_sel:DWORD dst_unused:UNUSED_PAD src0_sel:WORD_1
	v_cvt_f32_u32_sdwa v20, v14 dst_sel:DWORD dst_unused:UNUSED_PAD src0_sel:WORD_0
	v_cvt_f32_u32_sdwa v15, v16 dst_sel:DWORD dst_unused:UNUSED_PAD src0_sel:WORD_1
	v_cvt_f32_u32_sdwa v14, v16 dst_sel:DWORD dst_unused:UNUSED_PAD src0_sel:WORD_0
	s_lshl_b64 s[4:5], s[4:5], 1
	v_cvt_f32_u32_sdwa v55, v17 dst_sel:DWORD dst_unused:UNUSED_PAD src0_sel:WORD_1
	v_cvt_f32_u32_sdwa v54, v17 dst_sel:DWORD dst_unused:UNUSED_PAD src0_sel:WORD_0
	;;#ASMSTART
	v_pk_mul_f32 v[16:17], v[50:51], v[20:21]
	;;#ASMEND
	;;#ASMSTART
	v_pk_mul_f32 v[20:21], v[48:49], v[52:53]
	;;#ASMEND
	;; [unrolled: 3-line block ×3, first 2 shown]
	s_waitcnt vmcnt(2)
	v_cvt_f32_u32_sdwa v47, v10 dst_sel:DWORD dst_unused:UNUSED_PAD src0_sel:WORD_1
	v_cvt_f32_u32_sdwa v46, v10 dst_sel:DWORD dst_unused:UNUSED_PAD src0_sel:WORD_0
	v_cvt_f32_u32_sdwa v49, v11 dst_sel:DWORD dst_unused:UNUSED_PAD src0_sel:WORD_1
	v_cvt_f32_u32_sdwa v48, v11 dst_sel:DWORD dst_unused:UNUSED_PAD src0_sel:WORD_0
	;; [unrolled: 2-line block ×3, first 2 shown]
	s_add_u32 s0, s0, s4
	;;#ASMSTART
	v_pk_mul_f32 v[44:45], v[44:45], v[54:55]
	;;#ASMEND
	v_cvt_f32_u32_sdwa v51, v13 dst_sel:DWORD dst_unused:UNUSED_PAD src0_sel:WORD_1
	v_cvt_f32_u32_sdwa v50, v13 dst_sel:DWORD dst_unused:UNUSED_PAD src0_sel:WORD_0
	;;#ASMSTART
	v_pk_mul_f32 v[12:13], v[42:43], v[46:47]
	;;#ASMEND
	;;#ASMSTART
	v_pk_mul_f32 v[40:41], v[40:41], v[48:49]
	;;#ASMEND
	;; [unrolled: 3-line block ×3, first 2 shown]
	s_waitcnt vmcnt(1)
	v_cvt_f32_u32_sdwa v39, v6 dst_sel:DWORD dst_unused:UNUSED_PAD src0_sel:WORD_1
	v_cvt_f32_u32_sdwa v38, v6 dst_sel:DWORD dst_unused:UNUSED_PAD src0_sel:WORD_0
	v_cvt_f32_u32_sdwa v43, v7 dst_sel:DWORD dst_unused:UNUSED_PAD src0_sel:WORD_1
	v_cvt_f32_u32_sdwa v42, v7 dst_sel:DWORD dst_unused:UNUSED_PAD src0_sel:WORD_0
	;; [unrolled: 2-line block ×3, first 2 shown]
	s_addc_u32 s1, s1, s5
	;;#ASMSTART
	v_pk_mul_f32 v[36:37], v[36:37], v[50:51]
	;;#ASMEND
	v_cvt_f32_u32_sdwa v47, v9 dst_sel:DWORD dst_unused:UNUSED_PAD src0_sel:WORD_1
	v_cvt_f32_u32_sdwa v46, v9 dst_sel:DWORD dst_unused:UNUSED_PAD src0_sel:WORD_0
	;;#ASMSTART
	v_pk_mul_f32 v[8:9], v[34:35], v[38:39]
	;;#ASMEND
	;;#ASMSTART
	v_pk_mul_f32 v[32:33], v[32:33], v[42:43]
	;;#ASMEND
	;; [unrolled: 3-line block ×3, first 2 shown]
	s_waitcnt vmcnt(0)
	v_cvt_f32_u32_sdwa v31, v2 dst_sel:DWORD dst_unused:UNUSED_PAD src0_sel:WORD_1
	v_cvt_f32_u32_sdwa v30, v2 dst_sel:DWORD dst_unused:UNUSED_PAD src0_sel:WORD_0
	v_cvt_f32_u32_sdwa v35, v3 dst_sel:DWORD dst_unused:UNUSED_PAD src0_sel:WORD_1
	v_cvt_f32_u32_sdwa v34, v3 dst_sel:DWORD dst_unused:UNUSED_PAD src0_sel:WORD_0
	;; [unrolled: 2-line block ×3, first 2 shown]
	s_mov_b32 s4, 0x7060302
	;;#ASMSTART
	v_pk_mul_f32 v[28:29], v[28:29], v[46:47]
	;;#ASMEND
	v_cvt_f32_u32_sdwa v39, v5 dst_sel:DWORD dst_unused:UNUSED_PAD src0_sel:WORD_1
	v_cvt_f32_u32_sdwa v38, v5 dst_sel:DWORD dst_unused:UNUSED_PAD src0_sel:WORD_0
	;;#ASMSTART
	v_pk_mul_f32 v[26:27], v[26:27], v[30:31]
	;;#ASMEND
	;;#ASMSTART
	v_pk_mul_f32 v[24:25], v[24:25], v[34:35]
	;;#ASMEND
	;; [unrolled: 3-line block ×3, first 2 shown]
	s_and_b32 s1, s1, 0xffff
	v_perm_b32 v2, v17, v16, s4
	v_perm_b32 v3, v21, v20, s4
	;; [unrolled: 1-line block ×4, first 2 shown]
	;;#ASMSTART
	v_pk_mul_f32 v[18:19], v[18:19], v[38:39]
	;;#ASMEND
	buffer_store_dwordx4 v[2:5], v1, s[0:3], 0 offen
	;;#ASMSTART
	s_nop 0
	;;#ASMEND
	s_nop 0
	v_perm_b32 v2, v13, v12, s4
	v_perm_b32 v3, v41, v40, s4
	;; [unrolled: 1-line block ×4, first 2 shown]
	buffer_store_dwordx4 v[2:5], v1, s[0:3], s14 offen
	v_perm_b32 v2, v9, v8, s4
	v_perm_b32 v3, v33, v32, s4
	;; [unrolled: 1-line block ×4, first 2 shown]
	;;#ASMSTART
	s_nop 0
	;;#ASMEND
	buffer_store_dwordx4 v[2:5], v1, s[0:3], s12 offen
	v_perm_b32 v2, v27, v26, s4
	v_perm_b32 v3, v25, v24, s4
	;; [unrolled: 1-line block ×4, first 2 shown]
	;;#ASMSTART
	s_nop 0
	;;#ASMEND
	buffer_store_dwordx4 v[2:5], v1, s[0:3], s7 offen
	;;#ASMSTART
	s_nop 0
	;;#ASMEND
.LBB158_4:
	s_endpgm
	.section	.rodata,"a",@progbits
	.p2align	6, 0x0
	.amdhsa_kernel _ZN5aiter24add_rmsnorm_quant_kernelIttLi256ELi32ELb0ELb0ELb1ELi1EEEvPT0_PT_PfS4_S4_S4_diiiiiiib
		.amdhsa_group_segment_fixed_size 16
		.amdhsa_private_segment_fixed_size 0
		.amdhsa_kernarg_size 88
		.amdhsa_user_sgpr_count 6
		.amdhsa_user_sgpr_private_segment_buffer 1
		.amdhsa_user_sgpr_dispatch_ptr 0
		.amdhsa_user_sgpr_queue_ptr 0
		.amdhsa_user_sgpr_kernarg_segment_ptr 1
		.amdhsa_user_sgpr_dispatch_id 0
		.amdhsa_user_sgpr_flat_scratch_init 0
		.amdhsa_user_sgpr_kernarg_preload_length 0
		.amdhsa_user_sgpr_kernarg_preload_offset 0
		.amdhsa_user_sgpr_private_segment_size 0
		.amdhsa_uses_dynamic_stack 0
		.amdhsa_system_sgpr_private_segment_wavefront_offset 0
		.amdhsa_system_sgpr_workgroup_id_x 1
		.amdhsa_system_sgpr_workgroup_id_y 0
		.amdhsa_system_sgpr_workgroup_id_z 0
		.amdhsa_system_sgpr_workgroup_info 0
		.amdhsa_system_vgpr_workitem_id 0
		.amdhsa_next_free_vgpr 60
		.amdhsa_next_free_sgpr 20
		.amdhsa_accum_offset 60
		.amdhsa_reserve_vcc 1
		.amdhsa_reserve_flat_scratch 0
		.amdhsa_float_round_mode_32 0
		.amdhsa_float_round_mode_16_64 0
		.amdhsa_float_denorm_mode_32 3
		.amdhsa_float_denorm_mode_16_64 3
		.amdhsa_dx10_clamp 1
		.amdhsa_ieee_mode 1
		.amdhsa_fp16_overflow 0
		.amdhsa_tg_split 0
		.amdhsa_exception_fp_ieee_invalid_op 0
		.amdhsa_exception_fp_denorm_src 0
		.amdhsa_exception_fp_ieee_div_zero 0
		.amdhsa_exception_fp_ieee_overflow 0
		.amdhsa_exception_fp_ieee_underflow 0
		.amdhsa_exception_fp_ieee_inexact 0
		.amdhsa_exception_int_div_zero 0
	.end_amdhsa_kernel
	.section	.text._ZN5aiter24add_rmsnorm_quant_kernelIttLi256ELi32ELb0ELb0ELb1ELi1EEEvPT0_PT_PfS4_S4_S4_diiiiiiib,"axG",@progbits,_ZN5aiter24add_rmsnorm_quant_kernelIttLi256ELi32ELb0ELb0ELb1ELi1EEEvPT0_PT_PfS4_S4_S4_diiiiiiib,comdat
.Lfunc_end158:
	.size	_ZN5aiter24add_rmsnorm_quant_kernelIttLi256ELi32ELb0ELb0ELb1ELi1EEEvPT0_PT_PfS4_S4_S4_diiiiiiib, .Lfunc_end158-_ZN5aiter24add_rmsnorm_quant_kernelIttLi256ELi32ELb0ELb0ELb1ELi1EEEvPT0_PT_PfS4_S4_S4_diiiiiiib
                                        ; -- End function
	.section	.AMDGPU.csdata,"",@progbits
; Kernel info:
; codeLenInByte = 1880
; NumSgprs: 24
; NumVgprs: 60
; NumAgprs: 0
; TotalNumVgprs: 60
; ScratchSize: 0
; MemoryBound: 0
; FloatMode: 240
; IeeeMode: 1
; LDSByteSize: 16 bytes/workgroup (compile time only)
; SGPRBlocks: 2
; VGPRBlocks: 7
; NumSGPRsForWavesPerEU: 24
; NumVGPRsForWavesPerEU: 60
; AccumOffset: 60
; Occupancy: 8
; WaveLimiterHint : 1
; COMPUTE_PGM_RSRC2:SCRATCH_EN: 0
; COMPUTE_PGM_RSRC2:USER_SGPR: 6
; COMPUTE_PGM_RSRC2:TRAP_HANDLER: 0
; COMPUTE_PGM_RSRC2:TGID_X_EN: 1
; COMPUTE_PGM_RSRC2:TGID_Y_EN: 0
; COMPUTE_PGM_RSRC2:TGID_Z_EN: 0
; COMPUTE_PGM_RSRC2:TIDIG_COMP_CNT: 0
; COMPUTE_PGM_RSRC3_GFX90A:ACCUM_OFFSET: 14
; COMPUTE_PGM_RSRC3_GFX90A:TG_SPLIT: 0
	.section	.text._ZN5aiter24add_rmsnorm_quant_kernelIDF16_DF16_Li256ELi32ELb0ELb0ELb0ELi1EEEvPT0_PT_PfS4_S4_S4_diiiiiiib,"axG",@progbits,_ZN5aiter24add_rmsnorm_quant_kernelIDF16_DF16_Li256ELi32ELb0ELb0ELb0ELi1EEEvPT0_PT_PfS4_S4_S4_diiiiiiib,comdat
	.protected	_ZN5aiter24add_rmsnorm_quant_kernelIDF16_DF16_Li256ELi32ELb0ELb0ELb0ELi1EEEvPT0_PT_PfS4_S4_S4_diiiiiiib ; -- Begin function _ZN5aiter24add_rmsnorm_quant_kernelIDF16_DF16_Li256ELi32ELb0ELb0ELb0ELi1EEEvPT0_PT_PfS4_S4_S4_diiiiiiib
	.globl	_ZN5aiter24add_rmsnorm_quant_kernelIDF16_DF16_Li256ELi32ELb0ELb0ELb0ELi1EEEvPT0_PT_PfS4_S4_S4_diiiiiiib
	.p2align	8
	.type	_ZN5aiter24add_rmsnorm_quant_kernelIDF16_DF16_Li256ELi32ELb0ELb0ELb0ELi1EEEvPT0_PT_PfS4_S4_S4_diiiiiiib,@function
_ZN5aiter24add_rmsnorm_quant_kernelIDF16_DF16_Li256ELi32ELb0ELb0ELb0ELi1EEEvPT0_PT_PfS4_S4_S4_diiiiiiib: ; @_ZN5aiter24add_rmsnorm_quant_kernelIDF16_DF16_Li256ELi32ELb0ELb0ELb0ELi1EEEvPT0_PT_PfS4_S4_S4_diiiiiiib
; %bb.0:
	s_load_dwordx4 s[12:15], s[4:5], 0x38
	s_mov_b32 s7, 0
	s_waitcnt lgkmcnt(0)
	s_ashr_i32 s0, s12, 31
	v_mov_b32_e32 v2, s12
	v_mov_b32_e32 v3, s0
	v_cmp_ge_i64_e32 vcc, s[6:7], v[2:3]
	s_cbranch_vccnz .LBB159_4
; %bb.1:
	s_load_dwordx2 s[0:1], s[4:5], 0x18
	s_load_dwordx4 s[8:11], s[4:5], 0x28
	s_ashr_i32 s2, s14, 31
	s_mul_hi_u32 s3, s14, s6
	s_mul_i32 s2, s2, s6
	s_add_i32 s3, s3, s2
	s_mul_i32 s2, s14, s6
	s_lshl_b64 s[2:3], s[2:3], 1
	s_waitcnt lgkmcnt(0)
	s_add_u32 s0, s0, s2
	s_addc_u32 s1, s1, s3
	s_add_i32 s2, s13, 1
	s_lshr_b32 s3, s2, 31
	s_add_i32 s2, s2, s3
	s_lshl_b32 s2, s2, 1
	s_and_b32 s2, s2, -4
	s_and_b32 s1, s1, 0xffff
	s_mov_b32 s3, 0x20000
	v_lshlrev_b32_e32 v1, 6, v0
	buffer_load_dwordx4 v[30:33], v1, s[0:3], 0 offen
	buffer_load_dwordx4 v[26:29], v1, s[0:3], 16 offen
	;; [unrolled: 1-line block ×4, first 2 shown]
	s_mov_b32 s19, s3
	s_mov_b32 s16, s8
	s_and_b32 s17, s9, 0xffff
	s_mov_b32 s18, s2
	buffer_load_dwordx4 v[14:17], v1, s[16:19], 0 offen
	buffer_load_dwordx4 v[10:13], v1, s[16:19], 16 offen
	;; [unrolled: 1-line block ×4, first 2 shown]
	v_and_b32_e32 v58, 63, v0
	v_cmp_eq_u32_e32 vcc, 63, v58
	s_waitcnt vmcnt(7)
	v_cvt_f32_f16_e32 v50, v30
	v_cvt_f32_f16_sdwa v51, v30 dst_sel:DWORD dst_unused:UNUSED_PAD src0_sel:WORD_1
	v_cvt_f32_f16_e32 v48, v31
	v_cvt_f32_f16_sdwa v49, v31 dst_sel:DWORD dst_unused:UNUSED_PAD src0_sel:WORD_1
	v_cvt_f32_f16_e32 v46, v32
	v_cvt_f32_f16_sdwa v47, v32 dst_sel:DWORD dst_unused:UNUSED_PAD src0_sel:WORD_1
	v_cvt_f32_f16_e32 v44, v33
	v_cvt_f32_f16_sdwa v45, v33 dst_sel:DWORD dst_unused:UNUSED_PAD src0_sel:WORD_1
	s_waitcnt vmcnt(6)
	v_cvt_f32_f16_e32 v42, v26
	v_cvt_f32_f16_sdwa v43, v26 dst_sel:DWORD dst_unused:UNUSED_PAD src0_sel:WORD_1
	v_cvt_f32_f16_e32 v40, v27
	v_cvt_f32_f16_sdwa v41, v27 dst_sel:DWORD dst_unused:UNUSED_PAD src0_sel:WORD_1
	v_cvt_f32_f16_e32 v38, v28
	v_cvt_f32_f16_sdwa v39, v28 dst_sel:DWORD dst_unused:UNUSED_PAD src0_sel:WORD_1
	v_cvt_f32_f16_e32 v36, v29
	v_cvt_f32_f16_sdwa v37, v29 dst_sel:DWORD dst_unused:UNUSED_PAD src0_sel:WORD_1
	;; [unrolled: 9-line block ×4, first 2 shown]
	v_pk_mul_f32 v[20:21], v[50:51], v[50:51]
	v_pk_mul_f32 v[52:53], v[48:49], v[48:49]
	v_add_f32_e32 v59, v20, v21
	v_add_f32_e32 v52, v52, v59
	v_pk_mul_f32 v[54:55], v[46:47], v[46:47]
	v_add_f32_e32 v59, v53, v52
	v_add_f32_e32 v54, v54, v59
	;; [unrolled: 3-line block ×15, first 2 shown]
	v_add_f32_e32 v20, v57, v20
	s_nop 1
	v_mov_b32_dpp v21, v20 quad_perm:[1,0,3,2] row_mask:0xf bank_mask:0xf
	v_add_f32_e32 v20, v20, v21
	s_nop 1
	v_mov_b32_dpp v21, v20 quad_perm:[2,3,0,1] row_mask:0xf bank_mask:0xf
	v_add_f32_e32 v20, v20, v21
	s_nop 1
	v_mov_b32_dpp v21, v20 row_half_mirror row_mask:0xf bank_mask:0xf
	v_add_f32_e32 v20, v20, v21
	s_nop 1
	v_mov_b32_dpp v21, v20 row_mirror row_mask:0xf bank_mask:0xf
	v_add_f32_e32 v20, v20, v21
	s_nop 1
	v_mov_b32_dpp v21, v20 row_bcast:15 row_mask:0xf bank_mask:0xf
	v_add_f32_e32 v20, v20, v21
	s_nop 1
	v_mov_b32_dpp v21, v20 row_bcast:31 row_mask:0xf bank_mask:0xf
	s_and_saveexec_b64 s[0:1], vcc
	s_cbranch_execz .LBB159_3
; %bb.2:
	v_lshrrev_b32_e32 v52, 4, v0
	v_and_b32_e32 v52, 60, v52
	v_add_f32_e32 v20, v20, v21
	ds_write_b32 v52, v20
.LBB159_3:
	s_or_b64 exec, exec, s[0:1]
	v_and_b32_e32 v0, 3, v0
	v_lshlrev_b32_e32 v0, 2, v0
	s_waitcnt lgkmcnt(0)
	s_barrier
	ds_read_b32 v0, v0
	s_load_dword s7, s[4:5], 0x4c
	s_load_dwordx2 s[0:1], s[4:5], 0x0
	s_waitcnt lgkmcnt(0)
	v_mov_b32_dpp v20, v0 quad_perm:[1,0,3,2] row_mask:0xf bank_mask:0xf
	v_add_f32_e32 v0, v0, v20
	v_cvt_f32_i32_e32 v20, s13
	s_ashr_i32 s8, s7, 31
	v_mov_b32_dpp v21, v0 quad_perm:[2,3,0,1] row_mask:0xf bank_mask:0xf
	v_add_f32_e32 v0, v0, v21
	v_div_scale_f32 v21, s[4:5], v20, v20, v0
	v_rcp_f32_e32 v52, v21
	s_mul_hi_u32 s9, s7, s6
	s_mul_i32 s8, s8, s6
	s_mul_i32 s4, s7, s6
	v_fma_f32 v53, -v21, v52, 1.0
	v_fmac_f32_e32 v52, v53, v52
	v_div_scale_f32 v53, vcc, v0, v20, v0
	v_mul_f32_e32 v54, v53, v52
	v_fma_f32 v55, -v21, v54, v53
	v_fmac_f32_e32 v54, v55, v52
	v_fma_f32 v21, -v21, v54, v53
	v_div_fmas_f32 v21, v21, v52, v54
	v_div_fixup_f32 v0, v21, v20, v0
	v_cvt_f64_f32_e32 v[20:21], v0
	v_add_f64 v[20:21], v[20:21], s[10:11]
	v_cvt_f32_f64_e32 v0, v[20:21]
	s_mov_b32 s6, 0x800000
	v_mul_f32_e32 v20, 0x4b800000, v0
	v_cmp_gt_f32_e32 vcc, s6, v0
	v_cndmask_b32_e32 v0, v0, v20, vcc
	v_rsq_f32_e32 v0, v0
	s_waitcnt vmcnt(3)
	v_cvt_f32_f16_sdwa v53, v15 dst_sel:DWORD dst_unused:UNUSED_PAD src0_sel:WORD_1
	v_cvt_f32_f16_e32 v52, v15
	v_cvt_f32_f16_sdwa v15, v16 dst_sel:DWORD dst_unused:UNUSED_PAD src0_sel:WORD_1
	v_mul_f32_e32 v20, 0x45800000, v0
	v_cndmask_b32_e32 v20, v0, v20, vcc
	v_mov_b32_e32 v21, v20
	;;#ASMSTART
	v_pk_mul_f32 v[50:51], v[50:51], v[20:21]
	;;#ASMEND
	;;#ASMSTART
	v_pk_mul_f32 v[48:49], v[48:49], v[20:21]
	;;#ASMEND
	;; [unrolled: 3-line block ×16, first 2 shown]
	v_cvt_f32_f16_sdwa v21, v14 dst_sel:DWORD dst_unused:UNUSED_PAD src0_sel:WORD_1
	v_cvt_f32_f16_e32 v20, v14
	v_cvt_f32_f16_e32 v14, v16
	v_cvt_f32_f16_sdwa v55, v17 dst_sel:DWORD dst_unused:UNUSED_PAD src0_sel:WORD_1
	v_cvt_f32_f16_e32 v54, v17
	;;#ASMSTART
	v_pk_mul_f32 v[16:17], v[50:51], v[20:21]
	;;#ASMEND
	;;#ASMSTART
	v_pk_mul_f32 v[20:21], v[48:49], v[52:53]
	;;#ASMEND
	;; [unrolled: 3-line block ×3, first 2 shown]
	s_waitcnt vmcnt(2)
	v_cvt_f32_f16_sdwa v47, v10 dst_sel:DWORD dst_unused:UNUSED_PAD src0_sel:WORD_1
	v_cvt_f32_f16_e32 v46, v10
	v_cvt_f32_f16_sdwa v49, v11 dst_sel:DWORD dst_unused:UNUSED_PAD src0_sel:WORD_1
	v_cvt_f32_f16_e32 v48, v11
	;; [unrolled: 2-line block ×3, first 2 shown]
	;;#ASMSTART
	v_pk_mul_f32 v[44:45], v[44:45], v[54:55]
	;;#ASMEND
	v_cvt_f32_f16_sdwa v51, v13 dst_sel:DWORD dst_unused:UNUSED_PAD src0_sel:WORD_1
	v_cvt_f32_f16_e32 v50, v13
	;;#ASMSTART
	v_pk_mul_f32 v[12:13], v[42:43], v[46:47]
	;;#ASMEND
	;;#ASMSTART
	v_pk_mul_f32 v[40:41], v[40:41], v[48:49]
	;;#ASMEND
	;; [unrolled: 3-line block ×3, first 2 shown]
	s_waitcnt vmcnt(1)
	v_cvt_f32_f16_sdwa v39, v6 dst_sel:DWORD dst_unused:UNUSED_PAD src0_sel:WORD_1
	v_cvt_f32_f16_e32 v38, v6
	v_cvt_f32_f16_sdwa v43, v7 dst_sel:DWORD dst_unused:UNUSED_PAD src0_sel:WORD_1
	v_cvt_f32_f16_e32 v42, v7
	;; [unrolled: 2-line block ×3, first 2 shown]
	;;#ASMSTART
	v_pk_mul_f32 v[36:37], v[36:37], v[50:51]
	;;#ASMEND
	v_cvt_f32_f16_sdwa v47, v9 dst_sel:DWORD dst_unused:UNUSED_PAD src0_sel:WORD_1
	v_cvt_f32_f16_e32 v46, v9
	;;#ASMSTART
	v_pk_mul_f32 v[8:9], v[34:35], v[38:39]
	;;#ASMEND
	;;#ASMSTART
	v_pk_mul_f32 v[32:33], v[32:33], v[42:43]
	;;#ASMEND
	;; [unrolled: 3-line block ×3, first 2 shown]
	s_waitcnt vmcnt(0)
	v_cvt_f32_f16_sdwa v31, v2 dst_sel:DWORD dst_unused:UNUSED_PAD src0_sel:WORD_1
	v_cvt_f32_f16_e32 v30, v2
	v_cvt_f32_f16_sdwa v35, v3 dst_sel:DWORD dst_unused:UNUSED_PAD src0_sel:WORD_1
	v_cvt_f32_f16_e32 v34, v3
	;; [unrolled: 2-line block ×3, first 2 shown]
	s_add_i32 s5, s9, s8
	;;#ASMSTART
	v_pk_mul_f32 v[28:29], v[28:29], v[46:47]
	;;#ASMEND
	v_cvt_f32_f16_sdwa v39, v5 dst_sel:DWORD dst_unused:UNUSED_PAD src0_sel:WORD_1
	v_cvt_f32_f16_e32 v38, v5
	;;#ASMSTART
	v_pk_mul_f32 v[26:27], v[26:27], v[30:31]
	;;#ASMEND
	;;#ASMSTART
	v_pk_mul_f32 v[24:25], v[24:25], v[34:35]
	;;#ASMEND
	;; [unrolled: 3-line block ×3, first 2 shown]
	v_cvt_f16_f32_e32 v0, v16
	v_cvt_f16_f32_e32 v2, v17
	;; [unrolled: 1-line block ×8, first 2 shown]
	s_lshl_b64 s[4:5], s[4:5], 1
	s_add_u32 s0, s0, s4
	s_addc_u32 s1, s1, s5
	s_and_b32 s1, s1, 0xffff
	v_pack_b32_f16 v2, v0, v2
	v_pack_b32_f16 v3, v3, v4
	;; [unrolled: 1-line block ×4, first 2 shown]
	;;#ASMSTART
	v_pk_mul_f32 v[18:19], v[18:19], v[38:39]
	;;#ASMEND
	buffer_store_dwordx4 v[2:5], v1, s[0:3], 0 offen
	v_cvt_f16_f32_e32 v0, v12
	v_cvt_f16_f32_e32 v2, v13
	v_cvt_f16_f32_e32 v3, v40
	v_cvt_f16_f32_e32 v4, v41
	v_cvt_f16_f32_e32 v5, v10
	v_cvt_f16_f32_e32 v10, v11
	v_cvt_f16_f32_e32 v11, v36
	v_cvt_f16_f32_e32 v12, v37
	v_pack_b32_f16 v2, v0, v2
	v_pack_b32_f16 v3, v3, v4
	v_pack_b32_f16 v4, v5, v10
	v_pack_b32_f16 v5, v11, v12
	;;#ASMSTART
	s_nop 0
	;;#ASMEND
	buffer_store_dwordx4 v[2:5], v1, s[0:3], 16 offen
	v_cvt_f16_f32_e32 v0, v8
	v_cvt_f16_f32_e32 v2, v9
	v_cvt_f16_f32_e32 v3, v32
	v_cvt_f16_f32_e32 v4, v33
	v_cvt_f16_f32_e32 v5, v6
	v_cvt_f16_f32_e32 v6, v7
	v_cvt_f16_f32_e32 v7, v28
	v_cvt_f16_f32_e32 v8, v29
	v_pack_b32_f16 v2, v0, v2
	v_pack_b32_f16 v3, v3, v4
	v_pack_b32_f16 v4, v5, v6
	v_pack_b32_f16 v5, v7, v8
	;;#ASMSTART
	s_nop 0
	;; [unrolled: 16-line block ×3, first 2 shown]
	;;#ASMEND
	buffer_store_dwordx4 v[2:5], v1, s[0:3], 48 offen
	;;#ASMSTART
	s_nop 0
	;;#ASMEND
.LBB159_4:
	s_endpgm
	.section	.rodata,"a",@progbits
	.p2align	6, 0x0
	.amdhsa_kernel _ZN5aiter24add_rmsnorm_quant_kernelIDF16_DF16_Li256ELi32ELb0ELb0ELb0ELi1EEEvPT0_PT_PfS4_S4_S4_diiiiiiib
		.amdhsa_group_segment_fixed_size 16
		.amdhsa_private_segment_fixed_size 0
		.amdhsa_kernarg_size 88
		.amdhsa_user_sgpr_count 6
		.amdhsa_user_sgpr_private_segment_buffer 1
		.amdhsa_user_sgpr_dispatch_ptr 0
		.amdhsa_user_sgpr_queue_ptr 0
		.amdhsa_user_sgpr_kernarg_segment_ptr 1
		.amdhsa_user_sgpr_dispatch_id 0
		.amdhsa_user_sgpr_flat_scratch_init 0
		.amdhsa_user_sgpr_kernarg_preload_length 0
		.amdhsa_user_sgpr_kernarg_preload_offset 0
		.amdhsa_user_sgpr_private_segment_size 0
		.amdhsa_uses_dynamic_stack 0
		.amdhsa_system_sgpr_private_segment_wavefront_offset 0
		.amdhsa_system_sgpr_workgroup_id_x 1
		.amdhsa_system_sgpr_workgroup_id_y 0
		.amdhsa_system_sgpr_workgroup_id_z 0
		.amdhsa_system_sgpr_workgroup_info 0
		.amdhsa_system_vgpr_workitem_id 0
		.amdhsa_next_free_vgpr 60
		.amdhsa_next_free_sgpr 20
		.amdhsa_accum_offset 60
		.amdhsa_reserve_vcc 1
		.amdhsa_reserve_flat_scratch 0
		.amdhsa_float_round_mode_32 0
		.amdhsa_float_round_mode_16_64 0
		.amdhsa_float_denorm_mode_32 3
		.amdhsa_float_denorm_mode_16_64 3
		.amdhsa_dx10_clamp 1
		.amdhsa_ieee_mode 1
		.amdhsa_fp16_overflow 0
		.amdhsa_tg_split 0
		.amdhsa_exception_fp_ieee_invalid_op 0
		.amdhsa_exception_fp_denorm_src 0
		.amdhsa_exception_fp_ieee_div_zero 0
		.amdhsa_exception_fp_ieee_overflow 0
		.amdhsa_exception_fp_ieee_underflow 0
		.amdhsa_exception_fp_ieee_inexact 0
		.amdhsa_exception_int_div_zero 0
	.end_amdhsa_kernel
	.section	.text._ZN5aiter24add_rmsnorm_quant_kernelIDF16_DF16_Li256ELi32ELb0ELb0ELb0ELi1EEEvPT0_PT_PfS4_S4_S4_diiiiiiib,"axG",@progbits,_ZN5aiter24add_rmsnorm_quant_kernelIDF16_DF16_Li256ELi32ELb0ELb0ELb0ELi1EEEvPT0_PT_PfS4_S4_S4_diiiiiiib,comdat
.Lfunc_end159:
	.size	_ZN5aiter24add_rmsnorm_quant_kernelIDF16_DF16_Li256ELi32ELb0ELb0ELb0ELi1EEEvPT0_PT_PfS4_S4_S4_diiiiiiib, .Lfunc_end159-_ZN5aiter24add_rmsnorm_quant_kernelIDF16_DF16_Li256ELi32ELb0ELb0ELb0ELi1EEEvPT0_PT_PfS4_S4_S4_diiiiiiib
                                        ; -- End function
	.section	.AMDGPU.csdata,"",@progbits
; Kernel info:
; codeLenInByte = 1836
; NumSgprs: 24
; NumVgprs: 60
; NumAgprs: 0
; TotalNumVgprs: 60
; ScratchSize: 0
; MemoryBound: 0
; FloatMode: 240
; IeeeMode: 1
; LDSByteSize: 16 bytes/workgroup (compile time only)
; SGPRBlocks: 2
; VGPRBlocks: 7
; NumSGPRsForWavesPerEU: 24
; NumVGPRsForWavesPerEU: 60
; AccumOffset: 60
; Occupancy: 8
; WaveLimiterHint : 1
; COMPUTE_PGM_RSRC2:SCRATCH_EN: 0
; COMPUTE_PGM_RSRC2:USER_SGPR: 6
; COMPUTE_PGM_RSRC2:TRAP_HANDLER: 0
; COMPUTE_PGM_RSRC2:TGID_X_EN: 1
; COMPUTE_PGM_RSRC2:TGID_Y_EN: 0
; COMPUTE_PGM_RSRC2:TGID_Z_EN: 0
; COMPUTE_PGM_RSRC2:TIDIG_COMP_CNT: 0
; COMPUTE_PGM_RSRC3_GFX90A:ACCUM_OFFSET: 14
; COMPUTE_PGM_RSRC3_GFX90A:TG_SPLIT: 0
	.section	.text._ZN5aiter24add_rmsnorm_quant_kernelIttLi256ELi32ELb0ELb0ELb0ELi1EEEvPT0_PT_PfS4_S4_S4_diiiiiiib,"axG",@progbits,_ZN5aiter24add_rmsnorm_quant_kernelIttLi256ELi32ELb0ELb0ELb0ELi1EEEvPT0_PT_PfS4_S4_S4_diiiiiiib,comdat
	.protected	_ZN5aiter24add_rmsnorm_quant_kernelIttLi256ELi32ELb0ELb0ELb0ELi1EEEvPT0_PT_PfS4_S4_S4_diiiiiiib ; -- Begin function _ZN5aiter24add_rmsnorm_quant_kernelIttLi256ELi32ELb0ELb0ELb0ELi1EEEvPT0_PT_PfS4_S4_S4_diiiiiiib
	.globl	_ZN5aiter24add_rmsnorm_quant_kernelIttLi256ELi32ELb0ELb0ELb0ELi1EEEvPT0_PT_PfS4_S4_S4_diiiiiiib
	.p2align	8
	.type	_ZN5aiter24add_rmsnorm_quant_kernelIttLi256ELi32ELb0ELb0ELb0ELi1EEEvPT0_PT_PfS4_S4_S4_diiiiiiib,@function
_ZN5aiter24add_rmsnorm_quant_kernelIttLi256ELi32ELb0ELb0ELb0ELi1EEEvPT0_PT_PfS4_S4_S4_diiiiiiib: ; @_ZN5aiter24add_rmsnorm_quant_kernelIttLi256ELi32ELb0ELb0ELb0ELi1EEEvPT0_PT_PfS4_S4_S4_diiiiiiib
; %bb.0:
	s_load_dwordx4 s[12:15], s[4:5], 0x38
	s_mov_b32 s7, 0
	s_waitcnt lgkmcnt(0)
	s_ashr_i32 s0, s12, 31
	v_mov_b32_e32 v2, s12
	v_mov_b32_e32 v3, s0
	v_cmp_ge_i64_e32 vcc, s[6:7], v[2:3]
	s_cbranch_vccnz .LBB160_4
; %bb.1:
	s_load_dwordx2 s[0:1], s[4:5], 0x18
	s_load_dwordx4 s[8:11], s[4:5], 0x28
	s_ashr_i32 s2, s14, 31
	s_mul_hi_u32 s3, s14, s6
	s_mul_i32 s2, s2, s6
	s_add_i32 s3, s3, s2
	s_mul_i32 s2, s14, s6
	s_lshl_b64 s[2:3], s[2:3], 1
	s_waitcnt lgkmcnt(0)
	s_add_u32 s0, s0, s2
	s_addc_u32 s1, s1, s3
	s_add_i32 s2, s13, 1
	s_lshr_b32 s3, s2, 31
	s_add_i32 s2, s2, s3
	s_lshl_b32 s2, s2, 1
	s_and_b32 s2, s2, -4
	s_and_b32 s1, s1, 0xffff
	s_mov_b32 s3, 0x20000
	v_lshlrev_b32_e32 v1, 6, v0
	buffer_load_dwordx4 v[30:33], v1, s[0:3], 0 offen
	buffer_load_dwordx4 v[26:29], v1, s[0:3], 16 offen
	;; [unrolled: 1-line block ×4, first 2 shown]
	s_mov_b32 s19, s3
	s_mov_b32 s16, s8
	s_and_b32 s17, s9, 0xffff
	s_mov_b32 s18, s2
	buffer_load_dwordx4 v[14:17], v1, s[16:19], 0 offen
	buffer_load_dwordx4 v[10:13], v1, s[16:19], 16 offen
	;; [unrolled: 1-line block ×4, first 2 shown]
	v_and_b32_e32 v58, 63, v0
	v_cmp_eq_u32_e32 vcc, 63, v58
	s_waitcnt vmcnt(7)
	v_cvt_f32_u32_sdwa v51, v30 dst_sel:DWORD dst_unused:UNUSED_PAD src0_sel:WORD_1
	v_cvt_f32_u32_sdwa v50, v30 dst_sel:DWORD dst_unused:UNUSED_PAD src0_sel:WORD_0
	v_cvt_f32_u32_sdwa v49, v31 dst_sel:DWORD dst_unused:UNUSED_PAD src0_sel:WORD_1
	v_cvt_f32_u32_sdwa v48, v31 dst_sel:DWORD dst_unused:UNUSED_PAD src0_sel:WORD_0
	v_cvt_f32_u32_sdwa v47, v32 dst_sel:DWORD dst_unused:UNUSED_PAD src0_sel:WORD_1
	v_cvt_f32_u32_sdwa v46, v32 dst_sel:DWORD dst_unused:UNUSED_PAD src0_sel:WORD_0
	v_cvt_f32_u32_sdwa v45, v33 dst_sel:DWORD dst_unused:UNUSED_PAD src0_sel:WORD_1
	v_cvt_f32_u32_sdwa v44, v33 dst_sel:DWORD dst_unused:UNUSED_PAD src0_sel:WORD_0
	s_waitcnt vmcnt(6)
	v_cvt_f32_u32_sdwa v43, v26 dst_sel:DWORD dst_unused:UNUSED_PAD src0_sel:WORD_1
	v_cvt_f32_u32_sdwa v42, v26 dst_sel:DWORD dst_unused:UNUSED_PAD src0_sel:WORD_0
	v_cvt_f32_u32_sdwa v41, v27 dst_sel:DWORD dst_unused:UNUSED_PAD src0_sel:WORD_1
	v_cvt_f32_u32_sdwa v40, v27 dst_sel:DWORD dst_unused:UNUSED_PAD src0_sel:WORD_0
	v_cvt_f32_u32_sdwa v39, v28 dst_sel:DWORD dst_unused:UNUSED_PAD src0_sel:WORD_1
	v_cvt_f32_u32_sdwa v38, v28 dst_sel:DWORD dst_unused:UNUSED_PAD src0_sel:WORD_0
	v_cvt_f32_u32_sdwa v37, v29 dst_sel:DWORD dst_unused:UNUSED_PAD src0_sel:WORD_1
	v_cvt_f32_u32_sdwa v36, v29 dst_sel:DWORD dst_unused:UNUSED_PAD src0_sel:WORD_0
	;; [unrolled: 9-line block ×4, first 2 shown]
	v_pk_mul_f32 v[20:21], v[50:51], v[50:51]
	v_pk_mul_f32 v[52:53], v[48:49], v[48:49]
	v_add_f32_e32 v59, v20, v21
	v_add_f32_e32 v52, v52, v59
	v_pk_mul_f32 v[54:55], v[46:47], v[46:47]
	v_add_f32_e32 v59, v53, v52
	v_add_f32_e32 v54, v54, v59
	;; [unrolled: 3-line block ×15, first 2 shown]
	v_add_f32_e32 v20, v57, v20
	s_nop 1
	v_mov_b32_dpp v21, v20 quad_perm:[1,0,3,2] row_mask:0xf bank_mask:0xf
	v_add_f32_e32 v20, v20, v21
	s_nop 1
	v_mov_b32_dpp v21, v20 quad_perm:[2,3,0,1] row_mask:0xf bank_mask:0xf
	v_add_f32_e32 v20, v20, v21
	s_nop 1
	v_mov_b32_dpp v21, v20 row_half_mirror row_mask:0xf bank_mask:0xf
	v_add_f32_e32 v20, v20, v21
	s_nop 1
	v_mov_b32_dpp v21, v20 row_mirror row_mask:0xf bank_mask:0xf
	v_add_f32_e32 v20, v20, v21
	s_nop 1
	v_mov_b32_dpp v21, v20 row_bcast:15 row_mask:0xf bank_mask:0xf
	v_add_f32_e32 v20, v20, v21
	s_nop 1
	v_mov_b32_dpp v21, v20 row_bcast:31 row_mask:0xf bank_mask:0xf
	s_and_saveexec_b64 s[0:1], vcc
	s_cbranch_execz .LBB160_3
; %bb.2:
	v_lshrrev_b32_e32 v52, 4, v0
	v_and_b32_e32 v52, 60, v52
	v_add_f32_e32 v20, v20, v21
	ds_write_b32 v52, v20
.LBB160_3:
	s_or_b64 exec, exec, s[0:1]
	v_and_b32_e32 v0, 3, v0
	v_lshlrev_b32_e32 v0, 2, v0
	s_waitcnt lgkmcnt(0)
	s_barrier
	ds_read_b32 v0, v0
	s_load_dword s7, s[4:5], 0x4c
	s_load_dwordx2 s[0:1], s[4:5], 0x0
	s_waitcnt lgkmcnt(0)
	v_mov_b32_dpp v20, v0 quad_perm:[1,0,3,2] row_mask:0xf bank_mask:0xf
	v_add_f32_e32 v0, v0, v20
	v_cvt_f32_i32_e32 v20, s13
	s_ashr_i32 s8, s7, 31
	v_mov_b32_dpp v21, v0 quad_perm:[2,3,0,1] row_mask:0xf bank_mask:0xf
	v_add_f32_e32 v0, v0, v21
	v_div_scale_f32 v21, s[4:5], v20, v20, v0
	v_rcp_f32_e32 v52, v21
	s_mul_hi_u32 s9, s7, s6
	s_mul_i32 s8, s8, s6
	s_mul_i32 s4, s7, s6
	v_fma_f32 v53, -v21, v52, 1.0
	v_fmac_f32_e32 v52, v53, v52
	v_div_scale_f32 v53, vcc, v0, v20, v0
	v_mul_f32_e32 v54, v53, v52
	v_fma_f32 v55, -v21, v54, v53
	v_fmac_f32_e32 v54, v55, v52
	v_fma_f32 v21, -v21, v54, v53
	v_div_fmas_f32 v21, v21, v52, v54
	v_div_fixup_f32 v0, v21, v20, v0
	v_cvt_f64_f32_e32 v[20:21], v0
	v_add_f64 v[20:21], v[20:21], s[10:11]
	v_cvt_f32_f64_e32 v0, v[20:21]
	s_mov_b32 s6, 0x800000
	v_mul_f32_e32 v20, 0x4b800000, v0
	v_cmp_gt_f32_e32 vcc, s6, v0
	v_cndmask_b32_e32 v0, v0, v20, vcc
	v_rsq_f32_e32 v0, v0
	s_add_i32 s5, s9, s8
	s_waitcnt vmcnt(3)
	v_cvt_f32_u32_sdwa v53, v15 dst_sel:DWORD dst_unused:UNUSED_PAD src0_sel:WORD_1
	v_cvt_f32_u32_sdwa v52, v15 dst_sel:DWORD dst_unused:UNUSED_PAD src0_sel:WORD_0
	v_mul_f32_e32 v20, 0x45800000, v0
	v_cndmask_b32_e32 v20, v0, v20, vcc
	v_mov_b32_e32 v21, v20
	;;#ASMSTART
	v_pk_mul_f32 v[50:51], v[50:51], v[20:21]
	;;#ASMEND
	;;#ASMSTART
	v_pk_mul_f32 v[48:49], v[48:49], v[20:21]
	;;#ASMEND
	;;#ASMSTART
	v_pk_mul_f32 v[46:47], v[46:47], v[20:21]
	;;#ASMEND
	;;#ASMSTART
	v_pk_mul_f32 v[44:45], v[44:45], v[20:21]
	;;#ASMEND
	;;#ASMSTART
	v_pk_mul_f32 v[42:43], v[42:43], v[20:21]
	;;#ASMEND
	;;#ASMSTART
	v_pk_mul_f32 v[40:41], v[40:41], v[20:21]
	;;#ASMEND
	;;#ASMSTART
	v_pk_mul_f32 v[38:39], v[38:39], v[20:21]
	;;#ASMEND
	;;#ASMSTART
	v_pk_mul_f32 v[36:37], v[36:37], v[20:21]
	;;#ASMEND
	;;#ASMSTART
	v_pk_mul_f32 v[34:35], v[34:35], v[20:21]
	;;#ASMEND
	;;#ASMSTART
	v_pk_mul_f32 v[32:33], v[32:33], v[20:21]
	;;#ASMEND
	;;#ASMSTART
	v_pk_mul_f32 v[30:31], v[30:31], v[20:21]
	;;#ASMEND
	;;#ASMSTART
	v_pk_mul_f32 v[28:29], v[28:29], v[20:21]
	;;#ASMEND
	;;#ASMSTART
	v_pk_mul_f32 v[26:27], v[26:27], v[20:21]
	;;#ASMEND
	;;#ASMSTART
	v_pk_mul_f32 v[24:25], v[24:25], v[20:21]
	;;#ASMEND
	;;#ASMSTART
	v_pk_mul_f32 v[22:23], v[22:23], v[20:21]
	;;#ASMEND
	;;#ASMSTART
	v_pk_mul_f32 v[18:19], v[18:19], v[20:21]
	;;#ASMEND
	v_cvt_f32_u32_sdwa v21, v14 dst_sel:DWORD dst_unused:UNUSED_PAD src0_sel:WORD_1
	v_cvt_f32_u32_sdwa v20, v14 dst_sel:DWORD dst_unused:UNUSED_PAD src0_sel:WORD_0
	v_cvt_f32_u32_sdwa v15, v16 dst_sel:DWORD dst_unused:UNUSED_PAD src0_sel:WORD_1
	v_cvt_f32_u32_sdwa v14, v16 dst_sel:DWORD dst_unused:UNUSED_PAD src0_sel:WORD_0
	s_lshl_b64 s[4:5], s[4:5], 1
	v_cvt_f32_u32_sdwa v55, v17 dst_sel:DWORD dst_unused:UNUSED_PAD src0_sel:WORD_1
	v_cvt_f32_u32_sdwa v54, v17 dst_sel:DWORD dst_unused:UNUSED_PAD src0_sel:WORD_0
	;;#ASMSTART
	v_pk_mul_f32 v[16:17], v[50:51], v[20:21]
	;;#ASMEND
	;;#ASMSTART
	v_pk_mul_f32 v[20:21], v[48:49], v[52:53]
	;;#ASMEND
	;; [unrolled: 3-line block ×3, first 2 shown]
	s_waitcnt vmcnt(2)
	v_cvt_f32_u32_sdwa v47, v10 dst_sel:DWORD dst_unused:UNUSED_PAD src0_sel:WORD_1
	v_cvt_f32_u32_sdwa v46, v10 dst_sel:DWORD dst_unused:UNUSED_PAD src0_sel:WORD_0
	v_cvt_f32_u32_sdwa v49, v11 dst_sel:DWORD dst_unused:UNUSED_PAD src0_sel:WORD_1
	v_cvt_f32_u32_sdwa v48, v11 dst_sel:DWORD dst_unused:UNUSED_PAD src0_sel:WORD_0
	;; [unrolled: 2-line block ×3, first 2 shown]
	s_add_u32 s0, s0, s4
	;;#ASMSTART
	v_pk_mul_f32 v[44:45], v[44:45], v[54:55]
	;;#ASMEND
	v_cvt_f32_u32_sdwa v51, v13 dst_sel:DWORD dst_unused:UNUSED_PAD src0_sel:WORD_1
	v_cvt_f32_u32_sdwa v50, v13 dst_sel:DWORD dst_unused:UNUSED_PAD src0_sel:WORD_0
	;;#ASMSTART
	v_pk_mul_f32 v[12:13], v[42:43], v[46:47]
	;;#ASMEND
	;;#ASMSTART
	v_pk_mul_f32 v[40:41], v[40:41], v[48:49]
	;;#ASMEND
	;; [unrolled: 3-line block ×3, first 2 shown]
	s_waitcnt vmcnt(1)
	v_cvt_f32_u32_sdwa v39, v6 dst_sel:DWORD dst_unused:UNUSED_PAD src0_sel:WORD_1
	v_cvt_f32_u32_sdwa v38, v6 dst_sel:DWORD dst_unused:UNUSED_PAD src0_sel:WORD_0
	v_cvt_f32_u32_sdwa v43, v7 dst_sel:DWORD dst_unused:UNUSED_PAD src0_sel:WORD_1
	v_cvt_f32_u32_sdwa v42, v7 dst_sel:DWORD dst_unused:UNUSED_PAD src0_sel:WORD_0
	;; [unrolled: 2-line block ×3, first 2 shown]
	s_addc_u32 s1, s1, s5
	;;#ASMSTART
	v_pk_mul_f32 v[36:37], v[36:37], v[50:51]
	;;#ASMEND
	v_cvt_f32_u32_sdwa v47, v9 dst_sel:DWORD dst_unused:UNUSED_PAD src0_sel:WORD_1
	v_cvt_f32_u32_sdwa v46, v9 dst_sel:DWORD dst_unused:UNUSED_PAD src0_sel:WORD_0
	;;#ASMSTART
	v_pk_mul_f32 v[8:9], v[34:35], v[38:39]
	;;#ASMEND
	;;#ASMSTART
	v_pk_mul_f32 v[32:33], v[32:33], v[42:43]
	;;#ASMEND
	;; [unrolled: 3-line block ×3, first 2 shown]
	s_waitcnt vmcnt(0)
	v_cvt_f32_u32_sdwa v31, v2 dst_sel:DWORD dst_unused:UNUSED_PAD src0_sel:WORD_1
	v_cvt_f32_u32_sdwa v30, v2 dst_sel:DWORD dst_unused:UNUSED_PAD src0_sel:WORD_0
	v_cvt_f32_u32_sdwa v35, v3 dst_sel:DWORD dst_unused:UNUSED_PAD src0_sel:WORD_1
	v_cvt_f32_u32_sdwa v34, v3 dst_sel:DWORD dst_unused:UNUSED_PAD src0_sel:WORD_0
	;; [unrolled: 2-line block ×3, first 2 shown]
	s_mov_b32 s4, 0x7060302
	;;#ASMSTART
	v_pk_mul_f32 v[28:29], v[28:29], v[46:47]
	;;#ASMEND
	v_cvt_f32_u32_sdwa v39, v5 dst_sel:DWORD dst_unused:UNUSED_PAD src0_sel:WORD_1
	v_cvt_f32_u32_sdwa v38, v5 dst_sel:DWORD dst_unused:UNUSED_PAD src0_sel:WORD_0
	;;#ASMSTART
	v_pk_mul_f32 v[26:27], v[26:27], v[30:31]
	;;#ASMEND
	;;#ASMSTART
	v_pk_mul_f32 v[24:25], v[24:25], v[34:35]
	;;#ASMEND
	;; [unrolled: 3-line block ×3, first 2 shown]
	s_and_b32 s1, s1, 0xffff
	v_perm_b32 v2, v17, v16, s4
	v_perm_b32 v3, v21, v20, s4
	;; [unrolled: 1-line block ×4, first 2 shown]
	;;#ASMSTART
	v_pk_mul_f32 v[18:19], v[18:19], v[38:39]
	;;#ASMEND
	buffer_store_dwordx4 v[2:5], v1, s[0:3], 0 offen
	;;#ASMSTART
	s_nop 0
	;;#ASMEND
	s_nop 0
	v_perm_b32 v2, v13, v12, s4
	v_perm_b32 v3, v41, v40, s4
	v_perm_b32 v4, v11, v10, s4
	v_perm_b32 v5, v37, v36, s4
	buffer_store_dwordx4 v[2:5], v1, s[0:3], 16 offen
	;;#ASMSTART
	s_nop 0
	;;#ASMEND
	s_nop 0
	v_perm_b32 v2, v9, v8, s4
	v_perm_b32 v3, v33, v32, s4
	v_perm_b32 v4, v7, v6, s4
	v_perm_b32 v5, v29, v28, s4
	;; [unrolled: 9-line block ×3, first 2 shown]
	buffer_store_dwordx4 v[2:5], v1, s[0:3], 48 offen
	;;#ASMSTART
	s_nop 0
	;;#ASMEND
.LBB160_4:
	s_endpgm
	.section	.rodata,"a",@progbits
	.p2align	6, 0x0
	.amdhsa_kernel _ZN5aiter24add_rmsnorm_quant_kernelIttLi256ELi32ELb0ELb0ELb0ELi1EEEvPT0_PT_PfS4_S4_S4_diiiiiiib
		.amdhsa_group_segment_fixed_size 16
		.amdhsa_private_segment_fixed_size 0
		.amdhsa_kernarg_size 88
		.amdhsa_user_sgpr_count 6
		.amdhsa_user_sgpr_private_segment_buffer 1
		.amdhsa_user_sgpr_dispatch_ptr 0
		.amdhsa_user_sgpr_queue_ptr 0
		.amdhsa_user_sgpr_kernarg_segment_ptr 1
		.amdhsa_user_sgpr_dispatch_id 0
		.amdhsa_user_sgpr_flat_scratch_init 0
		.amdhsa_user_sgpr_kernarg_preload_length 0
		.amdhsa_user_sgpr_kernarg_preload_offset 0
		.amdhsa_user_sgpr_private_segment_size 0
		.amdhsa_uses_dynamic_stack 0
		.amdhsa_system_sgpr_private_segment_wavefront_offset 0
		.amdhsa_system_sgpr_workgroup_id_x 1
		.amdhsa_system_sgpr_workgroup_id_y 0
		.amdhsa_system_sgpr_workgroup_id_z 0
		.amdhsa_system_sgpr_workgroup_info 0
		.amdhsa_system_vgpr_workitem_id 0
		.amdhsa_next_free_vgpr 60
		.amdhsa_next_free_sgpr 20
		.amdhsa_accum_offset 60
		.amdhsa_reserve_vcc 1
		.amdhsa_reserve_flat_scratch 0
		.amdhsa_float_round_mode_32 0
		.amdhsa_float_round_mode_16_64 0
		.amdhsa_float_denorm_mode_32 3
		.amdhsa_float_denorm_mode_16_64 3
		.amdhsa_dx10_clamp 1
		.amdhsa_ieee_mode 1
		.amdhsa_fp16_overflow 0
		.amdhsa_tg_split 0
		.amdhsa_exception_fp_ieee_invalid_op 0
		.amdhsa_exception_fp_denorm_src 0
		.amdhsa_exception_fp_ieee_div_zero 0
		.amdhsa_exception_fp_ieee_overflow 0
		.amdhsa_exception_fp_ieee_underflow 0
		.amdhsa_exception_fp_ieee_inexact 0
		.amdhsa_exception_int_div_zero 0
	.end_amdhsa_kernel
	.section	.text._ZN5aiter24add_rmsnorm_quant_kernelIttLi256ELi32ELb0ELb0ELb0ELi1EEEvPT0_PT_PfS4_S4_S4_diiiiiiib,"axG",@progbits,_ZN5aiter24add_rmsnorm_quant_kernelIttLi256ELi32ELb0ELb0ELb0ELi1EEEvPT0_PT_PfS4_S4_S4_diiiiiiib,comdat
.Lfunc_end160:
	.size	_ZN5aiter24add_rmsnorm_quant_kernelIttLi256ELi32ELb0ELb0ELb0ELi1EEEvPT0_PT_PfS4_S4_S4_diiiiiiib, .Lfunc_end160-_ZN5aiter24add_rmsnorm_quant_kernelIttLi256ELi32ELb0ELb0ELb0ELi1EEEvPT0_PT_PfS4_S4_S4_diiiiiiib
                                        ; -- End function
	.section	.AMDGPU.csdata,"",@progbits
; Kernel info:
; codeLenInByte = 1856
; NumSgprs: 24
; NumVgprs: 60
; NumAgprs: 0
; TotalNumVgprs: 60
; ScratchSize: 0
; MemoryBound: 0
; FloatMode: 240
; IeeeMode: 1
; LDSByteSize: 16 bytes/workgroup (compile time only)
; SGPRBlocks: 2
; VGPRBlocks: 7
; NumSGPRsForWavesPerEU: 24
; NumVGPRsForWavesPerEU: 60
; AccumOffset: 60
; Occupancy: 8
; WaveLimiterHint : 1
; COMPUTE_PGM_RSRC2:SCRATCH_EN: 0
; COMPUTE_PGM_RSRC2:USER_SGPR: 6
; COMPUTE_PGM_RSRC2:TRAP_HANDLER: 0
; COMPUTE_PGM_RSRC2:TGID_X_EN: 1
; COMPUTE_PGM_RSRC2:TGID_Y_EN: 0
; COMPUTE_PGM_RSRC2:TGID_Z_EN: 0
; COMPUTE_PGM_RSRC2:TIDIG_COMP_CNT: 0
; COMPUTE_PGM_RSRC3_GFX90A:ACCUM_OFFSET: 14
; COMPUTE_PGM_RSRC3_GFX90A:TG_SPLIT: 0
	.text
	.p2alignl 6, 3212836864
	.fill 256, 4, 3212836864
	.type	__hip_cuid_a0df1401aa4359f7,@object ; @__hip_cuid_a0df1401aa4359f7
	.section	.bss,"aw",@nobits
	.globl	__hip_cuid_a0df1401aa4359f7
__hip_cuid_a0df1401aa4359f7:
	.byte	0                               ; 0x0
	.size	__hip_cuid_a0df1401aa4359f7, 1

	.ident	"AMD clang version 19.0.0git (https://github.com/RadeonOpenCompute/llvm-project roc-6.4.0 25133 c7fe45cf4b819c5991fe208aaa96edf142730f1d)"
	.section	".note.GNU-stack","",@progbits
	.addrsig
	.addrsig_sym __hip_cuid_a0df1401aa4359f7
	.amdgpu_metadata
---
amdhsa.kernels:
  - .agpr_count:     0
    .args:           []
    .group_segment_fixed_size: 0
    .kernarg_segment_align: 4
    .kernarg_segment_size: 0
    .language:       OpenCL C
    .language_version:
      - 2
      - 0
    .max_flat_workgroup_size: 1024
    .name:           _ZN7ck_tileL11flush_cacheEv
    .private_segment_fixed_size: 0
    .sgpr_count:     4
    .sgpr_spill_count: 0
    .symbol:         _ZN7ck_tileL11flush_cacheEv.kd
    .uniform_work_group_size: 1
    .uses_dynamic_stack: false
    .vgpr_count:     0
    .vgpr_spill_count: 0
    .wavefront_size: 64
  - .agpr_count:     0
    .args:
      - .address_space:  global
        .offset:         0
        .size:           8
        .value_kind:     global_buffer
      - .address_space:  global
        .offset:         8
        .size:           8
        .value_kind:     global_buffer
      - .address_space:  global
        .offset:         16
        .size:           8
        .value_kind:     global_buffer
      - .address_space:  global
        .offset:         24
        .size:           8
        .value_kind:     global_buffer
      - .address_space:  global
        .offset:         32
        .size:           8
        .value_kind:     global_buffer
      - .address_space:  global
        .offset:         40
        .size:           8
        .value_kind:     global_buffer
      - .offset:         48
        .size:           8
        .value_kind:     by_value
      - .offset:         56
        .size:           4
        .value_kind:     by_value
      - .offset:         60
        .size:           4
        .value_kind:     by_value
      - .offset:         64
        .size:           4
        .value_kind:     by_value
      - .offset:         68
        .size:           4
        .value_kind:     by_value
      - .offset:         72
        .size:           4
        .value_kind:     by_value
      - .offset:         76
        .size:           4
        .value_kind:     by_value
      - .offset:         80
        .size:           4
        .value_kind:     by_value
      - .offset:         84
        .size:           1
        .value_kind:     by_value
    .group_segment_fixed_size: 0
    .kernarg_segment_align: 8
    .kernarg_segment_size: 88
    .language:       OpenCL C
    .language_version:
      - 2
      - 0
    .max_flat_workgroup_size: 1024
    .name:           _ZN5aiter24add_rmsnorm_quant_kernelIDF16_DB8_Li64ELi8ELb1ELb1ELb1ELi1EEEvPT0_PT_PfS5_S5_S5_diiiiiiib
    .private_segment_fixed_size: 0
    .sgpr_count:     44
    .sgpr_spill_count: 0
    .symbol:         _ZN5aiter24add_rmsnorm_quant_kernelIDF16_DB8_Li64ELi8ELb1ELb1ELb1ELi1EEEvPT0_PT_PfS5_S5_S5_diiiiiiib.kd
    .uniform_work_group_size: 1
    .uses_dynamic_stack: false
    .vgpr_count:     38
    .vgpr_spill_count: 0
    .wavefront_size: 64
  - .agpr_count:     0
    .args:
      - .address_space:  global
        .offset:         0
        .size:           8
        .value_kind:     global_buffer
      - .address_space:  global
        .offset:         8
        .size:           8
        .value_kind:     global_buffer
      - .address_space:  global
        .offset:         16
        .size:           8
        .value_kind:     global_buffer
      - .address_space:  global
        .offset:         24
        .size:           8
        .value_kind:     global_buffer
      - .address_space:  global
        .offset:         32
        .size:           8
        .value_kind:     global_buffer
      - .address_space:  global
        .offset:         40
        .size:           8
        .value_kind:     global_buffer
      - .offset:         48
        .size:           8
        .value_kind:     by_value
      - .offset:         56
        .size:           4
        .value_kind:     by_value
      - .offset:         60
        .size:           4
        .value_kind:     by_value
      - .offset:         64
        .size:           4
        .value_kind:     by_value
      - .offset:         68
        .size:           4
        .value_kind:     by_value
      - .offset:         72
        .size:           4
        .value_kind:     by_value
      - .offset:         76
        .size:           4
        .value_kind:     by_value
      - .offset:         80
        .size:           4
        .value_kind:     by_value
      - .offset:         84
        .size:           1
        .value_kind:     by_value
    .group_segment_fixed_size: 0
    .kernarg_segment_align: 8
    .kernarg_segment_size: 88
    .language:       OpenCL C
    .language_version:
      - 2
      - 0
    .max_flat_workgroup_size: 1024
    .name:           _ZN5aiter24add_rmsnorm_quant_kernelItDB8_Li64ELi8ELb1ELb1ELb1ELi1EEEvPT0_PT_PfS5_S5_S5_diiiiiiib
    .private_segment_fixed_size: 0
    .sgpr_count:     44
    .sgpr_spill_count: 0
    .symbol:         _ZN5aiter24add_rmsnorm_quant_kernelItDB8_Li64ELi8ELb1ELb1ELb1ELi1EEEvPT0_PT_PfS5_S5_S5_diiiiiiib.kd
    .uniform_work_group_size: 1
    .uses_dynamic_stack: false
    .vgpr_count:     35
    .vgpr_spill_count: 0
    .wavefront_size: 64
  - .agpr_count:     0
    .args:
      - .address_space:  global
        .offset:         0
        .size:           8
        .value_kind:     global_buffer
      - .address_space:  global
        .offset:         8
        .size:           8
        .value_kind:     global_buffer
      - .address_space:  global
        .offset:         16
        .size:           8
        .value_kind:     global_buffer
      - .address_space:  global
        .offset:         24
        .size:           8
        .value_kind:     global_buffer
      - .address_space:  global
        .offset:         32
        .size:           8
        .value_kind:     global_buffer
      - .address_space:  global
        .offset:         40
        .size:           8
        .value_kind:     global_buffer
      - .offset:         48
        .size:           8
        .value_kind:     by_value
      - .offset:         56
        .size:           4
        .value_kind:     by_value
      - .offset:         60
        .size:           4
        .value_kind:     by_value
      - .offset:         64
        .size:           4
        .value_kind:     by_value
      - .offset:         68
        .size:           4
        .value_kind:     by_value
      - .offset:         72
        .size:           4
        .value_kind:     by_value
      - .offset:         76
        .size:           4
        .value_kind:     by_value
      - .offset:         80
        .size:           4
        .value_kind:     by_value
      - .offset:         84
        .size:           1
        .value_kind:     by_value
    .group_segment_fixed_size: 0
    .kernarg_segment_align: 8
    .kernarg_segment_size: 88
    .language:       OpenCL C
    .language_version:
      - 2
      - 0
    .max_flat_workgroup_size: 1024
    .name:           _ZN5aiter24add_rmsnorm_quant_kernelIDF16_DB8_Li64ELi8ELb1ELb1ELb0ELi1EEEvPT0_PT_PfS5_S5_S5_diiiiiiib
    .private_segment_fixed_size: 0
    .sgpr_count:     44
    .sgpr_spill_count: 0
    .symbol:         _ZN5aiter24add_rmsnorm_quant_kernelIDF16_DB8_Li64ELi8ELb1ELb1ELb0ELi1EEEvPT0_PT_PfS5_S5_S5_diiiiiiib.kd
    .uniform_work_group_size: 1
    .uses_dynamic_stack: false
    .vgpr_count:     38
    .vgpr_spill_count: 0
    .wavefront_size: 64
  - .agpr_count:     0
    .args:
      - .address_space:  global
        .offset:         0
        .size:           8
        .value_kind:     global_buffer
      - .address_space:  global
        .offset:         8
        .size:           8
        .value_kind:     global_buffer
      - .address_space:  global
        .offset:         16
        .size:           8
        .value_kind:     global_buffer
      - .address_space:  global
        .offset:         24
        .size:           8
        .value_kind:     global_buffer
      - .address_space:  global
        .offset:         32
        .size:           8
        .value_kind:     global_buffer
      - .address_space:  global
        .offset:         40
        .size:           8
        .value_kind:     global_buffer
      - .offset:         48
        .size:           8
        .value_kind:     by_value
      - .offset:         56
        .size:           4
        .value_kind:     by_value
      - .offset:         60
        .size:           4
        .value_kind:     by_value
      - .offset:         64
        .size:           4
        .value_kind:     by_value
      - .offset:         68
        .size:           4
        .value_kind:     by_value
      - .offset:         72
        .size:           4
        .value_kind:     by_value
      - .offset:         76
        .size:           4
        .value_kind:     by_value
      - .offset:         80
        .size:           4
        .value_kind:     by_value
      - .offset:         84
        .size:           1
        .value_kind:     by_value
    .group_segment_fixed_size: 0
    .kernarg_segment_align: 8
    .kernarg_segment_size: 88
    .language:       OpenCL C
    .language_version:
      - 2
      - 0
    .max_flat_workgroup_size: 1024
    .name:           _ZN5aiter24add_rmsnorm_quant_kernelItDB8_Li64ELi8ELb1ELb1ELb0ELi1EEEvPT0_PT_PfS5_S5_S5_diiiiiiib
    .private_segment_fixed_size: 0
    .sgpr_count:     44
    .sgpr_spill_count: 0
    .symbol:         _ZN5aiter24add_rmsnorm_quant_kernelItDB8_Li64ELi8ELb1ELb1ELb0ELi1EEEvPT0_PT_PfS5_S5_S5_diiiiiiib.kd
    .uniform_work_group_size: 1
    .uses_dynamic_stack: false
    .vgpr_count:     35
    .vgpr_spill_count: 0
    .wavefront_size: 64
  - .agpr_count:     0
    .args:
      - .address_space:  global
        .offset:         0
        .size:           8
        .value_kind:     global_buffer
      - .address_space:  global
        .offset:         8
        .size:           8
        .value_kind:     global_buffer
      - .address_space:  global
        .offset:         16
        .size:           8
        .value_kind:     global_buffer
      - .address_space:  global
        .offset:         24
        .size:           8
        .value_kind:     global_buffer
      - .address_space:  global
        .offset:         32
        .size:           8
        .value_kind:     global_buffer
      - .address_space:  global
        .offset:         40
        .size:           8
        .value_kind:     global_buffer
      - .offset:         48
        .size:           8
        .value_kind:     by_value
      - .offset:         56
        .size:           4
        .value_kind:     by_value
      - .offset:         60
        .size:           4
        .value_kind:     by_value
      - .offset:         64
        .size:           4
        .value_kind:     by_value
      - .offset:         68
        .size:           4
        .value_kind:     by_value
      - .offset:         72
        .size:           4
        .value_kind:     by_value
      - .offset:         76
        .size:           4
        .value_kind:     by_value
      - .offset:         80
        .size:           4
        .value_kind:     by_value
      - .offset:         84
        .size:           1
        .value_kind:     by_value
    .group_segment_fixed_size: 16
    .kernarg_segment_align: 8
    .kernarg_segment_size: 88
    .language:       OpenCL C
    .language_version:
      - 2
      - 0
    .max_flat_workgroup_size: 1024
    .name:           _ZN5aiter24add_rmsnorm_quant_kernelIDF16_DB8_Li128ELi8ELb1ELb1ELb1ELi1EEEvPT0_PT_PfS5_S5_S5_diiiiiiib
    .private_segment_fixed_size: 0
    .sgpr_count:     44
    .sgpr_spill_count: 0
    .symbol:         _ZN5aiter24add_rmsnorm_quant_kernelIDF16_DB8_Li128ELi8ELb1ELb1ELb1ELi1EEEvPT0_PT_PfS5_S5_S5_diiiiiiib.kd
    .uniform_work_group_size: 1
    .uses_dynamic_stack: false
    .vgpr_count:     32
    .vgpr_spill_count: 0
    .wavefront_size: 64
  - .agpr_count:     0
    .args:
      - .address_space:  global
        .offset:         0
        .size:           8
        .value_kind:     global_buffer
      - .address_space:  global
        .offset:         8
        .size:           8
        .value_kind:     global_buffer
      - .address_space:  global
        .offset:         16
        .size:           8
        .value_kind:     global_buffer
      - .address_space:  global
        .offset:         24
        .size:           8
        .value_kind:     global_buffer
      - .address_space:  global
        .offset:         32
        .size:           8
        .value_kind:     global_buffer
      - .address_space:  global
        .offset:         40
        .size:           8
        .value_kind:     global_buffer
      - .offset:         48
        .size:           8
        .value_kind:     by_value
      - .offset:         56
        .size:           4
        .value_kind:     by_value
      - .offset:         60
        .size:           4
        .value_kind:     by_value
      - .offset:         64
        .size:           4
        .value_kind:     by_value
      - .offset:         68
        .size:           4
        .value_kind:     by_value
      - .offset:         72
        .size:           4
        .value_kind:     by_value
      - .offset:         76
        .size:           4
        .value_kind:     by_value
      - .offset:         80
        .size:           4
        .value_kind:     by_value
      - .offset:         84
        .size:           1
        .value_kind:     by_value
    .group_segment_fixed_size: 16
    .kernarg_segment_align: 8
    .kernarg_segment_size: 88
    .language:       OpenCL C
    .language_version:
      - 2
      - 0
    .max_flat_workgroup_size: 1024
    .name:           _ZN5aiter24add_rmsnorm_quant_kernelItDB8_Li128ELi8ELb1ELb1ELb1ELi1EEEvPT0_PT_PfS5_S5_S5_diiiiiiib
    .private_segment_fixed_size: 0
    .sgpr_count:     44
    .sgpr_spill_count: 0
    .symbol:         _ZN5aiter24add_rmsnorm_quant_kernelItDB8_Li128ELi8ELb1ELb1ELb1ELi1EEEvPT0_PT_PfS5_S5_S5_diiiiiiib.kd
    .uniform_work_group_size: 1
    .uses_dynamic_stack: false
    .vgpr_count:     27
    .vgpr_spill_count: 0
    .wavefront_size: 64
  - .agpr_count:     0
    .args:
      - .address_space:  global
        .offset:         0
        .size:           8
        .value_kind:     global_buffer
      - .address_space:  global
        .offset:         8
        .size:           8
        .value_kind:     global_buffer
      - .address_space:  global
        .offset:         16
        .size:           8
        .value_kind:     global_buffer
      - .address_space:  global
        .offset:         24
        .size:           8
        .value_kind:     global_buffer
      - .address_space:  global
        .offset:         32
        .size:           8
        .value_kind:     global_buffer
      - .address_space:  global
        .offset:         40
        .size:           8
        .value_kind:     global_buffer
      - .offset:         48
        .size:           8
        .value_kind:     by_value
      - .offset:         56
        .size:           4
        .value_kind:     by_value
      - .offset:         60
        .size:           4
        .value_kind:     by_value
      - .offset:         64
        .size:           4
        .value_kind:     by_value
      - .offset:         68
        .size:           4
        .value_kind:     by_value
      - .offset:         72
        .size:           4
        .value_kind:     by_value
      - .offset:         76
        .size:           4
        .value_kind:     by_value
      - .offset:         80
        .size:           4
        .value_kind:     by_value
      - .offset:         84
        .size:           1
        .value_kind:     by_value
    .group_segment_fixed_size: 16
    .kernarg_segment_align: 8
    .kernarg_segment_size: 88
    .language:       OpenCL C
    .language_version:
      - 2
      - 0
    .max_flat_workgroup_size: 1024
    .name:           _ZN5aiter24add_rmsnorm_quant_kernelIDF16_DB8_Li128ELi8ELb1ELb1ELb0ELi1EEEvPT0_PT_PfS5_S5_S5_diiiiiiib
    .private_segment_fixed_size: 0
    .sgpr_count:     44
    .sgpr_spill_count: 0
    .symbol:         _ZN5aiter24add_rmsnorm_quant_kernelIDF16_DB8_Li128ELi8ELb1ELb1ELb0ELi1EEEvPT0_PT_PfS5_S5_S5_diiiiiiib.kd
    .uniform_work_group_size: 1
    .uses_dynamic_stack: false
    .vgpr_count:     32
    .vgpr_spill_count: 0
    .wavefront_size: 64
  - .agpr_count:     0
    .args:
      - .address_space:  global
        .offset:         0
        .size:           8
        .value_kind:     global_buffer
      - .address_space:  global
        .offset:         8
        .size:           8
        .value_kind:     global_buffer
      - .address_space:  global
        .offset:         16
        .size:           8
        .value_kind:     global_buffer
      - .address_space:  global
        .offset:         24
        .size:           8
        .value_kind:     global_buffer
      - .address_space:  global
        .offset:         32
        .size:           8
        .value_kind:     global_buffer
      - .address_space:  global
        .offset:         40
        .size:           8
        .value_kind:     global_buffer
      - .offset:         48
        .size:           8
        .value_kind:     by_value
      - .offset:         56
        .size:           4
        .value_kind:     by_value
      - .offset:         60
        .size:           4
        .value_kind:     by_value
      - .offset:         64
        .size:           4
        .value_kind:     by_value
      - .offset:         68
        .size:           4
        .value_kind:     by_value
      - .offset:         72
        .size:           4
        .value_kind:     by_value
      - .offset:         76
        .size:           4
        .value_kind:     by_value
      - .offset:         80
        .size:           4
        .value_kind:     by_value
      - .offset:         84
        .size:           1
        .value_kind:     by_value
    .group_segment_fixed_size: 16
    .kernarg_segment_align: 8
    .kernarg_segment_size: 88
    .language:       OpenCL C
    .language_version:
      - 2
      - 0
    .max_flat_workgroup_size: 1024
    .name:           _ZN5aiter24add_rmsnorm_quant_kernelItDB8_Li128ELi8ELb1ELb1ELb0ELi1EEEvPT0_PT_PfS5_S5_S5_diiiiiiib
    .private_segment_fixed_size: 0
    .sgpr_count:     44
    .sgpr_spill_count: 0
    .symbol:         _ZN5aiter24add_rmsnorm_quant_kernelItDB8_Li128ELi8ELb1ELb1ELb0ELi1EEEvPT0_PT_PfS5_S5_S5_diiiiiiib.kd
    .uniform_work_group_size: 1
    .uses_dynamic_stack: false
    .vgpr_count:     27
    .vgpr_spill_count: 0
    .wavefront_size: 64
  - .agpr_count:     0
    .args:
      - .address_space:  global
        .offset:         0
        .size:           8
        .value_kind:     global_buffer
      - .address_space:  global
        .offset:         8
        .size:           8
        .value_kind:     global_buffer
      - .address_space:  global
        .offset:         16
        .size:           8
        .value_kind:     global_buffer
      - .address_space:  global
        .offset:         24
        .size:           8
        .value_kind:     global_buffer
      - .address_space:  global
        .offset:         32
        .size:           8
        .value_kind:     global_buffer
      - .address_space:  global
        .offset:         40
        .size:           8
        .value_kind:     global_buffer
      - .offset:         48
        .size:           8
        .value_kind:     by_value
      - .offset:         56
        .size:           4
        .value_kind:     by_value
      - .offset:         60
        .size:           4
        .value_kind:     by_value
      - .offset:         64
        .size:           4
        .value_kind:     by_value
      - .offset:         68
        .size:           4
        .value_kind:     by_value
      - .offset:         72
        .size:           4
        .value_kind:     by_value
      - .offset:         76
        .size:           4
        .value_kind:     by_value
      - .offset:         80
        .size:           4
        .value_kind:     by_value
      - .offset:         84
        .size:           1
        .value_kind:     by_value
    .group_segment_fixed_size: 32
    .kernarg_segment_align: 8
    .kernarg_segment_size: 88
    .language:       OpenCL C
    .language_version:
      - 2
      - 0
    .max_flat_workgroup_size: 1024
    .name:           _ZN5aiter24add_rmsnorm_quant_kernelIDF16_DB8_Li256ELi8ELb1ELb1ELb1ELi1EEEvPT0_PT_PfS5_S5_S5_diiiiiiib
    .private_segment_fixed_size: 0
    .sgpr_count:     44
    .sgpr_spill_count: 0
    .symbol:         _ZN5aiter24add_rmsnorm_quant_kernelIDF16_DB8_Li256ELi8ELb1ELb1ELb1ELi1EEEvPT0_PT_PfS5_S5_S5_diiiiiiib.kd
    .uniform_work_group_size: 1
    .uses_dynamic_stack: false
    .vgpr_count:     32
    .vgpr_spill_count: 0
    .wavefront_size: 64
  - .agpr_count:     0
    .args:
      - .address_space:  global
        .offset:         0
        .size:           8
        .value_kind:     global_buffer
      - .address_space:  global
        .offset:         8
        .size:           8
        .value_kind:     global_buffer
      - .address_space:  global
        .offset:         16
        .size:           8
        .value_kind:     global_buffer
      - .address_space:  global
        .offset:         24
        .size:           8
        .value_kind:     global_buffer
      - .address_space:  global
        .offset:         32
        .size:           8
        .value_kind:     global_buffer
      - .address_space:  global
        .offset:         40
        .size:           8
        .value_kind:     global_buffer
      - .offset:         48
        .size:           8
        .value_kind:     by_value
      - .offset:         56
        .size:           4
        .value_kind:     by_value
      - .offset:         60
        .size:           4
        .value_kind:     by_value
      - .offset:         64
        .size:           4
        .value_kind:     by_value
      - .offset:         68
        .size:           4
        .value_kind:     by_value
      - .offset:         72
        .size:           4
        .value_kind:     by_value
      - .offset:         76
        .size:           4
        .value_kind:     by_value
      - .offset:         80
        .size:           4
        .value_kind:     by_value
      - .offset:         84
        .size:           1
        .value_kind:     by_value
    .group_segment_fixed_size: 32
    .kernarg_segment_align: 8
    .kernarg_segment_size: 88
    .language:       OpenCL C
    .language_version:
      - 2
      - 0
    .max_flat_workgroup_size: 1024
    .name:           _ZN5aiter24add_rmsnorm_quant_kernelItDB8_Li256ELi8ELb1ELb1ELb1ELi1EEEvPT0_PT_PfS5_S5_S5_diiiiiiib
    .private_segment_fixed_size: 0
    .sgpr_count:     44
    .sgpr_spill_count: 0
    .symbol:         _ZN5aiter24add_rmsnorm_quant_kernelItDB8_Li256ELi8ELb1ELb1ELb1ELi1EEEvPT0_PT_PfS5_S5_S5_diiiiiiib.kd
    .uniform_work_group_size: 1
    .uses_dynamic_stack: false
    .vgpr_count:     27
    .vgpr_spill_count: 0
    .wavefront_size: 64
  - .agpr_count:     0
    .args:
      - .address_space:  global
        .offset:         0
        .size:           8
        .value_kind:     global_buffer
      - .address_space:  global
        .offset:         8
        .size:           8
        .value_kind:     global_buffer
      - .address_space:  global
        .offset:         16
        .size:           8
        .value_kind:     global_buffer
      - .address_space:  global
        .offset:         24
        .size:           8
        .value_kind:     global_buffer
      - .address_space:  global
        .offset:         32
        .size:           8
        .value_kind:     global_buffer
      - .address_space:  global
        .offset:         40
        .size:           8
        .value_kind:     global_buffer
      - .offset:         48
        .size:           8
        .value_kind:     by_value
      - .offset:         56
        .size:           4
        .value_kind:     by_value
      - .offset:         60
        .size:           4
        .value_kind:     by_value
      - .offset:         64
        .size:           4
        .value_kind:     by_value
      - .offset:         68
        .size:           4
        .value_kind:     by_value
      - .offset:         72
        .size:           4
        .value_kind:     by_value
      - .offset:         76
        .size:           4
        .value_kind:     by_value
      - .offset:         80
        .size:           4
        .value_kind:     by_value
      - .offset:         84
        .size:           1
        .value_kind:     by_value
    .group_segment_fixed_size: 32
    .kernarg_segment_align: 8
    .kernarg_segment_size: 88
    .language:       OpenCL C
    .language_version:
      - 2
      - 0
    .max_flat_workgroup_size: 1024
    .name:           _ZN5aiter24add_rmsnorm_quant_kernelIDF16_DB8_Li256ELi8ELb1ELb1ELb0ELi1EEEvPT0_PT_PfS5_S5_S5_diiiiiiib
    .private_segment_fixed_size: 0
    .sgpr_count:     44
    .sgpr_spill_count: 0
    .symbol:         _ZN5aiter24add_rmsnorm_quant_kernelIDF16_DB8_Li256ELi8ELb1ELb1ELb0ELi1EEEvPT0_PT_PfS5_S5_S5_diiiiiiib.kd
    .uniform_work_group_size: 1
    .uses_dynamic_stack: false
    .vgpr_count:     32
    .vgpr_spill_count: 0
    .wavefront_size: 64
  - .agpr_count:     0
    .args:
      - .address_space:  global
        .offset:         0
        .size:           8
        .value_kind:     global_buffer
      - .address_space:  global
        .offset:         8
        .size:           8
        .value_kind:     global_buffer
      - .address_space:  global
        .offset:         16
        .size:           8
        .value_kind:     global_buffer
      - .address_space:  global
        .offset:         24
        .size:           8
        .value_kind:     global_buffer
      - .address_space:  global
        .offset:         32
        .size:           8
        .value_kind:     global_buffer
      - .address_space:  global
        .offset:         40
        .size:           8
        .value_kind:     global_buffer
      - .offset:         48
        .size:           8
        .value_kind:     by_value
      - .offset:         56
        .size:           4
        .value_kind:     by_value
      - .offset:         60
        .size:           4
        .value_kind:     by_value
      - .offset:         64
        .size:           4
        .value_kind:     by_value
      - .offset:         68
        .size:           4
        .value_kind:     by_value
      - .offset:         72
        .size:           4
        .value_kind:     by_value
      - .offset:         76
        .size:           4
        .value_kind:     by_value
      - .offset:         80
        .size:           4
        .value_kind:     by_value
      - .offset:         84
        .size:           1
        .value_kind:     by_value
    .group_segment_fixed_size: 32
    .kernarg_segment_align: 8
    .kernarg_segment_size: 88
    .language:       OpenCL C
    .language_version:
      - 2
      - 0
    .max_flat_workgroup_size: 1024
    .name:           _ZN5aiter24add_rmsnorm_quant_kernelItDB8_Li256ELi8ELb1ELb1ELb0ELi1EEEvPT0_PT_PfS5_S5_S5_diiiiiiib
    .private_segment_fixed_size: 0
    .sgpr_count:     44
    .sgpr_spill_count: 0
    .symbol:         _ZN5aiter24add_rmsnorm_quant_kernelItDB8_Li256ELi8ELb1ELb1ELb0ELi1EEEvPT0_PT_PfS5_S5_S5_diiiiiiib.kd
    .uniform_work_group_size: 1
    .uses_dynamic_stack: false
    .vgpr_count:     27
    .vgpr_spill_count: 0
    .wavefront_size: 64
  - .agpr_count:     0
    .args:
      - .address_space:  global
        .offset:         0
        .size:           8
        .value_kind:     global_buffer
      - .address_space:  global
        .offset:         8
        .size:           8
        .value_kind:     global_buffer
      - .address_space:  global
        .offset:         16
        .size:           8
        .value_kind:     global_buffer
      - .address_space:  global
        .offset:         24
        .size:           8
        .value_kind:     global_buffer
      - .address_space:  global
        .offset:         32
        .size:           8
        .value_kind:     global_buffer
      - .address_space:  global
        .offset:         40
        .size:           8
        .value_kind:     global_buffer
      - .offset:         48
        .size:           8
        .value_kind:     by_value
      - .offset:         56
        .size:           4
        .value_kind:     by_value
      - .offset:         60
        .size:           4
        .value_kind:     by_value
      - .offset:         64
        .size:           4
        .value_kind:     by_value
      - .offset:         68
        .size:           4
        .value_kind:     by_value
      - .offset:         72
        .size:           4
        .value_kind:     by_value
      - .offset:         76
        .size:           4
        .value_kind:     by_value
      - .offset:         80
        .size:           4
        .value_kind:     by_value
      - .offset:         84
        .size:           1
        .value_kind:     by_value
    .group_segment_fixed_size: 32
    .kernarg_segment_align: 8
    .kernarg_segment_size: 88
    .language:       OpenCL C
    .language_version:
      - 2
      - 0
    .max_flat_workgroup_size: 1024
    .name:           _ZN5aiter24add_rmsnorm_quant_kernelIDF16_DB8_Li256ELi16ELb1ELb1ELb1ELi1EEEvPT0_PT_PfS5_S5_S5_diiiiiiib
    .private_segment_fixed_size: 0
    .sgpr_count:     44
    .sgpr_spill_count: 0
    .symbol:         _ZN5aiter24add_rmsnorm_quant_kernelIDF16_DB8_Li256ELi16ELb1ELb1ELb1ELi1EEEvPT0_PT_PfS5_S5_S5_diiiiiiib.kd
    .uniform_work_group_size: 1
    .uses_dynamic_stack: false
    .vgpr_count:     48
    .vgpr_spill_count: 0
    .wavefront_size: 64
  - .agpr_count:     0
    .args:
      - .address_space:  global
        .offset:         0
        .size:           8
        .value_kind:     global_buffer
      - .address_space:  global
        .offset:         8
        .size:           8
        .value_kind:     global_buffer
      - .address_space:  global
        .offset:         16
        .size:           8
        .value_kind:     global_buffer
      - .address_space:  global
        .offset:         24
        .size:           8
        .value_kind:     global_buffer
      - .address_space:  global
        .offset:         32
        .size:           8
        .value_kind:     global_buffer
      - .address_space:  global
        .offset:         40
        .size:           8
        .value_kind:     global_buffer
      - .offset:         48
        .size:           8
        .value_kind:     by_value
      - .offset:         56
        .size:           4
        .value_kind:     by_value
      - .offset:         60
        .size:           4
        .value_kind:     by_value
      - .offset:         64
        .size:           4
        .value_kind:     by_value
      - .offset:         68
        .size:           4
        .value_kind:     by_value
      - .offset:         72
        .size:           4
        .value_kind:     by_value
      - .offset:         76
        .size:           4
        .value_kind:     by_value
      - .offset:         80
        .size:           4
        .value_kind:     by_value
      - .offset:         84
        .size:           1
        .value_kind:     by_value
    .group_segment_fixed_size: 32
    .kernarg_segment_align: 8
    .kernarg_segment_size: 88
    .language:       OpenCL C
    .language_version:
      - 2
      - 0
    .max_flat_workgroup_size: 1024
    .name:           _ZN5aiter24add_rmsnorm_quant_kernelItDB8_Li256ELi16ELb1ELb1ELb1ELi1EEEvPT0_PT_PfS5_S5_S5_diiiiiiib
    .private_segment_fixed_size: 0
    .sgpr_count:     44
    .sgpr_spill_count: 0
    .symbol:         _ZN5aiter24add_rmsnorm_quant_kernelItDB8_Li256ELi16ELb1ELb1ELb1ELi1EEEvPT0_PT_PfS5_S5_S5_diiiiiiib.kd
    .uniform_work_group_size: 1
    .uses_dynamic_stack: false
    .vgpr_count:     48
    .vgpr_spill_count: 0
    .wavefront_size: 64
  - .agpr_count:     0
    .args:
      - .address_space:  global
        .offset:         0
        .size:           8
        .value_kind:     global_buffer
      - .address_space:  global
        .offset:         8
        .size:           8
        .value_kind:     global_buffer
      - .address_space:  global
        .offset:         16
        .size:           8
        .value_kind:     global_buffer
      - .address_space:  global
        .offset:         24
        .size:           8
        .value_kind:     global_buffer
      - .address_space:  global
        .offset:         32
        .size:           8
        .value_kind:     global_buffer
      - .address_space:  global
        .offset:         40
        .size:           8
        .value_kind:     global_buffer
      - .offset:         48
        .size:           8
        .value_kind:     by_value
      - .offset:         56
        .size:           4
        .value_kind:     by_value
      - .offset:         60
        .size:           4
        .value_kind:     by_value
      - .offset:         64
        .size:           4
        .value_kind:     by_value
      - .offset:         68
        .size:           4
        .value_kind:     by_value
      - .offset:         72
        .size:           4
        .value_kind:     by_value
      - .offset:         76
        .size:           4
        .value_kind:     by_value
      - .offset:         80
        .size:           4
        .value_kind:     by_value
      - .offset:         84
        .size:           1
        .value_kind:     by_value
    .group_segment_fixed_size: 32
    .kernarg_segment_align: 8
    .kernarg_segment_size: 88
    .language:       OpenCL C
    .language_version:
      - 2
      - 0
    .max_flat_workgroup_size: 1024
    .name:           _ZN5aiter24add_rmsnorm_quant_kernelIDF16_DB8_Li256ELi16ELb1ELb1ELb0ELi1EEEvPT0_PT_PfS5_S5_S5_diiiiiiib
    .private_segment_fixed_size: 0
    .sgpr_count:     44
    .sgpr_spill_count: 0
    .symbol:         _ZN5aiter24add_rmsnorm_quant_kernelIDF16_DB8_Li256ELi16ELb1ELb1ELb0ELi1EEEvPT0_PT_PfS5_S5_S5_diiiiiiib.kd
    .uniform_work_group_size: 1
    .uses_dynamic_stack: false
    .vgpr_count:     46
    .vgpr_spill_count: 0
    .wavefront_size: 64
  - .agpr_count:     0
    .args:
      - .address_space:  global
        .offset:         0
        .size:           8
        .value_kind:     global_buffer
      - .address_space:  global
        .offset:         8
        .size:           8
        .value_kind:     global_buffer
      - .address_space:  global
        .offset:         16
        .size:           8
        .value_kind:     global_buffer
      - .address_space:  global
        .offset:         24
        .size:           8
        .value_kind:     global_buffer
      - .address_space:  global
        .offset:         32
        .size:           8
        .value_kind:     global_buffer
      - .address_space:  global
        .offset:         40
        .size:           8
        .value_kind:     global_buffer
      - .offset:         48
        .size:           8
        .value_kind:     by_value
      - .offset:         56
        .size:           4
        .value_kind:     by_value
      - .offset:         60
        .size:           4
        .value_kind:     by_value
      - .offset:         64
        .size:           4
        .value_kind:     by_value
      - .offset:         68
        .size:           4
        .value_kind:     by_value
      - .offset:         72
        .size:           4
        .value_kind:     by_value
      - .offset:         76
        .size:           4
        .value_kind:     by_value
      - .offset:         80
        .size:           4
        .value_kind:     by_value
      - .offset:         84
        .size:           1
        .value_kind:     by_value
    .group_segment_fixed_size: 32
    .kernarg_segment_align: 8
    .kernarg_segment_size: 88
    .language:       OpenCL C
    .language_version:
      - 2
      - 0
    .max_flat_workgroup_size: 1024
    .name:           _ZN5aiter24add_rmsnorm_quant_kernelItDB8_Li256ELi16ELb1ELb1ELb0ELi1EEEvPT0_PT_PfS5_S5_S5_diiiiiiib
    .private_segment_fixed_size: 0
    .sgpr_count:     44
    .sgpr_spill_count: 0
    .symbol:         _ZN5aiter24add_rmsnorm_quant_kernelItDB8_Li256ELi16ELb1ELb1ELb0ELi1EEEvPT0_PT_PfS5_S5_S5_diiiiiiib.kd
    .uniform_work_group_size: 1
    .uses_dynamic_stack: false
    .vgpr_count:     46
    .vgpr_spill_count: 0
    .wavefront_size: 64
  - .agpr_count:     0
    .args:
      - .address_space:  global
        .offset:         0
        .size:           8
        .value_kind:     global_buffer
      - .address_space:  global
        .offset:         8
        .size:           8
        .value_kind:     global_buffer
      - .address_space:  global
        .offset:         16
        .size:           8
        .value_kind:     global_buffer
      - .address_space:  global
        .offset:         24
        .size:           8
        .value_kind:     global_buffer
      - .address_space:  global
        .offset:         32
        .size:           8
        .value_kind:     global_buffer
      - .address_space:  global
        .offset:         40
        .size:           8
        .value_kind:     global_buffer
      - .offset:         48
        .size:           8
        .value_kind:     by_value
      - .offset:         56
        .size:           4
        .value_kind:     by_value
      - .offset:         60
        .size:           4
        .value_kind:     by_value
      - .offset:         64
        .size:           4
        .value_kind:     by_value
      - .offset:         68
        .size:           4
        .value_kind:     by_value
      - .offset:         72
        .size:           4
        .value_kind:     by_value
      - .offset:         76
        .size:           4
        .value_kind:     by_value
      - .offset:         80
        .size:           4
        .value_kind:     by_value
      - .offset:         84
        .size:           1
        .value_kind:     by_value
    .group_segment_fixed_size: 32
    .kernarg_segment_align: 8
    .kernarg_segment_size: 88
    .language:       OpenCL C
    .language_version:
      - 2
      - 0
    .max_flat_workgroup_size: 1024
    .name:           _ZN5aiter24add_rmsnorm_quant_kernelIDF16_DB8_Li256ELi24ELb1ELb1ELb1ELi1EEEvPT0_PT_PfS5_S5_S5_diiiiiiib
    .private_segment_fixed_size: 0
    .sgpr_count:     44
    .sgpr_spill_count: 0
    .symbol:         _ZN5aiter24add_rmsnorm_quant_kernelIDF16_DB8_Li256ELi24ELb1ELb1ELb1ELi1EEEvPT0_PT_PfS5_S5_S5_diiiiiiib.kd
    .uniform_work_group_size: 1
    .uses_dynamic_stack: false
    .vgpr_count:     66
    .vgpr_spill_count: 0
    .wavefront_size: 64
  - .agpr_count:     0
    .args:
      - .address_space:  global
        .offset:         0
        .size:           8
        .value_kind:     global_buffer
      - .address_space:  global
        .offset:         8
        .size:           8
        .value_kind:     global_buffer
      - .address_space:  global
        .offset:         16
        .size:           8
        .value_kind:     global_buffer
      - .address_space:  global
        .offset:         24
        .size:           8
        .value_kind:     global_buffer
      - .address_space:  global
        .offset:         32
        .size:           8
        .value_kind:     global_buffer
      - .address_space:  global
        .offset:         40
        .size:           8
        .value_kind:     global_buffer
      - .offset:         48
        .size:           8
        .value_kind:     by_value
      - .offset:         56
        .size:           4
        .value_kind:     by_value
      - .offset:         60
        .size:           4
        .value_kind:     by_value
      - .offset:         64
        .size:           4
        .value_kind:     by_value
      - .offset:         68
        .size:           4
        .value_kind:     by_value
      - .offset:         72
        .size:           4
        .value_kind:     by_value
      - .offset:         76
        .size:           4
        .value_kind:     by_value
      - .offset:         80
        .size:           4
        .value_kind:     by_value
      - .offset:         84
        .size:           1
        .value_kind:     by_value
    .group_segment_fixed_size: 32
    .kernarg_segment_align: 8
    .kernarg_segment_size: 88
    .language:       OpenCL C
    .language_version:
      - 2
      - 0
    .max_flat_workgroup_size: 1024
    .name:           _ZN5aiter24add_rmsnorm_quant_kernelItDB8_Li256ELi24ELb1ELb1ELb1ELi1EEEvPT0_PT_PfS5_S5_S5_diiiiiiib
    .private_segment_fixed_size: 0
    .sgpr_count:     44
    .sgpr_spill_count: 0
    .symbol:         _ZN5aiter24add_rmsnorm_quant_kernelItDB8_Li256ELi24ELb1ELb1ELb1ELi1EEEvPT0_PT_PfS5_S5_S5_diiiiiiib.kd
    .uniform_work_group_size: 1
    .uses_dynamic_stack: false
    .vgpr_count:     68
    .vgpr_spill_count: 0
    .wavefront_size: 64
  - .agpr_count:     0
    .args:
      - .address_space:  global
        .offset:         0
        .size:           8
        .value_kind:     global_buffer
      - .address_space:  global
        .offset:         8
        .size:           8
        .value_kind:     global_buffer
      - .address_space:  global
        .offset:         16
        .size:           8
        .value_kind:     global_buffer
      - .address_space:  global
        .offset:         24
        .size:           8
        .value_kind:     global_buffer
      - .address_space:  global
        .offset:         32
        .size:           8
        .value_kind:     global_buffer
      - .address_space:  global
        .offset:         40
        .size:           8
        .value_kind:     global_buffer
      - .offset:         48
        .size:           8
        .value_kind:     by_value
      - .offset:         56
        .size:           4
        .value_kind:     by_value
      - .offset:         60
        .size:           4
        .value_kind:     by_value
      - .offset:         64
        .size:           4
        .value_kind:     by_value
      - .offset:         68
        .size:           4
        .value_kind:     by_value
      - .offset:         72
        .size:           4
        .value_kind:     by_value
      - .offset:         76
        .size:           4
        .value_kind:     by_value
      - .offset:         80
        .size:           4
        .value_kind:     by_value
      - .offset:         84
        .size:           1
        .value_kind:     by_value
    .group_segment_fixed_size: 32
    .kernarg_segment_align: 8
    .kernarg_segment_size: 88
    .language:       OpenCL C
    .language_version:
      - 2
      - 0
    .max_flat_workgroup_size: 1024
    .name:           _ZN5aiter24add_rmsnorm_quant_kernelIDF16_DB8_Li256ELi24ELb1ELb1ELb0ELi1EEEvPT0_PT_PfS5_S5_S5_diiiiiiib
    .private_segment_fixed_size: 0
    .sgpr_count:     44
    .sgpr_spill_count: 0
    .symbol:         _ZN5aiter24add_rmsnorm_quant_kernelIDF16_DB8_Li256ELi24ELb1ELb1ELb0ELi1EEEvPT0_PT_PfS5_S5_S5_diiiiiiib.kd
    .uniform_work_group_size: 1
    .uses_dynamic_stack: false
    .vgpr_count:     64
    .vgpr_spill_count: 0
    .wavefront_size: 64
  - .agpr_count:     0
    .args:
      - .address_space:  global
        .offset:         0
        .size:           8
        .value_kind:     global_buffer
      - .address_space:  global
        .offset:         8
        .size:           8
        .value_kind:     global_buffer
      - .address_space:  global
        .offset:         16
        .size:           8
        .value_kind:     global_buffer
      - .address_space:  global
        .offset:         24
        .size:           8
        .value_kind:     global_buffer
      - .address_space:  global
        .offset:         32
        .size:           8
        .value_kind:     global_buffer
      - .address_space:  global
        .offset:         40
        .size:           8
        .value_kind:     global_buffer
      - .offset:         48
        .size:           8
        .value_kind:     by_value
      - .offset:         56
        .size:           4
        .value_kind:     by_value
      - .offset:         60
        .size:           4
        .value_kind:     by_value
      - .offset:         64
        .size:           4
        .value_kind:     by_value
      - .offset:         68
        .size:           4
        .value_kind:     by_value
      - .offset:         72
        .size:           4
        .value_kind:     by_value
      - .offset:         76
        .size:           4
        .value_kind:     by_value
      - .offset:         80
        .size:           4
        .value_kind:     by_value
      - .offset:         84
        .size:           1
        .value_kind:     by_value
    .group_segment_fixed_size: 32
    .kernarg_segment_align: 8
    .kernarg_segment_size: 88
    .language:       OpenCL C
    .language_version:
      - 2
      - 0
    .max_flat_workgroup_size: 1024
    .name:           _ZN5aiter24add_rmsnorm_quant_kernelItDB8_Li256ELi24ELb1ELb1ELb0ELi1EEEvPT0_PT_PfS5_S5_S5_diiiiiiib
    .private_segment_fixed_size: 0
    .sgpr_count:     44
    .sgpr_spill_count: 0
    .symbol:         _ZN5aiter24add_rmsnorm_quant_kernelItDB8_Li256ELi24ELb1ELb1ELb0ELi1EEEvPT0_PT_PfS5_S5_S5_diiiiiiib.kd
    .uniform_work_group_size: 1
    .uses_dynamic_stack: false
    .vgpr_count:     66
    .vgpr_spill_count: 0
    .wavefront_size: 64
  - .agpr_count:     0
    .args:
      - .address_space:  global
        .offset:         0
        .size:           8
        .value_kind:     global_buffer
      - .address_space:  global
        .offset:         8
        .size:           8
        .value_kind:     global_buffer
      - .address_space:  global
        .offset:         16
        .size:           8
        .value_kind:     global_buffer
      - .address_space:  global
        .offset:         24
        .size:           8
        .value_kind:     global_buffer
      - .address_space:  global
        .offset:         32
        .size:           8
        .value_kind:     global_buffer
      - .address_space:  global
        .offset:         40
        .size:           8
        .value_kind:     global_buffer
      - .offset:         48
        .size:           8
        .value_kind:     by_value
      - .offset:         56
        .size:           4
        .value_kind:     by_value
      - .offset:         60
        .size:           4
        .value_kind:     by_value
      - .offset:         64
        .size:           4
        .value_kind:     by_value
      - .offset:         68
        .size:           4
        .value_kind:     by_value
      - .offset:         72
        .size:           4
        .value_kind:     by_value
      - .offset:         76
        .size:           4
        .value_kind:     by_value
      - .offset:         80
        .size:           4
        .value_kind:     by_value
      - .offset:         84
        .size:           1
        .value_kind:     by_value
    .group_segment_fixed_size: 32
    .kernarg_segment_align: 8
    .kernarg_segment_size: 88
    .language:       OpenCL C
    .language_version:
      - 2
      - 0
    .max_flat_workgroup_size: 1024
    .name:           _ZN5aiter24add_rmsnorm_quant_kernelIDF16_DB8_Li256ELi32ELb1ELb1ELb1ELi1EEEvPT0_PT_PfS5_S5_S5_diiiiiiib
    .private_segment_fixed_size: 0
    .sgpr_count:     44
    .sgpr_spill_count: 0
    .symbol:         _ZN5aiter24add_rmsnorm_quant_kernelIDF16_DB8_Li256ELi32ELb1ELb1ELb1ELi1EEEvPT0_PT_PfS5_S5_S5_diiiiiiib.kd
    .uniform_work_group_size: 1
    .uses_dynamic_stack: false
    .vgpr_count:     70
    .vgpr_spill_count: 0
    .wavefront_size: 64
  - .agpr_count:     0
    .args:
      - .address_space:  global
        .offset:         0
        .size:           8
        .value_kind:     global_buffer
      - .address_space:  global
        .offset:         8
        .size:           8
        .value_kind:     global_buffer
      - .address_space:  global
        .offset:         16
        .size:           8
        .value_kind:     global_buffer
      - .address_space:  global
        .offset:         24
        .size:           8
        .value_kind:     global_buffer
      - .address_space:  global
        .offset:         32
        .size:           8
        .value_kind:     global_buffer
      - .address_space:  global
        .offset:         40
        .size:           8
        .value_kind:     global_buffer
      - .offset:         48
        .size:           8
        .value_kind:     by_value
      - .offset:         56
        .size:           4
        .value_kind:     by_value
      - .offset:         60
        .size:           4
        .value_kind:     by_value
      - .offset:         64
        .size:           4
        .value_kind:     by_value
      - .offset:         68
        .size:           4
        .value_kind:     by_value
      - .offset:         72
        .size:           4
        .value_kind:     by_value
      - .offset:         76
        .size:           4
        .value_kind:     by_value
      - .offset:         80
        .size:           4
        .value_kind:     by_value
      - .offset:         84
        .size:           1
        .value_kind:     by_value
    .group_segment_fixed_size: 32
    .kernarg_segment_align: 8
    .kernarg_segment_size: 88
    .language:       OpenCL C
    .language_version:
      - 2
      - 0
    .max_flat_workgroup_size: 1024
    .name:           _ZN5aiter24add_rmsnorm_quant_kernelItDB8_Li256ELi32ELb1ELb1ELb1ELi1EEEvPT0_PT_PfS5_S5_S5_diiiiiiib
    .private_segment_fixed_size: 0
    .sgpr_count:     44
    .sgpr_spill_count: 0
    .symbol:         _ZN5aiter24add_rmsnorm_quant_kernelItDB8_Li256ELi32ELb1ELb1ELb1ELi1EEEvPT0_PT_PfS5_S5_S5_diiiiiiib.kd
    .uniform_work_group_size: 1
    .uses_dynamic_stack: false
    .vgpr_count:     70
    .vgpr_spill_count: 0
    .wavefront_size: 64
  - .agpr_count:     0
    .args:
      - .address_space:  global
        .offset:         0
        .size:           8
        .value_kind:     global_buffer
      - .address_space:  global
        .offset:         8
        .size:           8
        .value_kind:     global_buffer
      - .address_space:  global
        .offset:         16
        .size:           8
        .value_kind:     global_buffer
      - .address_space:  global
        .offset:         24
        .size:           8
        .value_kind:     global_buffer
      - .address_space:  global
        .offset:         32
        .size:           8
        .value_kind:     global_buffer
      - .address_space:  global
        .offset:         40
        .size:           8
        .value_kind:     global_buffer
      - .offset:         48
        .size:           8
        .value_kind:     by_value
      - .offset:         56
        .size:           4
        .value_kind:     by_value
      - .offset:         60
        .size:           4
        .value_kind:     by_value
      - .offset:         64
        .size:           4
        .value_kind:     by_value
      - .offset:         68
        .size:           4
        .value_kind:     by_value
      - .offset:         72
        .size:           4
        .value_kind:     by_value
      - .offset:         76
        .size:           4
        .value_kind:     by_value
      - .offset:         80
        .size:           4
        .value_kind:     by_value
      - .offset:         84
        .size:           1
        .value_kind:     by_value
    .group_segment_fixed_size: 32
    .kernarg_segment_align: 8
    .kernarg_segment_size: 88
    .language:       OpenCL C
    .language_version:
      - 2
      - 0
    .max_flat_workgroup_size: 1024
    .name:           _ZN5aiter24add_rmsnorm_quant_kernelIDF16_DB8_Li256ELi32ELb1ELb1ELb0ELi1EEEvPT0_PT_PfS5_S5_S5_diiiiiiib
    .private_segment_fixed_size: 0
    .sgpr_count:     44
    .sgpr_spill_count: 0
    .symbol:         _ZN5aiter24add_rmsnorm_quant_kernelIDF16_DB8_Li256ELi32ELb1ELb1ELb0ELi1EEEvPT0_PT_PfS5_S5_S5_diiiiiiib.kd
    .uniform_work_group_size: 1
    .uses_dynamic_stack: false
    .vgpr_count:     72
    .vgpr_spill_count: 0
    .wavefront_size: 64
  - .agpr_count:     0
    .args:
      - .address_space:  global
        .offset:         0
        .size:           8
        .value_kind:     global_buffer
      - .address_space:  global
        .offset:         8
        .size:           8
        .value_kind:     global_buffer
      - .address_space:  global
        .offset:         16
        .size:           8
        .value_kind:     global_buffer
      - .address_space:  global
        .offset:         24
        .size:           8
        .value_kind:     global_buffer
      - .address_space:  global
        .offset:         32
        .size:           8
        .value_kind:     global_buffer
      - .address_space:  global
        .offset:         40
        .size:           8
        .value_kind:     global_buffer
      - .offset:         48
        .size:           8
        .value_kind:     by_value
      - .offset:         56
        .size:           4
        .value_kind:     by_value
      - .offset:         60
        .size:           4
        .value_kind:     by_value
      - .offset:         64
        .size:           4
        .value_kind:     by_value
      - .offset:         68
        .size:           4
        .value_kind:     by_value
      - .offset:         72
        .size:           4
        .value_kind:     by_value
      - .offset:         76
        .size:           4
        .value_kind:     by_value
      - .offset:         80
        .size:           4
        .value_kind:     by_value
      - .offset:         84
        .size:           1
        .value_kind:     by_value
    .group_segment_fixed_size: 32
    .kernarg_segment_align: 8
    .kernarg_segment_size: 88
    .language:       OpenCL C
    .language_version:
      - 2
      - 0
    .max_flat_workgroup_size: 1024
    .name:           _ZN5aiter24add_rmsnorm_quant_kernelItDB8_Li256ELi32ELb1ELb1ELb0ELi1EEEvPT0_PT_PfS5_S5_S5_diiiiiiib
    .private_segment_fixed_size: 0
    .sgpr_count:     44
    .sgpr_spill_count: 0
    .symbol:         _ZN5aiter24add_rmsnorm_quant_kernelItDB8_Li256ELi32ELb1ELb1ELb0ELi1EEEvPT0_PT_PfS5_S5_S5_diiiiiiib.kd
    .uniform_work_group_size: 1
    .uses_dynamic_stack: false
    .vgpr_count:     66
    .vgpr_spill_count: 0
    .wavefront_size: 64
  - .agpr_count:     0
    .args:
      - .address_space:  global
        .offset:         0
        .size:           8
        .value_kind:     global_buffer
      - .address_space:  global
        .offset:         8
        .size:           8
        .value_kind:     global_buffer
      - .address_space:  global
        .offset:         16
        .size:           8
        .value_kind:     global_buffer
      - .address_space:  global
        .offset:         24
        .size:           8
        .value_kind:     global_buffer
      - .address_space:  global
        .offset:         32
        .size:           8
        .value_kind:     global_buffer
      - .address_space:  global
        .offset:         40
        .size:           8
        .value_kind:     global_buffer
      - .offset:         48
        .size:           8
        .value_kind:     by_value
      - .offset:         56
        .size:           4
        .value_kind:     by_value
      - .offset:         60
        .size:           4
        .value_kind:     by_value
      - .offset:         64
        .size:           4
        .value_kind:     by_value
      - .offset:         68
        .size:           4
        .value_kind:     by_value
      - .offset:         72
        .size:           4
        .value_kind:     by_value
      - .offset:         76
        .size:           4
        .value_kind:     by_value
      - .offset:         80
        .size:           4
        .value_kind:     by_value
      - .offset:         84
        .size:           1
        .value_kind:     by_value
    .group_segment_fixed_size: 64
    .kernarg_segment_align: 8
    .kernarg_segment_size: 88
    .language:       OpenCL C
    .language_version:
      - 2
      - 0
    .max_flat_workgroup_size: 1024
    .name:           _ZN5aiter24add_rmsnorm_quant_kernelIDF16_DB8_Li512ELi16ELb1ELb1ELb1ELi1EEEvPT0_PT_PfS5_S5_S5_diiiiiiib
    .private_segment_fixed_size: 0
    .sgpr_count:     44
    .sgpr_spill_count: 0
    .symbol:         _ZN5aiter24add_rmsnorm_quant_kernelIDF16_DB8_Li512ELi16ELb1ELb1ELb1ELi1EEEvPT0_PT_PfS5_S5_S5_diiiiiiib.kd
    .uniform_work_group_size: 1
    .uses_dynamic_stack: false
    .vgpr_count:     48
    .vgpr_spill_count: 0
    .wavefront_size: 64
  - .agpr_count:     0
    .args:
      - .address_space:  global
        .offset:         0
        .size:           8
        .value_kind:     global_buffer
      - .address_space:  global
        .offset:         8
        .size:           8
        .value_kind:     global_buffer
      - .address_space:  global
        .offset:         16
        .size:           8
        .value_kind:     global_buffer
      - .address_space:  global
        .offset:         24
        .size:           8
        .value_kind:     global_buffer
      - .address_space:  global
        .offset:         32
        .size:           8
        .value_kind:     global_buffer
      - .address_space:  global
        .offset:         40
        .size:           8
        .value_kind:     global_buffer
      - .offset:         48
        .size:           8
        .value_kind:     by_value
      - .offset:         56
        .size:           4
        .value_kind:     by_value
      - .offset:         60
        .size:           4
        .value_kind:     by_value
      - .offset:         64
        .size:           4
        .value_kind:     by_value
      - .offset:         68
        .size:           4
        .value_kind:     by_value
      - .offset:         72
        .size:           4
        .value_kind:     by_value
      - .offset:         76
        .size:           4
        .value_kind:     by_value
      - .offset:         80
        .size:           4
        .value_kind:     by_value
      - .offset:         84
        .size:           1
        .value_kind:     by_value
    .group_segment_fixed_size: 64
    .kernarg_segment_align: 8
    .kernarg_segment_size: 88
    .language:       OpenCL C
    .language_version:
      - 2
      - 0
    .max_flat_workgroup_size: 1024
    .name:           _ZN5aiter24add_rmsnorm_quant_kernelItDB8_Li512ELi16ELb1ELb1ELb1ELi1EEEvPT0_PT_PfS5_S5_S5_diiiiiiib
    .private_segment_fixed_size: 0
    .sgpr_count:     44
    .sgpr_spill_count: 0
    .symbol:         _ZN5aiter24add_rmsnorm_quant_kernelItDB8_Li512ELi16ELb1ELb1ELb1ELi1EEEvPT0_PT_PfS5_S5_S5_diiiiiiib.kd
    .uniform_work_group_size: 1
    .uses_dynamic_stack: false
    .vgpr_count:     48
    .vgpr_spill_count: 0
    .wavefront_size: 64
  - .agpr_count:     0
    .args:
      - .address_space:  global
        .offset:         0
        .size:           8
        .value_kind:     global_buffer
      - .address_space:  global
        .offset:         8
        .size:           8
        .value_kind:     global_buffer
      - .address_space:  global
        .offset:         16
        .size:           8
        .value_kind:     global_buffer
      - .address_space:  global
        .offset:         24
        .size:           8
        .value_kind:     global_buffer
      - .address_space:  global
        .offset:         32
        .size:           8
        .value_kind:     global_buffer
      - .address_space:  global
        .offset:         40
        .size:           8
        .value_kind:     global_buffer
      - .offset:         48
        .size:           8
        .value_kind:     by_value
      - .offset:         56
        .size:           4
        .value_kind:     by_value
      - .offset:         60
        .size:           4
        .value_kind:     by_value
      - .offset:         64
        .size:           4
        .value_kind:     by_value
      - .offset:         68
        .size:           4
        .value_kind:     by_value
      - .offset:         72
        .size:           4
        .value_kind:     by_value
      - .offset:         76
        .size:           4
        .value_kind:     by_value
      - .offset:         80
        .size:           4
        .value_kind:     by_value
      - .offset:         84
        .size:           1
        .value_kind:     by_value
    .group_segment_fixed_size: 64
    .kernarg_segment_align: 8
    .kernarg_segment_size: 88
    .language:       OpenCL C
    .language_version:
      - 2
      - 0
    .max_flat_workgroup_size: 1024
    .name:           _ZN5aiter24add_rmsnorm_quant_kernelIDF16_DB8_Li512ELi16ELb1ELb1ELb0ELi1EEEvPT0_PT_PfS5_S5_S5_diiiiiiib
    .private_segment_fixed_size: 0
    .sgpr_count:     44
    .sgpr_spill_count: 0
    .symbol:         _ZN5aiter24add_rmsnorm_quant_kernelIDF16_DB8_Li512ELi16ELb1ELb1ELb0ELi1EEEvPT0_PT_PfS5_S5_S5_diiiiiiib.kd
    .uniform_work_group_size: 1
    .uses_dynamic_stack: false
    .vgpr_count:     46
    .vgpr_spill_count: 0
    .wavefront_size: 64
  - .agpr_count:     0
    .args:
      - .address_space:  global
        .offset:         0
        .size:           8
        .value_kind:     global_buffer
      - .address_space:  global
        .offset:         8
        .size:           8
        .value_kind:     global_buffer
      - .address_space:  global
        .offset:         16
        .size:           8
        .value_kind:     global_buffer
      - .address_space:  global
        .offset:         24
        .size:           8
        .value_kind:     global_buffer
      - .address_space:  global
        .offset:         32
        .size:           8
        .value_kind:     global_buffer
      - .address_space:  global
        .offset:         40
        .size:           8
        .value_kind:     global_buffer
      - .offset:         48
        .size:           8
        .value_kind:     by_value
      - .offset:         56
        .size:           4
        .value_kind:     by_value
      - .offset:         60
        .size:           4
        .value_kind:     by_value
      - .offset:         64
        .size:           4
        .value_kind:     by_value
      - .offset:         68
        .size:           4
        .value_kind:     by_value
      - .offset:         72
        .size:           4
        .value_kind:     by_value
      - .offset:         76
        .size:           4
        .value_kind:     by_value
      - .offset:         80
        .size:           4
        .value_kind:     by_value
      - .offset:         84
        .size:           1
        .value_kind:     by_value
    .group_segment_fixed_size: 64
    .kernarg_segment_align: 8
    .kernarg_segment_size: 88
    .language:       OpenCL C
    .language_version:
      - 2
      - 0
    .max_flat_workgroup_size: 1024
    .name:           _ZN5aiter24add_rmsnorm_quant_kernelItDB8_Li512ELi16ELb1ELb1ELb0ELi1EEEvPT0_PT_PfS5_S5_S5_diiiiiiib
    .private_segment_fixed_size: 0
    .sgpr_count:     44
    .sgpr_spill_count: 0
    .symbol:         _ZN5aiter24add_rmsnorm_quant_kernelItDB8_Li512ELi16ELb1ELb1ELb0ELi1EEEvPT0_PT_PfS5_S5_S5_diiiiiiib.kd
    .uniform_work_group_size: 1
    .uses_dynamic_stack: false
    .vgpr_count:     46
    .vgpr_spill_count: 0
    .wavefront_size: 64
  - .agpr_count:     0
    .args:
      - .address_space:  global
        .offset:         0
        .size:           8
        .value_kind:     global_buffer
      - .address_space:  global
        .offset:         8
        .size:           8
        .value_kind:     global_buffer
      - .address_space:  global
        .offset:         16
        .size:           8
        .value_kind:     global_buffer
      - .address_space:  global
        .offset:         24
        .size:           8
        .value_kind:     global_buffer
      - .address_space:  global
        .offset:         32
        .size:           8
        .value_kind:     global_buffer
      - .address_space:  global
        .offset:         40
        .size:           8
        .value_kind:     global_buffer
      - .offset:         48
        .size:           8
        .value_kind:     by_value
      - .offset:         56
        .size:           4
        .value_kind:     by_value
      - .offset:         60
        .size:           4
        .value_kind:     by_value
      - .offset:         64
        .size:           4
        .value_kind:     by_value
      - .offset:         68
        .size:           4
        .value_kind:     by_value
      - .offset:         72
        .size:           4
        .value_kind:     by_value
      - .offset:         76
        .size:           4
        .value_kind:     by_value
      - .offset:         80
        .size:           4
        .value_kind:     by_value
      - .offset:         84
        .size:           1
        .value_kind:     by_value
    .group_segment_fixed_size: 128
    .kernarg_segment_align: 8
    .kernarg_segment_size: 88
    .language:       OpenCL C
    .language_version:
      - 2
      - 0
    .max_flat_workgroup_size: 1024
    .name:           _ZN5aiter24add_rmsnorm_quant_kernelIDF16_DB8_Li1024ELi8ELb1ELb1ELb1ELi1EEEvPT0_PT_PfS5_S5_S5_diiiiiiib
    .private_segment_fixed_size: 0
    .sgpr_count:     44
    .sgpr_spill_count: 0
    .symbol:         _ZN5aiter24add_rmsnorm_quant_kernelIDF16_DB8_Li1024ELi8ELb1ELb1ELb1ELi1EEEvPT0_PT_PfS5_S5_S5_diiiiiiib.kd
    .uniform_work_group_size: 1
    .uses_dynamic_stack: false
    .vgpr_count:     32
    .vgpr_spill_count: 0
    .wavefront_size: 64
  - .agpr_count:     0
    .args:
      - .address_space:  global
        .offset:         0
        .size:           8
        .value_kind:     global_buffer
      - .address_space:  global
        .offset:         8
        .size:           8
        .value_kind:     global_buffer
      - .address_space:  global
        .offset:         16
        .size:           8
        .value_kind:     global_buffer
      - .address_space:  global
        .offset:         24
        .size:           8
        .value_kind:     global_buffer
      - .address_space:  global
        .offset:         32
        .size:           8
        .value_kind:     global_buffer
      - .address_space:  global
        .offset:         40
        .size:           8
        .value_kind:     global_buffer
      - .offset:         48
        .size:           8
        .value_kind:     by_value
      - .offset:         56
        .size:           4
        .value_kind:     by_value
      - .offset:         60
        .size:           4
        .value_kind:     by_value
      - .offset:         64
        .size:           4
        .value_kind:     by_value
      - .offset:         68
        .size:           4
        .value_kind:     by_value
      - .offset:         72
        .size:           4
        .value_kind:     by_value
      - .offset:         76
        .size:           4
        .value_kind:     by_value
      - .offset:         80
        .size:           4
        .value_kind:     by_value
      - .offset:         84
        .size:           1
        .value_kind:     by_value
    .group_segment_fixed_size: 128
    .kernarg_segment_align: 8
    .kernarg_segment_size: 88
    .language:       OpenCL C
    .language_version:
      - 2
      - 0
    .max_flat_workgroup_size: 1024
    .name:           _ZN5aiter24add_rmsnorm_quant_kernelItDB8_Li1024ELi8ELb1ELb1ELb1ELi1EEEvPT0_PT_PfS5_S5_S5_diiiiiiib
    .private_segment_fixed_size: 0
    .sgpr_count:     44
    .sgpr_spill_count: 0
    .symbol:         _ZN5aiter24add_rmsnorm_quant_kernelItDB8_Li1024ELi8ELb1ELb1ELb1ELi1EEEvPT0_PT_PfS5_S5_S5_diiiiiiib.kd
    .uniform_work_group_size: 1
    .uses_dynamic_stack: false
    .vgpr_count:     27
    .vgpr_spill_count: 0
    .wavefront_size: 64
  - .agpr_count:     0
    .args:
      - .address_space:  global
        .offset:         0
        .size:           8
        .value_kind:     global_buffer
      - .address_space:  global
        .offset:         8
        .size:           8
        .value_kind:     global_buffer
      - .address_space:  global
        .offset:         16
        .size:           8
        .value_kind:     global_buffer
      - .address_space:  global
        .offset:         24
        .size:           8
        .value_kind:     global_buffer
      - .address_space:  global
        .offset:         32
        .size:           8
        .value_kind:     global_buffer
      - .address_space:  global
        .offset:         40
        .size:           8
        .value_kind:     global_buffer
      - .offset:         48
        .size:           8
        .value_kind:     by_value
      - .offset:         56
        .size:           4
        .value_kind:     by_value
      - .offset:         60
        .size:           4
        .value_kind:     by_value
      - .offset:         64
        .size:           4
        .value_kind:     by_value
      - .offset:         68
        .size:           4
        .value_kind:     by_value
      - .offset:         72
        .size:           4
        .value_kind:     by_value
      - .offset:         76
        .size:           4
        .value_kind:     by_value
      - .offset:         80
        .size:           4
        .value_kind:     by_value
      - .offset:         84
        .size:           1
        .value_kind:     by_value
    .group_segment_fixed_size: 128
    .kernarg_segment_align: 8
    .kernarg_segment_size: 88
    .language:       OpenCL C
    .language_version:
      - 2
      - 0
    .max_flat_workgroup_size: 1024
    .name:           _ZN5aiter24add_rmsnorm_quant_kernelIDF16_DB8_Li1024ELi8ELb1ELb1ELb0ELi1EEEvPT0_PT_PfS5_S5_S5_diiiiiiib
    .private_segment_fixed_size: 0
    .sgpr_count:     44
    .sgpr_spill_count: 0
    .symbol:         _ZN5aiter24add_rmsnorm_quant_kernelIDF16_DB8_Li1024ELi8ELb1ELb1ELb0ELi1EEEvPT0_PT_PfS5_S5_S5_diiiiiiib.kd
    .uniform_work_group_size: 1
    .uses_dynamic_stack: false
    .vgpr_count:     32
    .vgpr_spill_count: 0
    .wavefront_size: 64
  - .agpr_count:     0
    .args:
      - .address_space:  global
        .offset:         0
        .size:           8
        .value_kind:     global_buffer
      - .address_space:  global
        .offset:         8
        .size:           8
        .value_kind:     global_buffer
      - .address_space:  global
        .offset:         16
        .size:           8
        .value_kind:     global_buffer
      - .address_space:  global
        .offset:         24
        .size:           8
        .value_kind:     global_buffer
      - .address_space:  global
        .offset:         32
        .size:           8
        .value_kind:     global_buffer
      - .address_space:  global
        .offset:         40
        .size:           8
        .value_kind:     global_buffer
      - .offset:         48
        .size:           8
        .value_kind:     by_value
      - .offset:         56
        .size:           4
        .value_kind:     by_value
      - .offset:         60
        .size:           4
        .value_kind:     by_value
      - .offset:         64
        .size:           4
        .value_kind:     by_value
      - .offset:         68
        .size:           4
        .value_kind:     by_value
      - .offset:         72
        .size:           4
        .value_kind:     by_value
      - .offset:         76
        .size:           4
        .value_kind:     by_value
      - .offset:         80
        .size:           4
        .value_kind:     by_value
      - .offset:         84
        .size:           1
        .value_kind:     by_value
    .group_segment_fixed_size: 128
    .kernarg_segment_align: 8
    .kernarg_segment_size: 88
    .language:       OpenCL C
    .language_version:
      - 2
      - 0
    .max_flat_workgroup_size: 1024
    .name:           _ZN5aiter24add_rmsnorm_quant_kernelItDB8_Li1024ELi8ELb1ELb1ELb0ELi1EEEvPT0_PT_PfS5_S5_S5_diiiiiiib
    .private_segment_fixed_size: 0
    .sgpr_count:     44
    .sgpr_spill_count: 0
    .symbol:         _ZN5aiter24add_rmsnorm_quant_kernelItDB8_Li1024ELi8ELb1ELb1ELb0ELi1EEEvPT0_PT_PfS5_S5_S5_diiiiiiib.kd
    .uniform_work_group_size: 1
    .uses_dynamic_stack: false
    .vgpr_count:     27
    .vgpr_spill_count: 0
    .wavefront_size: 64
  - .agpr_count:     0
    .args:
      - .address_space:  global
        .offset:         0
        .size:           8
        .value_kind:     global_buffer
      - .address_space:  global
        .offset:         8
        .size:           8
        .value_kind:     global_buffer
      - .address_space:  global
        .offset:         16
        .size:           8
        .value_kind:     global_buffer
      - .address_space:  global
        .offset:         24
        .size:           8
        .value_kind:     global_buffer
      - .address_space:  global
        .offset:         32
        .size:           8
        .value_kind:     global_buffer
      - .address_space:  global
        .offset:         40
        .size:           8
        .value_kind:     global_buffer
      - .offset:         48
        .size:           8
        .value_kind:     by_value
      - .offset:         56
        .size:           4
        .value_kind:     by_value
      - .offset:         60
        .size:           4
        .value_kind:     by_value
      - .offset:         64
        .size:           4
        .value_kind:     by_value
      - .offset:         68
        .size:           4
        .value_kind:     by_value
      - .offset:         72
        .size:           4
        .value_kind:     by_value
      - .offset:         76
        .size:           4
        .value_kind:     by_value
      - .offset:         80
        .size:           4
        .value_kind:     by_value
      - .offset:         84
        .size:           1
        .value_kind:     by_value
    .group_segment_fixed_size: 0
    .kernarg_segment_align: 8
    .kernarg_segment_size: 88
    .language:       OpenCL C
    .language_version:
      - 2
      - 0
    .max_flat_workgroup_size: 1024
    .name:           _ZN5aiter24add_rmsnorm_quant_kernelIDF16_aLi64ELi8ELb1ELb1ELb1ELi1EEEvPT0_PT_PfS4_S4_S4_diiiiiiib
    .private_segment_fixed_size: 0
    .sgpr_count:     44
    .sgpr_spill_count: 0
    .symbol:         _ZN5aiter24add_rmsnorm_quant_kernelIDF16_aLi64ELi8ELb1ELb1ELb1ELi1EEEvPT0_PT_PfS4_S4_S4_diiiiiiib.kd
    .uniform_work_group_size: 1
    .uses_dynamic_stack: false
    .vgpr_count:     38
    .vgpr_spill_count: 0
    .wavefront_size: 64
  - .agpr_count:     0
    .args:
      - .address_space:  global
        .offset:         0
        .size:           8
        .value_kind:     global_buffer
      - .address_space:  global
        .offset:         8
        .size:           8
        .value_kind:     global_buffer
      - .address_space:  global
        .offset:         16
        .size:           8
        .value_kind:     global_buffer
      - .address_space:  global
        .offset:         24
        .size:           8
        .value_kind:     global_buffer
      - .address_space:  global
        .offset:         32
        .size:           8
        .value_kind:     global_buffer
      - .address_space:  global
        .offset:         40
        .size:           8
        .value_kind:     global_buffer
      - .offset:         48
        .size:           8
        .value_kind:     by_value
      - .offset:         56
        .size:           4
        .value_kind:     by_value
      - .offset:         60
        .size:           4
        .value_kind:     by_value
      - .offset:         64
        .size:           4
        .value_kind:     by_value
      - .offset:         68
        .size:           4
        .value_kind:     by_value
      - .offset:         72
        .size:           4
        .value_kind:     by_value
      - .offset:         76
        .size:           4
        .value_kind:     by_value
      - .offset:         80
        .size:           4
        .value_kind:     by_value
      - .offset:         84
        .size:           1
        .value_kind:     by_value
    .group_segment_fixed_size: 0
    .kernarg_segment_align: 8
    .kernarg_segment_size: 88
    .language:       OpenCL C
    .language_version:
      - 2
      - 0
    .max_flat_workgroup_size: 1024
    .name:           _ZN5aiter24add_rmsnorm_quant_kernelItaLi64ELi8ELb1ELb1ELb1ELi1EEEvPT0_PT_PfS4_S4_S4_diiiiiiib
    .private_segment_fixed_size: 0
    .sgpr_count:     44
    .sgpr_spill_count: 0
    .symbol:         _ZN5aiter24add_rmsnorm_quant_kernelItaLi64ELi8ELb1ELb1ELb1ELi1EEEvPT0_PT_PfS4_S4_S4_diiiiiiib.kd
    .uniform_work_group_size: 1
    .uses_dynamic_stack: false
    .vgpr_count:     35
    .vgpr_spill_count: 0
    .wavefront_size: 64
  - .agpr_count:     0
    .args:
      - .address_space:  global
        .offset:         0
        .size:           8
        .value_kind:     global_buffer
      - .address_space:  global
        .offset:         8
        .size:           8
        .value_kind:     global_buffer
      - .address_space:  global
        .offset:         16
        .size:           8
        .value_kind:     global_buffer
      - .address_space:  global
        .offset:         24
        .size:           8
        .value_kind:     global_buffer
      - .address_space:  global
        .offset:         32
        .size:           8
        .value_kind:     global_buffer
      - .address_space:  global
        .offset:         40
        .size:           8
        .value_kind:     global_buffer
      - .offset:         48
        .size:           8
        .value_kind:     by_value
      - .offset:         56
        .size:           4
        .value_kind:     by_value
      - .offset:         60
        .size:           4
        .value_kind:     by_value
      - .offset:         64
        .size:           4
        .value_kind:     by_value
      - .offset:         68
        .size:           4
        .value_kind:     by_value
      - .offset:         72
        .size:           4
        .value_kind:     by_value
      - .offset:         76
        .size:           4
        .value_kind:     by_value
      - .offset:         80
        .size:           4
        .value_kind:     by_value
      - .offset:         84
        .size:           1
        .value_kind:     by_value
    .group_segment_fixed_size: 0
    .kernarg_segment_align: 8
    .kernarg_segment_size: 88
    .language:       OpenCL C
    .language_version:
      - 2
      - 0
    .max_flat_workgroup_size: 1024
    .name:           _ZN5aiter24add_rmsnorm_quant_kernelIDF16_aLi64ELi8ELb1ELb1ELb0ELi1EEEvPT0_PT_PfS4_S4_S4_diiiiiiib
    .private_segment_fixed_size: 0
    .sgpr_count:     44
    .sgpr_spill_count: 0
    .symbol:         _ZN5aiter24add_rmsnorm_quant_kernelIDF16_aLi64ELi8ELb1ELb1ELb0ELi1EEEvPT0_PT_PfS4_S4_S4_diiiiiiib.kd
    .uniform_work_group_size: 1
    .uses_dynamic_stack: false
    .vgpr_count:     38
    .vgpr_spill_count: 0
    .wavefront_size: 64
  - .agpr_count:     0
    .args:
      - .address_space:  global
        .offset:         0
        .size:           8
        .value_kind:     global_buffer
      - .address_space:  global
        .offset:         8
        .size:           8
        .value_kind:     global_buffer
      - .address_space:  global
        .offset:         16
        .size:           8
        .value_kind:     global_buffer
      - .address_space:  global
        .offset:         24
        .size:           8
        .value_kind:     global_buffer
      - .address_space:  global
        .offset:         32
        .size:           8
        .value_kind:     global_buffer
      - .address_space:  global
        .offset:         40
        .size:           8
        .value_kind:     global_buffer
      - .offset:         48
        .size:           8
        .value_kind:     by_value
      - .offset:         56
        .size:           4
        .value_kind:     by_value
      - .offset:         60
        .size:           4
        .value_kind:     by_value
      - .offset:         64
        .size:           4
        .value_kind:     by_value
      - .offset:         68
        .size:           4
        .value_kind:     by_value
      - .offset:         72
        .size:           4
        .value_kind:     by_value
      - .offset:         76
        .size:           4
        .value_kind:     by_value
      - .offset:         80
        .size:           4
        .value_kind:     by_value
      - .offset:         84
        .size:           1
        .value_kind:     by_value
    .group_segment_fixed_size: 0
    .kernarg_segment_align: 8
    .kernarg_segment_size: 88
    .language:       OpenCL C
    .language_version:
      - 2
      - 0
    .max_flat_workgroup_size: 1024
    .name:           _ZN5aiter24add_rmsnorm_quant_kernelItaLi64ELi8ELb1ELb1ELb0ELi1EEEvPT0_PT_PfS4_S4_S4_diiiiiiib
    .private_segment_fixed_size: 0
    .sgpr_count:     44
    .sgpr_spill_count: 0
    .symbol:         _ZN5aiter24add_rmsnorm_quant_kernelItaLi64ELi8ELb1ELb1ELb0ELi1EEEvPT0_PT_PfS4_S4_S4_diiiiiiib.kd
    .uniform_work_group_size: 1
    .uses_dynamic_stack: false
    .vgpr_count:     35
    .vgpr_spill_count: 0
    .wavefront_size: 64
  - .agpr_count:     0
    .args:
      - .address_space:  global
        .offset:         0
        .size:           8
        .value_kind:     global_buffer
      - .address_space:  global
        .offset:         8
        .size:           8
        .value_kind:     global_buffer
      - .address_space:  global
        .offset:         16
        .size:           8
        .value_kind:     global_buffer
      - .address_space:  global
        .offset:         24
        .size:           8
        .value_kind:     global_buffer
      - .address_space:  global
        .offset:         32
        .size:           8
        .value_kind:     global_buffer
      - .address_space:  global
        .offset:         40
        .size:           8
        .value_kind:     global_buffer
      - .offset:         48
        .size:           8
        .value_kind:     by_value
      - .offset:         56
        .size:           4
        .value_kind:     by_value
      - .offset:         60
        .size:           4
        .value_kind:     by_value
      - .offset:         64
        .size:           4
        .value_kind:     by_value
      - .offset:         68
        .size:           4
        .value_kind:     by_value
      - .offset:         72
        .size:           4
        .value_kind:     by_value
      - .offset:         76
        .size:           4
        .value_kind:     by_value
      - .offset:         80
        .size:           4
        .value_kind:     by_value
      - .offset:         84
        .size:           1
        .value_kind:     by_value
    .group_segment_fixed_size: 16
    .kernarg_segment_align: 8
    .kernarg_segment_size: 88
    .language:       OpenCL C
    .language_version:
      - 2
      - 0
    .max_flat_workgroup_size: 1024
    .name:           _ZN5aiter24add_rmsnorm_quant_kernelIDF16_aLi128ELi8ELb1ELb1ELb1ELi1EEEvPT0_PT_PfS4_S4_S4_diiiiiiib
    .private_segment_fixed_size: 0
    .sgpr_count:     44
    .sgpr_spill_count: 0
    .symbol:         _ZN5aiter24add_rmsnorm_quant_kernelIDF16_aLi128ELi8ELb1ELb1ELb1ELi1EEEvPT0_PT_PfS4_S4_S4_diiiiiiib.kd
    .uniform_work_group_size: 1
    .uses_dynamic_stack: false
    .vgpr_count:     32
    .vgpr_spill_count: 0
    .wavefront_size: 64
  - .agpr_count:     0
    .args:
      - .address_space:  global
        .offset:         0
        .size:           8
        .value_kind:     global_buffer
      - .address_space:  global
        .offset:         8
        .size:           8
        .value_kind:     global_buffer
      - .address_space:  global
        .offset:         16
        .size:           8
        .value_kind:     global_buffer
      - .address_space:  global
        .offset:         24
        .size:           8
        .value_kind:     global_buffer
      - .address_space:  global
        .offset:         32
        .size:           8
        .value_kind:     global_buffer
      - .address_space:  global
        .offset:         40
        .size:           8
        .value_kind:     global_buffer
      - .offset:         48
        .size:           8
        .value_kind:     by_value
      - .offset:         56
        .size:           4
        .value_kind:     by_value
      - .offset:         60
        .size:           4
        .value_kind:     by_value
      - .offset:         64
        .size:           4
        .value_kind:     by_value
      - .offset:         68
        .size:           4
        .value_kind:     by_value
      - .offset:         72
        .size:           4
        .value_kind:     by_value
      - .offset:         76
        .size:           4
        .value_kind:     by_value
      - .offset:         80
        .size:           4
        .value_kind:     by_value
      - .offset:         84
        .size:           1
        .value_kind:     by_value
    .group_segment_fixed_size: 16
    .kernarg_segment_align: 8
    .kernarg_segment_size: 88
    .language:       OpenCL C
    .language_version:
      - 2
      - 0
    .max_flat_workgroup_size: 1024
    .name:           _ZN5aiter24add_rmsnorm_quant_kernelItaLi128ELi8ELb1ELb1ELb1ELi1EEEvPT0_PT_PfS4_S4_S4_diiiiiiib
    .private_segment_fixed_size: 0
    .sgpr_count:     44
    .sgpr_spill_count: 0
    .symbol:         _ZN5aiter24add_rmsnorm_quant_kernelItaLi128ELi8ELb1ELb1ELb1ELi1EEEvPT0_PT_PfS4_S4_S4_diiiiiiib.kd
    .uniform_work_group_size: 1
    .uses_dynamic_stack: false
    .vgpr_count:     27
    .vgpr_spill_count: 0
    .wavefront_size: 64
  - .agpr_count:     0
    .args:
      - .address_space:  global
        .offset:         0
        .size:           8
        .value_kind:     global_buffer
      - .address_space:  global
        .offset:         8
        .size:           8
        .value_kind:     global_buffer
      - .address_space:  global
        .offset:         16
        .size:           8
        .value_kind:     global_buffer
      - .address_space:  global
        .offset:         24
        .size:           8
        .value_kind:     global_buffer
      - .address_space:  global
        .offset:         32
        .size:           8
        .value_kind:     global_buffer
      - .address_space:  global
        .offset:         40
        .size:           8
        .value_kind:     global_buffer
      - .offset:         48
        .size:           8
        .value_kind:     by_value
      - .offset:         56
        .size:           4
        .value_kind:     by_value
      - .offset:         60
        .size:           4
        .value_kind:     by_value
      - .offset:         64
        .size:           4
        .value_kind:     by_value
      - .offset:         68
        .size:           4
        .value_kind:     by_value
      - .offset:         72
        .size:           4
        .value_kind:     by_value
      - .offset:         76
        .size:           4
        .value_kind:     by_value
      - .offset:         80
        .size:           4
        .value_kind:     by_value
      - .offset:         84
        .size:           1
        .value_kind:     by_value
    .group_segment_fixed_size: 16
    .kernarg_segment_align: 8
    .kernarg_segment_size: 88
    .language:       OpenCL C
    .language_version:
      - 2
      - 0
    .max_flat_workgroup_size: 1024
    .name:           _ZN5aiter24add_rmsnorm_quant_kernelIDF16_aLi128ELi8ELb1ELb1ELb0ELi1EEEvPT0_PT_PfS4_S4_S4_diiiiiiib
    .private_segment_fixed_size: 0
    .sgpr_count:     44
    .sgpr_spill_count: 0
    .symbol:         _ZN5aiter24add_rmsnorm_quant_kernelIDF16_aLi128ELi8ELb1ELb1ELb0ELi1EEEvPT0_PT_PfS4_S4_S4_diiiiiiib.kd
    .uniform_work_group_size: 1
    .uses_dynamic_stack: false
    .vgpr_count:     32
    .vgpr_spill_count: 0
    .wavefront_size: 64
  - .agpr_count:     0
    .args:
      - .address_space:  global
        .offset:         0
        .size:           8
        .value_kind:     global_buffer
      - .address_space:  global
        .offset:         8
        .size:           8
        .value_kind:     global_buffer
      - .address_space:  global
        .offset:         16
        .size:           8
        .value_kind:     global_buffer
      - .address_space:  global
        .offset:         24
        .size:           8
        .value_kind:     global_buffer
      - .address_space:  global
        .offset:         32
        .size:           8
        .value_kind:     global_buffer
      - .address_space:  global
        .offset:         40
        .size:           8
        .value_kind:     global_buffer
      - .offset:         48
        .size:           8
        .value_kind:     by_value
      - .offset:         56
        .size:           4
        .value_kind:     by_value
      - .offset:         60
        .size:           4
        .value_kind:     by_value
      - .offset:         64
        .size:           4
        .value_kind:     by_value
      - .offset:         68
        .size:           4
        .value_kind:     by_value
      - .offset:         72
        .size:           4
        .value_kind:     by_value
      - .offset:         76
        .size:           4
        .value_kind:     by_value
      - .offset:         80
        .size:           4
        .value_kind:     by_value
      - .offset:         84
        .size:           1
        .value_kind:     by_value
    .group_segment_fixed_size: 16
    .kernarg_segment_align: 8
    .kernarg_segment_size: 88
    .language:       OpenCL C
    .language_version:
      - 2
      - 0
    .max_flat_workgroup_size: 1024
    .name:           _ZN5aiter24add_rmsnorm_quant_kernelItaLi128ELi8ELb1ELb1ELb0ELi1EEEvPT0_PT_PfS4_S4_S4_diiiiiiib
    .private_segment_fixed_size: 0
    .sgpr_count:     44
    .sgpr_spill_count: 0
    .symbol:         _ZN5aiter24add_rmsnorm_quant_kernelItaLi128ELi8ELb1ELb1ELb0ELi1EEEvPT0_PT_PfS4_S4_S4_diiiiiiib.kd
    .uniform_work_group_size: 1
    .uses_dynamic_stack: false
    .vgpr_count:     27
    .vgpr_spill_count: 0
    .wavefront_size: 64
  - .agpr_count:     0
    .args:
      - .address_space:  global
        .offset:         0
        .size:           8
        .value_kind:     global_buffer
      - .address_space:  global
        .offset:         8
        .size:           8
        .value_kind:     global_buffer
      - .address_space:  global
        .offset:         16
        .size:           8
        .value_kind:     global_buffer
      - .address_space:  global
        .offset:         24
        .size:           8
        .value_kind:     global_buffer
      - .address_space:  global
        .offset:         32
        .size:           8
        .value_kind:     global_buffer
      - .address_space:  global
        .offset:         40
        .size:           8
        .value_kind:     global_buffer
      - .offset:         48
        .size:           8
        .value_kind:     by_value
      - .offset:         56
        .size:           4
        .value_kind:     by_value
      - .offset:         60
        .size:           4
        .value_kind:     by_value
      - .offset:         64
        .size:           4
        .value_kind:     by_value
      - .offset:         68
        .size:           4
        .value_kind:     by_value
      - .offset:         72
        .size:           4
        .value_kind:     by_value
      - .offset:         76
        .size:           4
        .value_kind:     by_value
      - .offset:         80
        .size:           4
        .value_kind:     by_value
      - .offset:         84
        .size:           1
        .value_kind:     by_value
    .group_segment_fixed_size: 32
    .kernarg_segment_align: 8
    .kernarg_segment_size: 88
    .language:       OpenCL C
    .language_version:
      - 2
      - 0
    .max_flat_workgroup_size: 1024
    .name:           _ZN5aiter24add_rmsnorm_quant_kernelIDF16_aLi256ELi8ELb1ELb1ELb1ELi1EEEvPT0_PT_PfS4_S4_S4_diiiiiiib
    .private_segment_fixed_size: 0
    .sgpr_count:     44
    .sgpr_spill_count: 0
    .symbol:         _ZN5aiter24add_rmsnorm_quant_kernelIDF16_aLi256ELi8ELb1ELb1ELb1ELi1EEEvPT0_PT_PfS4_S4_S4_diiiiiiib.kd
    .uniform_work_group_size: 1
    .uses_dynamic_stack: false
    .vgpr_count:     32
    .vgpr_spill_count: 0
    .wavefront_size: 64
  - .agpr_count:     0
    .args:
      - .address_space:  global
        .offset:         0
        .size:           8
        .value_kind:     global_buffer
      - .address_space:  global
        .offset:         8
        .size:           8
        .value_kind:     global_buffer
      - .address_space:  global
        .offset:         16
        .size:           8
        .value_kind:     global_buffer
      - .address_space:  global
        .offset:         24
        .size:           8
        .value_kind:     global_buffer
      - .address_space:  global
        .offset:         32
        .size:           8
        .value_kind:     global_buffer
      - .address_space:  global
        .offset:         40
        .size:           8
        .value_kind:     global_buffer
      - .offset:         48
        .size:           8
        .value_kind:     by_value
      - .offset:         56
        .size:           4
        .value_kind:     by_value
      - .offset:         60
        .size:           4
        .value_kind:     by_value
      - .offset:         64
        .size:           4
        .value_kind:     by_value
      - .offset:         68
        .size:           4
        .value_kind:     by_value
      - .offset:         72
        .size:           4
        .value_kind:     by_value
      - .offset:         76
        .size:           4
        .value_kind:     by_value
      - .offset:         80
        .size:           4
        .value_kind:     by_value
      - .offset:         84
        .size:           1
        .value_kind:     by_value
    .group_segment_fixed_size: 32
    .kernarg_segment_align: 8
    .kernarg_segment_size: 88
    .language:       OpenCL C
    .language_version:
      - 2
      - 0
    .max_flat_workgroup_size: 1024
    .name:           _ZN5aiter24add_rmsnorm_quant_kernelItaLi256ELi8ELb1ELb1ELb1ELi1EEEvPT0_PT_PfS4_S4_S4_diiiiiiib
    .private_segment_fixed_size: 0
    .sgpr_count:     44
    .sgpr_spill_count: 0
    .symbol:         _ZN5aiter24add_rmsnorm_quant_kernelItaLi256ELi8ELb1ELb1ELb1ELi1EEEvPT0_PT_PfS4_S4_S4_diiiiiiib.kd
    .uniform_work_group_size: 1
    .uses_dynamic_stack: false
    .vgpr_count:     27
    .vgpr_spill_count: 0
    .wavefront_size: 64
  - .agpr_count:     0
    .args:
      - .address_space:  global
        .offset:         0
        .size:           8
        .value_kind:     global_buffer
      - .address_space:  global
        .offset:         8
        .size:           8
        .value_kind:     global_buffer
      - .address_space:  global
        .offset:         16
        .size:           8
        .value_kind:     global_buffer
      - .address_space:  global
        .offset:         24
        .size:           8
        .value_kind:     global_buffer
      - .address_space:  global
        .offset:         32
        .size:           8
        .value_kind:     global_buffer
      - .address_space:  global
        .offset:         40
        .size:           8
        .value_kind:     global_buffer
      - .offset:         48
        .size:           8
        .value_kind:     by_value
      - .offset:         56
        .size:           4
        .value_kind:     by_value
      - .offset:         60
        .size:           4
        .value_kind:     by_value
      - .offset:         64
        .size:           4
        .value_kind:     by_value
      - .offset:         68
        .size:           4
        .value_kind:     by_value
      - .offset:         72
        .size:           4
        .value_kind:     by_value
      - .offset:         76
        .size:           4
        .value_kind:     by_value
      - .offset:         80
        .size:           4
        .value_kind:     by_value
      - .offset:         84
        .size:           1
        .value_kind:     by_value
    .group_segment_fixed_size: 32
    .kernarg_segment_align: 8
    .kernarg_segment_size: 88
    .language:       OpenCL C
    .language_version:
      - 2
      - 0
    .max_flat_workgroup_size: 1024
    .name:           _ZN5aiter24add_rmsnorm_quant_kernelIDF16_aLi256ELi8ELb1ELb1ELb0ELi1EEEvPT0_PT_PfS4_S4_S4_diiiiiiib
    .private_segment_fixed_size: 0
    .sgpr_count:     44
    .sgpr_spill_count: 0
    .symbol:         _ZN5aiter24add_rmsnorm_quant_kernelIDF16_aLi256ELi8ELb1ELb1ELb0ELi1EEEvPT0_PT_PfS4_S4_S4_diiiiiiib.kd
    .uniform_work_group_size: 1
    .uses_dynamic_stack: false
    .vgpr_count:     32
    .vgpr_spill_count: 0
    .wavefront_size: 64
  - .agpr_count:     0
    .args:
      - .address_space:  global
        .offset:         0
        .size:           8
        .value_kind:     global_buffer
      - .address_space:  global
        .offset:         8
        .size:           8
        .value_kind:     global_buffer
      - .address_space:  global
        .offset:         16
        .size:           8
        .value_kind:     global_buffer
      - .address_space:  global
        .offset:         24
        .size:           8
        .value_kind:     global_buffer
      - .address_space:  global
        .offset:         32
        .size:           8
        .value_kind:     global_buffer
      - .address_space:  global
        .offset:         40
        .size:           8
        .value_kind:     global_buffer
      - .offset:         48
        .size:           8
        .value_kind:     by_value
      - .offset:         56
        .size:           4
        .value_kind:     by_value
      - .offset:         60
        .size:           4
        .value_kind:     by_value
      - .offset:         64
        .size:           4
        .value_kind:     by_value
      - .offset:         68
        .size:           4
        .value_kind:     by_value
      - .offset:         72
        .size:           4
        .value_kind:     by_value
      - .offset:         76
        .size:           4
        .value_kind:     by_value
      - .offset:         80
        .size:           4
        .value_kind:     by_value
      - .offset:         84
        .size:           1
        .value_kind:     by_value
    .group_segment_fixed_size: 32
    .kernarg_segment_align: 8
    .kernarg_segment_size: 88
    .language:       OpenCL C
    .language_version:
      - 2
      - 0
    .max_flat_workgroup_size: 1024
    .name:           _ZN5aiter24add_rmsnorm_quant_kernelItaLi256ELi8ELb1ELb1ELb0ELi1EEEvPT0_PT_PfS4_S4_S4_diiiiiiib
    .private_segment_fixed_size: 0
    .sgpr_count:     44
    .sgpr_spill_count: 0
    .symbol:         _ZN5aiter24add_rmsnorm_quant_kernelItaLi256ELi8ELb1ELb1ELb0ELi1EEEvPT0_PT_PfS4_S4_S4_diiiiiiib.kd
    .uniform_work_group_size: 1
    .uses_dynamic_stack: false
    .vgpr_count:     27
    .vgpr_spill_count: 0
    .wavefront_size: 64
  - .agpr_count:     0
    .args:
      - .address_space:  global
        .offset:         0
        .size:           8
        .value_kind:     global_buffer
      - .address_space:  global
        .offset:         8
        .size:           8
        .value_kind:     global_buffer
      - .address_space:  global
        .offset:         16
        .size:           8
        .value_kind:     global_buffer
      - .address_space:  global
        .offset:         24
        .size:           8
        .value_kind:     global_buffer
      - .address_space:  global
        .offset:         32
        .size:           8
        .value_kind:     global_buffer
      - .address_space:  global
        .offset:         40
        .size:           8
        .value_kind:     global_buffer
      - .offset:         48
        .size:           8
        .value_kind:     by_value
      - .offset:         56
        .size:           4
        .value_kind:     by_value
      - .offset:         60
        .size:           4
        .value_kind:     by_value
      - .offset:         64
        .size:           4
        .value_kind:     by_value
      - .offset:         68
        .size:           4
        .value_kind:     by_value
      - .offset:         72
        .size:           4
        .value_kind:     by_value
      - .offset:         76
        .size:           4
        .value_kind:     by_value
      - .offset:         80
        .size:           4
        .value_kind:     by_value
      - .offset:         84
        .size:           1
        .value_kind:     by_value
    .group_segment_fixed_size: 32
    .kernarg_segment_align: 8
    .kernarg_segment_size: 88
    .language:       OpenCL C
    .language_version:
      - 2
      - 0
    .max_flat_workgroup_size: 1024
    .name:           _ZN5aiter24add_rmsnorm_quant_kernelIDF16_aLi256ELi16ELb1ELb1ELb1ELi1EEEvPT0_PT_PfS4_S4_S4_diiiiiiib
    .private_segment_fixed_size: 0
    .sgpr_count:     44
    .sgpr_spill_count: 0
    .symbol:         _ZN5aiter24add_rmsnorm_quant_kernelIDF16_aLi256ELi16ELb1ELb1ELb1ELi1EEEvPT0_PT_PfS4_S4_S4_diiiiiiib.kd
    .uniform_work_group_size: 1
    .uses_dynamic_stack: false
    .vgpr_count:     48
    .vgpr_spill_count: 0
    .wavefront_size: 64
  - .agpr_count:     0
    .args:
      - .address_space:  global
        .offset:         0
        .size:           8
        .value_kind:     global_buffer
      - .address_space:  global
        .offset:         8
        .size:           8
        .value_kind:     global_buffer
      - .address_space:  global
        .offset:         16
        .size:           8
        .value_kind:     global_buffer
      - .address_space:  global
        .offset:         24
        .size:           8
        .value_kind:     global_buffer
      - .address_space:  global
        .offset:         32
        .size:           8
        .value_kind:     global_buffer
      - .address_space:  global
        .offset:         40
        .size:           8
        .value_kind:     global_buffer
      - .offset:         48
        .size:           8
        .value_kind:     by_value
      - .offset:         56
        .size:           4
        .value_kind:     by_value
      - .offset:         60
        .size:           4
        .value_kind:     by_value
      - .offset:         64
        .size:           4
        .value_kind:     by_value
      - .offset:         68
        .size:           4
        .value_kind:     by_value
      - .offset:         72
        .size:           4
        .value_kind:     by_value
      - .offset:         76
        .size:           4
        .value_kind:     by_value
      - .offset:         80
        .size:           4
        .value_kind:     by_value
      - .offset:         84
        .size:           1
        .value_kind:     by_value
    .group_segment_fixed_size: 32
    .kernarg_segment_align: 8
    .kernarg_segment_size: 88
    .language:       OpenCL C
    .language_version:
      - 2
      - 0
    .max_flat_workgroup_size: 1024
    .name:           _ZN5aiter24add_rmsnorm_quant_kernelItaLi256ELi16ELb1ELb1ELb1ELi1EEEvPT0_PT_PfS4_S4_S4_diiiiiiib
    .private_segment_fixed_size: 0
    .sgpr_count:     44
    .sgpr_spill_count: 0
    .symbol:         _ZN5aiter24add_rmsnorm_quant_kernelItaLi256ELi16ELb1ELb1ELb1ELi1EEEvPT0_PT_PfS4_S4_S4_diiiiiiib.kd
    .uniform_work_group_size: 1
    .uses_dynamic_stack: false
    .vgpr_count:     48
    .vgpr_spill_count: 0
    .wavefront_size: 64
  - .agpr_count:     0
    .args:
      - .address_space:  global
        .offset:         0
        .size:           8
        .value_kind:     global_buffer
      - .address_space:  global
        .offset:         8
        .size:           8
        .value_kind:     global_buffer
      - .address_space:  global
        .offset:         16
        .size:           8
        .value_kind:     global_buffer
      - .address_space:  global
        .offset:         24
        .size:           8
        .value_kind:     global_buffer
      - .address_space:  global
        .offset:         32
        .size:           8
        .value_kind:     global_buffer
      - .address_space:  global
        .offset:         40
        .size:           8
        .value_kind:     global_buffer
      - .offset:         48
        .size:           8
        .value_kind:     by_value
      - .offset:         56
        .size:           4
        .value_kind:     by_value
      - .offset:         60
        .size:           4
        .value_kind:     by_value
      - .offset:         64
        .size:           4
        .value_kind:     by_value
      - .offset:         68
        .size:           4
        .value_kind:     by_value
      - .offset:         72
        .size:           4
        .value_kind:     by_value
      - .offset:         76
        .size:           4
        .value_kind:     by_value
      - .offset:         80
        .size:           4
        .value_kind:     by_value
      - .offset:         84
        .size:           1
        .value_kind:     by_value
    .group_segment_fixed_size: 32
    .kernarg_segment_align: 8
    .kernarg_segment_size: 88
    .language:       OpenCL C
    .language_version:
      - 2
      - 0
    .max_flat_workgroup_size: 1024
    .name:           _ZN5aiter24add_rmsnorm_quant_kernelIDF16_aLi256ELi16ELb1ELb1ELb0ELi1EEEvPT0_PT_PfS4_S4_S4_diiiiiiib
    .private_segment_fixed_size: 0
    .sgpr_count:     44
    .sgpr_spill_count: 0
    .symbol:         _ZN5aiter24add_rmsnorm_quant_kernelIDF16_aLi256ELi16ELb1ELb1ELb0ELi1EEEvPT0_PT_PfS4_S4_S4_diiiiiiib.kd
    .uniform_work_group_size: 1
    .uses_dynamic_stack: false
    .vgpr_count:     46
    .vgpr_spill_count: 0
    .wavefront_size: 64
  - .agpr_count:     0
    .args:
      - .address_space:  global
        .offset:         0
        .size:           8
        .value_kind:     global_buffer
      - .address_space:  global
        .offset:         8
        .size:           8
        .value_kind:     global_buffer
      - .address_space:  global
        .offset:         16
        .size:           8
        .value_kind:     global_buffer
      - .address_space:  global
        .offset:         24
        .size:           8
        .value_kind:     global_buffer
      - .address_space:  global
        .offset:         32
        .size:           8
        .value_kind:     global_buffer
      - .address_space:  global
        .offset:         40
        .size:           8
        .value_kind:     global_buffer
      - .offset:         48
        .size:           8
        .value_kind:     by_value
      - .offset:         56
        .size:           4
        .value_kind:     by_value
      - .offset:         60
        .size:           4
        .value_kind:     by_value
      - .offset:         64
        .size:           4
        .value_kind:     by_value
      - .offset:         68
        .size:           4
        .value_kind:     by_value
      - .offset:         72
        .size:           4
        .value_kind:     by_value
      - .offset:         76
        .size:           4
        .value_kind:     by_value
      - .offset:         80
        .size:           4
        .value_kind:     by_value
      - .offset:         84
        .size:           1
        .value_kind:     by_value
    .group_segment_fixed_size: 32
    .kernarg_segment_align: 8
    .kernarg_segment_size: 88
    .language:       OpenCL C
    .language_version:
      - 2
      - 0
    .max_flat_workgroup_size: 1024
    .name:           _ZN5aiter24add_rmsnorm_quant_kernelItaLi256ELi16ELb1ELb1ELb0ELi1EEEvPT0_PT_PfS4_S4_S4_diiiiiiib
    .private_segment_fixed_size: 0
    .sgpr_count:     44
    .sgpr_spill_count: 0
    .symbol:         _ZN5aiter24add_rmsnorm_quant_kernelItaLi256ELi16ELb1ELb1ELb0ELi1EEEvPT0_PT_PfS4_S4_S4_diiiiiiib.kd
    .uniform_work_group_size: 1
    .uses_dynamic_stack: false
    .vgpr_count:     46
    .vgpr_spill_count: 0
    .wavefront_size: 64
  - .agpr_count:     0
    .args:
      - .address_space:  global
        .offset:         0
        .size:           8
        .value_kind:     global_buffer
      - .address_space:  global
        .offset:         8
        .size:           8
        .value_kind:     global_buffer
      - .address_space:  global
        .offset:         16
        .size:           8
        .value_kind:     global_buffer
      - .address_space:  global
        .offset:         24
        .size:           8
        .value_kind:     global_buffer
      - .address_space:  global
        .offset:         32
        .size:           8
        .value_kind:     global_buffer
      - .address_space:  global
        .offset:         40
        .size:           8
        .value_kind:     global_buffer
      - .offset:         48
        .size:           8
        .value_kind:     by_value
      - .offset:         56
        .size:           4
        .value_kind:     by_value
      - .offset:         60
        .size:           4
        .value_kind:     by_value
      - .offset:         64
        .size:           4
        .value_kind:     by_value
      - .offset:         68
        .size:           4
        .value_kind:     by_value
      - .offset:         72
        .size:           4
        .value_kind:     by_value
      - .offset:         76
        .size:           4
        .value_kind:     by_value
      - .offset:         80
        .size:           4
        .value_kind:     by_value
      - .offset:         84
        .size:           1
        .value_kind:     by_value
    .group_segment_fixed_size: 32
    .kernarg_segment_align: 8
    .kernarg_segment_size: 88
    .language:       OpenCL C
    .language_version:
      - 2
      - 0
    .max_flat_workgroup_size: 1024
    .name:           _ZN5aiter24add_rmsnorm_quant_kernelIDF16_aLi256ELi24ELb1ELb1ELb1ELi1EEEvPT0_PT_PfS4_S4_S4_diiiiiiib
    .private_segment_fixed_size: 0
    .sgpr_count:     44
    .sgpr_spill_count: 0
    .symbol:         _ZN5aiter24add_rmsnorm_quant_kernelIDF16_aLi256ELi24ELb1ELb1ELb1ELi1EEEvPT0_PT_PfS4_S4_S4_diiiiiiib.kd
    .uniform_work_group_size: 1
    .uses_dynamic_stack: false
    .vgpr_count:     66
    .vgpr_spill_count: 0
    .wavefront_size: 64
  - .agpr_count:     0
    .args:
      - .address_space:  global
        .offset:         0
        .size:           8
        .value_kind:     global_buffer
      - .address_space:  global
        .offset:         8
        .size:           8
        .value_kind:     global_buffer
      - .address_space:  global
        .offset:         16
        .size:           8
        .value_kind:     global_buffer
      - .address_space:  global
        .offset:         24
        .size:           8
        .value_kind:     global_buffer
      - .address_space:  global
        .offset:         32
        .size:           8
        .value_kind:     global_buffer
      - .address_space:  global
        .offset:         40
        .size:           8
        .value_kind:     global_buffer
      - .offset:         48
        .size:           8
        .value_kind:     by_value
      - .offset:         56
        .size:           4
        .value_kind:     by_value
      - .offset:         60
        .size:           4
        .value_kind:     by_value
      - .offset:         64
        .size:           4
        .value_kind:     by_value
      - .offset:         68
        .size:           4
        .value_kind:     by_value
      - .offset:         72
        .size:           4
        .value_kind:     by_value
      - .offset:         76
        .size:           4
        .value_kind:     by_value
      - .offset:         80
        .size:           4
        .value_kind:     by_value
      - .offset:         84
        .size:           1
        .value_kind:     by_value
    .group_segment_fixed_size: 32
    .kernarg_segment_align: 8
    .kernarg_segment_size: 88
    .language:       OpenCL C
    .language_version:
      - 2
      - 0
    .max_flat_workgroup_size: 1024
    .name:           _ZN5aiter24add_rmsnorm_quant_kernelItaLi256ELi24ELb1ELb1ELb1ELi1EEEvPT0_PT_PfS4_S4_S4_diiiiiiib
    .private_segment_fixed_size: 0
    .sgpr_count:     44
    .sgpr_spill_count: 0
    .symbol:         _ZN5aiter24add_rmsnorm_quant_kernelItaLi256ELi24ELb1ELb1ELb1ELi1EEEvPT0_PT_PfS4_S4_S4_diiiiiiib.kd
    .uniform_work_group_size: 1
    .uses_dynamic_stack: false
    .vgpr_count:     67
    .vgpr_spill_count: 0
    .wavefront_size: 64
  - .agpr_count:     0
    .args:
      - .address_space:  global
        .offset:         0
        .size:           8
        .value_kind:     global_buffer
      - .address_space:  global
        .offset:         8
        .size:           8
        .value_kind:     global_buffer
      - .address_space:  global
        .offset:         16
        .size:           8
        .value_kind:     global_buffer
      - .address_space:  global
        .offset:         24
        .size:           8
        .value_kind:     global_buffer
      - .address_space:  global
        .offset:         32
        .size:           8
        .value_kind:     global_buffer
      - .address_space:  global
        .offset:         40
        .size:           8
        .value_kind:     global_buffer
      - .offset:         48
        .size:           8
        .value_kind:     by_value
      - .offset:         56
        .size:           4
        .value_kind:     by_value
      - .offset:         60
        .size:           4
        .value_kind:     by_value
      - .offset:         64
        .size:           4
        .value_kind:     by_value
      - .offset:         68
        .size:           4
        .value_kind:     by_value
      - .offset:         72
        .size:           4
        .value_kind:     by_value
      - .offset:         76
        .size:           4
        .value_kind:     by_value
      - .offset:         80
        .size:           4
        .value_kind:     by_value
      - .offset:         84
        .size:           1
        .value_kind:     by_value
    .group_segment_fixed_size: 32
    .kernarg_segment_align: 8
    .kernarg_segment_size: 88
    .language:       OpenCL C
    .language_version:
      - 2
      - 0
    .max_flat_workgroup_size: 1024
    .name:           _ZN5aiter24add_rmsnorm_quant_kernelIDF16_aLi256ELi24ELb1ELb1ELb0ELi1EEEvPT0_PT_PfS4_S4_S4_diiiiiiib
    .private_segment_fixed_size: 0
    .sgpr_count:     44
    .sgpr_spill_count: 0
    .symbol:         _ZN5aiter24add_rmsnorm_quant_kernelIDF16_aLi256ELi24ELb1ELb1ELb0ELi1EEEvPT0_PT_PfS4_S4_S4_diiiiiiib.kd
    .uniform_work_group_size: 1
    .uses_dynamic_stack: false
    .vgpr_count:     64
    .vgpr_spill_count: 0
    .wavefront_size: 64
  - .agpr_count:     0
    .args:
      - .address_space:  global
        .offset:         0
        .size:           8
        .value_kind:     global_buffer
      - .address_space:  global
        .offset:         8
        .size:           8
        .value_kind:     global_buffer
      - .address_space:  global
        .offset:         16
        .size:           8
        .value_kind:     global_buffer
      - .address_space:  global
        .offset:         24
        .size:           8
        .value_kind:     global_buffer
      - .address_space:  global
        .offset:         32
        .size:           8
        .value_kind:     global_buffer
      - .address_space:  global
        .offset:         40
        .size:           8
        .value_kind:     global_buffer
      - .offset:         48
        .size:           8
        .value_kind:     by_value
      - .offset:         56
        .size:           4
        .value_kind:     by_value
      - .offset:         60
        .size:           4
        .value_kind:     by_value
      - .offset:         64
        .size:           4
        .value_kind:     by_value
      - .offset:         68
        .size:           4
        .value_kind:     by_value
      - .offset:         72
        .size:           4
        .value_kind:     by_value
      - .offset:         76
        .size:           4
        .value_kind:     by_value
      - .offset:         80
        .size:           4
        .value_kind:     by_value
      - .offset:         84
        .size:           1
        .value_kind:     by_value
    .group_segment_fixed_size: 32
    .kernarg_segment_align: 8
    .kernarg_segment_size: 88
    .language:       OpenCL C
    .language_version:
      - 2
      - 0
    .max_flat_workgroup_size: 1024
    .name:           _ZN5aiter24add_rmsnorm_quant_kernelItaLi256ELi24ELb1ELb1ELb0ELi1EEEvPT0_PT_PfS4_S4_S4_diiiiiiib
    .private_segment_fixed_size: 0
    .sgpr_count:     44
    .sgpr_spill_count: 0
    .symbol:         _ZN5aiter24add_rmsnorm_quant_kernelItaLi256ELi24ELb1ELb1ELb0ELi1EEEvPT0_PT_PfS4_S4_S4_diiiiiiib.kd
    .uniform_work_group_size: 1
    .uses_dynamic_stack: false
    .vgpr_count:     66
    .vgpr_spill_count: 0
    .wavefront_size: 64
  - .agpr_count:     0
    .args:
      - .address_space:  global
        .offset:         0
        .size:           8
        .value_kind:     global_buffer
      - .address_space:  global
        .offset:         8
        .size:           8
        .value_kind:     global_buffer
      - .address_space:  global
        .offset:         16
        .size:           8
        .value_kind:     global_buffer
      - .address_space:  global
        .offset:         24
        .size:           8
        .value_kind:     global_buffer
      - .address_space:  global
        .offset:         32
        .size:           8
        .value_kind:     global_buffer
      - .address_space:  global
        .offset:         40
        .size:           8
        .value_kind:     global_buffer
      - .offset:         48
        .size:           8
        .value_kind:     by_value
      - .offset:         56
        .size:           4
        .value_kind:     by_value
      - .offset:         60
        .size:           4
        .value_kind:     by_value
      - .offset:         64
        .size:           4
        .value_kind:     by_value
      - .offset:         68
        .size:           4
        .value_kind:     by_value
      - .offset:         72
        .size:           4
        .value_kind:     by_value
      - .offset:         76
        .size:           4
        .value_kind:     by_value
      - .offset:         80
        .size:           4
        .value_kind:     by_value
      - .offset:         84
        .size:           1
        .value_kind:     by_value
    .group_segment_fixed_size: 32
    .kernarg_segment_align: 8
    .kernarg_segment_size: 88
    .language:       OpenCL C
    .language_version:
      - 2
      - 0
    .max_flat_workgroup_size: 1024
    .name:           _ZN5aiter24add_rmsnorm_quant_kernelIDF16_aLi256ELi32ELb1ELb1ELb1ELi1EEEvPT0_PT_PfS4_S4_S4_diiiiiiib
    .private_segment_fixed_size: 0
    .sgpr_count:     44
    .sgpr_spill_count: 0
    .symbol:         _ZN5aiter24add_rmsnorm_quant_kernelIDF16_aLi256ELi32ELb1ELb1ELb1ELi1EEEvPT0_PT_PfS4_S4_S4_diiiiiiib.kd
    .uniform_work_group_size: 1
    .uses_dynamic_stack: false
    .vgpr_count:     70
    .vgpr_spill_count: 0
    .wavefront_size: 64
  - .agpr_count:     0
    .args:
      - .address_space:  global
        .offset:         0
        .size:           8
        .value_kind:     global_buffer
      - .address_space:  global
        .offset:         8
        .size:           8
        .value_kind:     global_buffer
      - .address_space:  global
        .offset:         16
        .size:           8
        .value_kind:     global_buffer
      - .address_space:  global
        .offset:         24
        .size:           8
        .value_kind:     global_buffer
      - .address_space:  global
        .offset:         32
        .size:           8
        .value_kind:     global_buffer
      - .address_space:  global
        .offset:         40
        .size:           8
        .value_kind:     global_buffer
      - .offset:         48
        .size:           8
        .value_kind:     by_value
      - .offset:         56
        .size:           4
        .value_kind:     by_value
      - .offset:         60
        .size:           4
        .value_kind:     by_value
      - .offset:         64
        .size:           4
        .value_kind:     by_value
      - .offset:         68
        .size:           4
        .value_kind:     by_value
      - .offset:         72
        .size:           4
        .value_kind:     by_value
      - .offset:         76
        .size:           4
        .value_kind:     by_value
      - .offset:         80
        .size:           4
        .value_kind:     by_value
      - .offset:         84
        .size:           1
        .value_kind:     by_value
    .group_segment_fixed_size: 32
    .kernarg_segment_align: 8
    .kernarg_segment_size: 88
    .language:       OpenCL C
    .language_version:
      - 2
      - 0
    .max_flat_workgroup_size: 1024
    .name:           _ZN5aiter24add_rmsnorm_quant_kernelItaLi256ELi32ELb1ELb1ELb1ELi1EEEvPT0_PT_PfS4_S4_S4_diiiiiiib
    .private_segment_fixed_size: 0
    .sgpr_count:     44
    .sgpr_spill_count: 0
    .symbol:         _ZN5aiter24add_rmsnorm_quant_kernelItaLi256ELi32ELb1ELb1ELb1ELi1EEEvPT0_PT_PfS4_S4_S4_diiiiiiib.kd
    .uniform_work_group_size: 1
    .uses_dynamic_stack: false
    .vgpr_count:     70
    .vgpr_spill_count: 0
    .wavefront_size: 64
  - .agpr_count:     0
    .args:
      - .address_space:  global
        .offset:         0
        .size:           8
        .value_kind:     global_buffer
      - .address_space:  global
        .offset:         8
        .size:           8
        .value_kind:     global_buffer
      - .address_space:  global
        .offset:         16
        .size:           8
        .value_kind:     global_buffer
      - .address_space:  global
        .offset:         24
        .size:           8
        .value_kind:     global_buffer
      - .address_space:  global
        .offset:         32
        .size:           8
        .value_kind:     global_buffer
      - .address_space:  global
        .offset:         40
        .size:           8
        .value_kind:     global_buffer
      - .offset:         48
        .size:           8
        .value_kind:     by_value
      - .offset:         56
        .size:           4
        .value_kind:     by_value
      - .offset:         60
        .size:           4
        .value_kind:     by_value
      - .offset:         64
        .size:           4
        .value_kind:     by_value
      - .offset:         68
        .size:           4
        .value_kind:     by_value
      - .offset:         72
        .size:           4
        .value_kind:     by_value
      - .offset:         76
        .size:           4
        .value_kind:     by_value
      - .offset:         80
        .size:           4
        .value_kind:     by_value
      - .offset:         84
        .size:           1
        .value_kind:     by_value
    .group_segment_fixed_size: 32
    .kernarg_segment_align: 8
    .kernarg_segment_size: 88
    .language:       OpenCL C
    .language_version:
      - 2
      - 0
    .max_flat_workgroup_size: 1024
    .name:           _ZN5aiter24add_rmsnorm_quant_kernelIDF16_aLi256ELi32ELb1ELb1ELb0ELi1EEEvPT0_PT_PfS4_S4_S4_diiiiiiib
    .private_segment_fixed_size: 0
    .sgpr_count:     44
    .sgpr_spill_count: 0
    .symbol:         _ZN5aiter24add_rmsnorm_quant_kernelIDF16_aLi256ELi32ELb1ELb1ELb0ELi1EEEvPT0_PT_PfS4_S4_S4_diiiiiiib.kd
    .uniform_work_group_size: 1
    .uses_dynamic_stack: false
    .vgpr_count:     72
    .vgpr_spill_count: 0
    .wavefront_size: 64
  - .agpr_count:     0
    .args:
      - .address_space:  global
        .offset:         0
        .size:           8
        .value_kind:     global_buffer
      - .address_space:  global
        .offset:         8
        .size:           8
        .value_kind:     global_buffer
      - .address_space:  global
        .offset:         16
        .size:           8
        .value_kind:     global_buffer
      - .address_space:  global
        .offset:         24
        .size:           8
        .value_kind:     global_buffer
      - .address_space:  global
        .offset:         32
        .size:           8
        .value_kind:     global_buffer
      - .address_space:  global
        .offset:         40
        .size:           8
        .value_kind:     global_buffer
      - .offset:         48
        .size:           8
        .value_kind:     by_value
      - .offset:         56
        .size:           4
        .value_kind:     by_value
      - .offset:         60
        .size:           4
        .value_kind:     by_value
      - .offset:         64
        .size:           4
        .value_kind:     by_value
      - .offset:         68
        .size:           4
        .value_kind:     by_value
      - .offset:         72
        .size:           4
        .value_kind:     by_value
      - .offset:         76
        .size:           4
        .value_kind:     by_value
      - .offset:         80
        .size:           4
        .value_kind:     by_value
      - .offset:         84
        .size:           1
        .value_kind:     by_value
    .group_segment_fixed_size: 32
    .kernarg_segment_align: 8
    .kernarg_segment_size: 88
    .language:       OpenCL C
    .language_version:
      - 2
      - 0
    .max_flat_workgroup_size: 1024
    .name:           _ZN5aiter24add_rmsnorm_quant_kernelItaLi256ELi32ELb1ELb1ELb0ELi1EEEvPT0_PT_PfS4_S4_S4_diiiiiiib
    .private_segment_fixed_size: 0
    .sgpr_count:     44
    .sgpr_spill_count: 0
    .symbol:         _ZN5aiter24add_rmsnorm_quant_kernelItaLi256ELi32ELb1ELb1ELb0ELi1EEEvPT0_PT_PfS4_S4_S4_diiiiiiib.kd
    .uniform_work_group_size: 1
    .uses_dynamic_stack: false
    .vgpr_count:     66
    .vgpr_spill_count: 0
    .wavefront_size: 64
  - .agpr_count:     0
    .args:
      - .address_space:  global
        .offset:         0
        .size:           8
        .value_kind:     global_buffer
      - .address_space:  global
        .offset:         8
        .size:           8
        .value_kind:     global_buffer
      - .address_space:  global
        .offset:         16
        .size:           8
        .value_kind:     global_buffer
      - .address_space:  global
        .offset:         24
        .size:           8
        .value_kind:     global_buffer
      - .address_space:  global
        .offset:         32
        .size:           8
        .value_kind:     global_buffer
      - .address_space:  global
        .offset:         40
        .size:           8
        .value_kind:     global_buffer
      - .offset:         48
        .size:           8
        .value_kind:     by_value
      - .offset:         56
        .size:           4
        .value_kind:     by_value
      - .offset:         60
        .size:           4
        .value_kind:     by_value
      - .offset:         64
        .size:           4
        .value_kind:     by_value
      - .offset:         68
        .size:           4
        .value_kind:     by_value
      - .offset:         72
        .size:           4
        .value_kind:     by_value
      - .offset:         76
        .size:           4
        .value_kind:     by_value
      - .offset:         80
        .size:           4
        .value_kind:     by_value
      - .offset:         84
        .size:           1
        .value_kind:     by_value
    .group_segment_fixed_size: 64
    .kernarg_segment_align: 8
    .kernarg_segment_size: 88
    .language:       OpenCL C
    .language_version:
      - 2
      - 0
    .max_flat_workgroup_size: 1024
    .name:           _ZN5aiter24add_rmsnorm_quant_kernelIDF16_aLi512ELi16ELb1ELb1ELb1ELi1EEEvPT0_PT_PfS4_S4_S4_diiiiiiib
    .private_segment_fixed_size: 0
    .sgpr_count:     44
    .sgpr_spill_count: 0
    .symbol:         _ZN5aiter24add_rmsnorm_quant_kernelIDF16_aLi512ELi16ELb1ELb1ELb1ELi1EEEvPT0_PT_PfS4_S4_S4_diiiiiiib.kd
    .uniform_work_group_size: 1
    .uses_dynamic_stack: false
    .vgpr_count:     48
    .vgpr_spill_count: 0
    .wavefront_size: 64
  - .agpr_count:     0
    .args:
      - .address_space:  global
        .offset:         0
        .size:           8
        .value_kind:     global_buffer
      - .address_space:  global
        .offset:         8
        .size:           8
        .value_kind:     global_buffer
      - .address_space:  global
        .offset:         16
        .size:           8
        .value_kind:     global_buffer
      - .address_space:  global
        .offset:         24
        .size:           8
        .value_kind:     global_buffer
      - .address_space:  global
        .offset:         32
        .size:           8
        .value_kind:     global_buffer
      - .address_space:  global
        .offset:         40
        .size:           8
        .value_kind:     global_buffer
      - .offset:         48
        .size:           8
        .value_kind:     by_value
      - .offset:         56
        .size:           4
        .value_kind:     by_value
      - .offset:         60
        .size:           4
        .value_kind:     by_value
      - .offset:         64
        .size:           4
        .value_kind:     by_value
      - .offset:         68
        .size:           4
        .value_kind:     by_value
      - .offset:         72
        .size:           4
        .value_kind:     by_value
      - .offset:         76
        .size:           4
        .value_kind:     by_value
      - .offset:         80
        .size:           4
        .value_kind:     by_value
      - .offset:         84
        .size:           1
        .value_kind:     by_value
    .group_segment_fixed_size: 64
    .kernarg_segment_align: 8
    .kernarg_segment_size: 88
    .language:       OpenCL C
    .language_version:
      - 2
      - 0
    .max_flat_workgroup_size: 1024
    .name:           _ZN5aiter24add_rmsnorm_quant_kernelItaLi512ELi16ELb1ELb1ELb1ELi1EEEvPT0_PT_PfS4_S4_S4_diiiiiiib
    .private_segment_fixed_size: 0
    .sgpr_count:     44
    .sgpr_spill_count: 0
    .symbol:         _ZN5aiter24add_rmsnorm_quant_kernelItaLi512ELi16ELb1ELb1ELb1ELi1EEEvPT0_PT_PfS4_S4_S4_diiiiiiib.kd
    .uniform_work_group_size: 1
    .uses_dynamic_stack: false
    .vgpr_count:     48
    .vgpr_spill_count: 0
    .wavefront_size: 64
  - .agpr_count:     0
    .args:
      - .address_space:  global
        .offset:         0
        .size:           8
        .value_kind:     global_buffer
      - .address_space:  global
        .offset:         8
        .size:           8
        .value_kind:     global_buffer
      - .address_space:  global
        .offset:         16
        .size:           8
        .value_kind:     global_buffer
      - .address_space:  global
        .offset:         24
        .size:           8
        .value_kind:     global_buffer
      - .address_space:  global
        .offset:         32
        .size:           8
        .value_kind:     global_buffer
      - .address_space:  global
        .offset:         40
        .size:           8
        .value_kind:     global_buffer
      - .offset:         48
        .size:           8
        .value_kind:     by_value
      - .offset:         56
        .size:           4
        .value_kind:     by_value
      - .offset:         60
        .size:           4
        .value_kind:     by_value
      - .offset:         64
        .size:           4
        .value_kind:     by_value
      - .offset:         68
        .size:           4
        .value_kind:     by_value
      - .offset:         72
        .size:           4
        .value_kind:     by_value
      - .offset:         76
        .size:           4
        .value_kind:     by_value
      - .offset:         80
        .size:           4
        .value_kind:     by_value
      - .offset:         84
        .size:           1
        .value_kind:     by_value
    .group_segment_fixed_size: 64
    .kernarg_segment_align: 8
    .kernarg_segment_size: 88
    .language:       OpenCL C
    .language_version:
      - 2
      - 0
    .max_flat_workgroup_size: 1024
    .name:           _ZN5aiter24add_rmsnorm_quant_kernelIDF16_aLi512ELi16ELb1ELb1ELb0ELi1EEEvPT0_PT_PfS4_S4_S4_diiiiiiib
    .private_segment_fixed_size: 0
    .sgpr_count:     44
    .sgpr_spill_count: 0
    .symbol:         _ZN5aiter24add_rmsnorm_quant_kernelIDF16_aLi512ELi16ELb1ELb1ELb0ELi1EEEvPT0_PT_PfS4_S4_S4_diiiiiiib.kd
    .uniform_work_group_size: 1
    .uses_dynamic_stack: false
    .vgpr_count:     46
    .vgpr_spill_count: 0
    .wavefront_size: 64
  - .agpr_count:     0
    .args:
      - .address_space:  global
        .offset:         0
        .size:           8
        .value_kind:     global_buffer
      - .address_space:  global
        .offset:         8
        .size:           8
        .value_kind:     global_buffer
      - .address_space:  global
        .offset:         16
        .size:           8
        .value_kind:     global_buffer
      - .address_space:  global
        .offset:         24
        .size:           8
        .value_kind:     global_buffer
      - .address_space:  global
        .offset:         32
        .size:           8
        .value_kind:     global_buffer
      - .address_space:  global
        .offset:         40
        .size:           8
        .value_kind:     global_buffer
      - .offset:         48
        .size:           8
        .value_kind:     by_value
      - .offset:         56
        .size:           4
        .value_kind:     by_value
      - .offset:         60
        .size:           4
        .value_kind:     by_value
      - .offset:         64
        .size:           4
        .value_kind:     by_value
      - .offset:         68
        .size:           4
        .value_kind:     by_value
      - .offset:         72
        .size:           4
        .value_kind:     by_value
      - .offset:         76
        .size:           4
        .value_kind:     by_value
      - .offset:         80
        .size:           4
        .value_kind:     by_value
      - .offset:         84
        .size:           1
        .value_kind:     by_value
    .group_segment_fixed_size: 64
    .kernarg_segment_align: 8
    .kernarg_segment_size: 88
    .language:       OpenCL C
    .language_version:
      - 2
      - 0
    .max_flat_workgroup_size: 1024
    .name:           _ZN5aiter24add_rmsnorm_quant_kernelItaLi512ELi16ELb1ELb1ELb0ELi1EEEvPT0_PT_PfS4_S4_S4_diiiiiiib
    .private_segment_fixed_size: 0
    .sgpr_count:     44
    .sgpr_spill_count: 0
    .symbol:         _ZN5aiter24add_rmsnorm_quant_kernelItaLi512ELi16ELb1ELb1ELb0ELi1EEEvPT0_PT_PfS4_S4_S4_diiiiiiib.kd
    .uniform_work_group_size: 1
    .uses_dynamic_stack: false
    .vgpr_count:     46
    .vgpr_spill_count: 0
    .wavefront_size: 64
  - .agpr_count:     0
    .args:
      - .address_space:  global
        .offset:         0
        .size:           8
        .value_kind:     global_buffer
      - .address_space:  global
        .offset:         8
        .size:           8
        .value_kind:     global_buffer
      - .address_space:  global
        .offset:         16
        .size:           8
        .value_kind:     global_buffer
      - .address_space:  global
        .offset:         24
        .size:           8
        .value_kind:     global_buffer
      - .address_space:  global
        .offset:         32
        .size:           8
        .value_kind:     global_buffer
      - .address_space:  global
        .offset:         40
        .size:           8
        .value_kind:     global_buffer
      - .offset:         48
        .size:           8
        .value_kind:     by_value
      - .offset:         56
        .size:           4
        .value_kind:     by_value
      - .offset:         60
        .size:           4
        .value_kind:     by_value
      - .offset:         64
        .size:           4
        .value_kind:     by_value
      - .offset:         68
        .size:           4
        .value_kind:     by_value
      - .offset:         72
        .size:           4
        .value_kind:     by_value
      - .offset:         76
        .size:           4
        .value_kind:     by_value
      - .offset:         80
        .size:           4
        .value_kind:     by_value
      - .offset:         84
        .size:           1
        .value_kind:     by_value
    .group_segment_fixed_size: 128
    .kernarg_segment_align: 8
    .kernarg_segment_size: 88
    .language:       OpenCL C
    .language_version:
      - 2
      - 0
    .max_flat_workgroup_size: 1024
    .name:           _ZN5aiter24add_rmsnorm_quant_kernelIDF16_aLi1024ELi8ELb1ELb1ELb1ELi1EEEvPT0_PT_PfS4_S4_S4_diiiiiiib
    .private_segment_fixed_size: 0
    .sgpr_count:     44
    .sgpr_spill_count: 0
    .symbol:         _ZN5aiter24add_rmsnorm_quant_kernelIDF16_aLi1024ELi8ELb1ELb1ELb1ELi1EEEvPT0_PT_PfS4_S4_S4_diiiiiiib.kd
    .uniform_work_group_size: 1
    .uses_dynamic_stack: false
    .vgpr_count:     32
    .vgpr_spill_count: 0
    .wavefront_size: 64
  - .agpr_count:     0
    .args:
      - .address_space:  global
        .offset:         0
        .size:           8
        .value_kind:     global_buffer
      - .address_space:  global
        .offset:         8
        .size:           8
        .value_kind:     global_buffer
      - .address_space:  global
        .offset:         16
        .size:           8
        .value_kind:     global_buffer
      - .address_space:  global
        .offset:         24
        .size:           8
        .value_kind:     global_buffer
      - .address_space:  global
        .offset:         32
        .size:           8
        .value_kind:     global_buffer
      - .address_space:  global
        .offset:         40
        .size:           8
        .value_kind:     global_buffer
      - .offset:         48
        .size:           8
        .value_kind:     by_value
      - .offset:         56
        .size:           4
        .value_kind:     by_value
      - .offset:         60
        .size:           4
        .value_kind:     by_value
      - .offset:         64
        .size:           4
        .value_kind:     by_value
      - .offset:         68
        .size:           4
        .value_kind:     by_value
      - .offset:         72
        .size:           4
        .value_kind:     by_value
      - .offset:         76
        .size:           4
        .value_kind:     by_value
      - .offset:         80
        .size:           4
        .value_kind:     by_value
      - .offset:         84
        .size:           1
        .value_kind:     by_value
    .group_segment_fixed_size: 128
    .kernarg_segment_align: 8
    .kernarg_segment_size: 88
    .language:       OpenCL C
    .language_version:
      - 2
      - 0
    .max_flat_workgroup_size: 1024
    .name:           _ZN5aiter24add_rmsnorm_quant_kernelItaLi1024ELi8ELb1ELb1ELb1ELi1EEEvPT0_PT_PfS4_S4_S4_diiiiiiib
    .private_segment_fixed_size: 0
    .sgpr_count:     44
    .sgpr_spill_count: 0
    .symbol:         _ZN5aiter24add_rmsnorm_quant_kernelItaLi1024ELi8ELb1ELb1ELb1ELi1EEEvPT0_PT_PfS4_S4_S4_diiiiiiib.kd
    .uniform_work_group_size: 1
    .uses_dynamic_stack: false
    .vgpr_count:     27
    .vgpr_spill_count: 0
    .wavefront_size: 64
  - .agpr_count:     0
    .args:
      - .address_space:  global
        .offset:         0
        .size:           8
        .value_kind:     global_buffer
      - .address_space:  global
        .offset:         8
        .size:           8
        .value_kind:     global_buffer
      - .address_space:  global
        .offset:         16
        .size:           8
        .value_kind:     global_buffer
      - .address_space:  global
        .offset:         24
        .size:           8
        .value_kind:     global_buffer
      - .address_space:  global
        .offset:         32
        .size:           8
        .value_kind:     global_buffer
      - .address_space:  global
        .offset:         40
        .size:           8
        .value_kind:     global_buffer
      - .offset:         48
        .size:           8
        .value_kind:     by_value
      - .offset:         56
        .size:           4
        .value_kind:     by_value
      - .offset:         60
        .size:           4
        .value_kind:     by_value
      - .offset:         64
        .size:           4
        .value_kind:     by_value
      - .offset:         68
        .size:           4
        .value_kind:     by_value
      - .offset:         72
        .size:           4
        .value_kind:     by_value
      - .offset:         76
        .size:           4
        .value_kind:     by_value
      - .offset:         80
        .size:           4
        .value_kind:     by_value
      - .offset:         84
        .size:           1
        .value_kind:     by_value
    .group_segment_fixed_size: 128
    .kernarg_segment_align: 8
    .kernarg_segment_size: 88
    .language:       OpenCL C
    .language_version:
      - 2
      - 0
    .max_flat_workgroup_size: 1024
    .name:           _ZN5aiter24add_rmsnorm_quant_kernelIDF16_aLi1024ELi8ELb1ELb1ELb0ELi1EEEvPT0_PT_PfS4_S4_S4_diiiiiiib
    .private_segment_fixed_size: 0
    .sgpr_count:     44
    .sgpr_spill_count: 0
    .symbol:         _ZN5aiter24add_rmsnorm_quant_kernelIDF16_aLi1024ELi8ELb1ELb1ELb0ELi1EEEvPT0_PT_PfS4_S4_S4_diiiiiiib.kd
    .uniform_work_group_size: 1
    .uses_dynamic_stack: false
    .vgpr_count:     32
    .vgpr_spill_count: 0
    .wavefront_size: 64
  - .agpr_count:     0
    .args:
      - .address_space:  global
        .offset:         0
        .size:           8
        .value_kind:     global_buffer
      - .address_space:  global
        .offset:         8
        .size:           8
        .value_kind:     global_buffer
      - .address_space:  global
        .offset:         16
        .size:           8
        .value_kind:     global_buffer
      - .address_space:  global
        .offset:         24
        .size:           8
        .value_kind:     global_buffer
      - .address_space:  global
        .offset:         32
        .size:           8
        .value_kind:     global_buffer
      - .address_space:  global
        .offset:         40
        .size:           8
        .value_kind:     global_buffer
      - .offset:         48
        .size:           8
        .value_kind:     by_value
      - .offset:         56
        .size:           4
        .value_kind:     by_value
      - .offset:         60
        .size:           4
        .value_kind:     by_value
      - .offset:         64
        .size:           4
        .value_kind:     by_value
      - .offset:         68
        .size:           4
        .value_kind:     by_value
      - .offset:         72
        .size:           4
        .value_kind:     by_value
      - .offset:         76
        .size:           4
        .value_kind:     by_value
      - .offset:         80
        .size:           4
        .value_kind:     by_value
      - .offset:         84
        .size:           1
        .value_kind:     by_value
    .group_segment_fixed_size: 128
    .kernarg_segment_align: 8
    .kernarg_segment_size: 88
    .language:       OpenCL C
    .language_version:
      - 2
      - 0
    .max_flat_workgroup_size: 1024
    .name:           _ZN5aiter24add_rmsnorm_quant_kernelItaLi1024ELi8ELb1ELb1ELb0ELi1EEEvPT0_PT_PfS4_S4_S4_diiiiiiib
    .private_segment_fixed_size: 0
    .sgpr_count:     44
    .sgpr_spill_count: 0
    .symbol:         _ZN5aiter24add_rmsnorm_quant_kernelItaLi1024ELi8ELb1ELb1ELb0ELi1EEEvPT0_PT_PfS4_S4_S4_diiiiiiib.kd
    .uniform_work_group_size: 1
    .uses_dynamic_stack: false
    .vgpr_count:     27
    .vgpr_spill_count: 0
    .wavefront_size: 64
  - .agpr_count:     0
    .args:
      - .address_space:  global
        .offset:         0
        .size:           8
        .value_kind:     global_buffer
      - .address_space:  global
        .offset:         8
        .size:           8
        .value_kind:     global_buffer
      - .address_space:  global
        .offset:         16
        .size:           8
        .value_kind:     global_buffer
      - .address_space:  global
        .offset:         24
        .size:           8
        .value_kind:     global_buffer
      - .address_space:  global
        .offset:         32
        .size:           8
        .value_kind:     global_buffer
      - .address_space:  global
        .offset:         40
        .size:           8
        .value_kind:     global_buffer
      - .offset:         48
        .size:           8
        .value_kind:     by_value
      - .offset:         56
        .size:           4
        .value_kind:     by_value
      - .offset:         60
        .size:           4
        .value_kind:     by_value
      - .offset:         64
        .size:           4
        .value_kind:     by_value
      - .offset:         68
        .size:           4
        .value_kind:     by_value
      - .offset:         72
        .size:           4
        .value_kind:     by_value
      - .offset:         76
        .size:           4
        .value_kind:     by_value
      - .offset:         80
        .size:           4
        .value_kind:     by_value
      - .offset:         84
        .size:           1
        .value_kind:     by_value
    .group_segment_fixed_size: 0
    .kernarg_segment_align: 8
    .kernarg_segment_size: 88
    .language:       OpenCL C
    .language_version:
      - 2
      - 0
    .max_flat_workgroup_size: 1024
    .name:           _ZN5aiter24add_rmsnorm_quant_kernelIDF16_DB8_Li64ELi8ELb0ELb1ELb1ELi1EEEvPT0_PT_PfS5_S5_S5_diiiiiiib
    .private_segment_fixed_size: 0
    .sgpr_count:     35
    .sgpr_spill_count: 0
    .symbol:         _ZN5aiter24add_rmsnorm_quant_kernelIDF16_DB8_Li64ELi8ELb0ELb1ELb1ELi1EEEvPT0_PT_PfS5_S5_S5_diiiiiiib.kd
    .uniform_work_group_size: 1
    .uses_dynamic_stack: false
    .vgpr_count:     28
    .vgpr_spill_count: 0
    .wavefront_size: 64
  - .agpr_count:     0
    .args:
      - .address_space:  global
        .offset:         0
        .size:           8
        .value_kind:     global_buffer
      - .address_space:  global
        .offset:         8
        .size:           8
        .value_kind:     global_buffer
      - .address_space:  global
        .offset:         16
        .size:           8
        .value_kind:     global_buffer
      - .address_space:  global
        .offset:         24
        .size:           8
        .value_kind:     global_buffer
      - .address_space:  global
        .offset:         32
        .size:           8
        .value_kind:     global_buffer
      - .address_space:  global
        .offset:         40
        .size:           8
        .value_kind:     global_buffer
      - .offset:         48
        .size:           8
        .value_kind:     by_value
      - .offset:         56
        .size:           4
        .value_kind:     by_value
      - .offset:         60
        .size:           4
        .value_kind:     by_value
      - .offset:         64
        .size:           4
        .value_kind:     by_value
      - .offset:         68
        .size:           4
        .value_kind:     by_value
      - .offset:         72
        .size:           4
        .value_kind:     by_value
      - .offset:         76
        .size:           4
        .value_kind:     by_value
      - .offset:         80
        .size:           4
        .value_kind:     by_value
      - .offset:         84
        .size:           1
        .value_kind:     by_value
    .group_segment_fixed_size: 0
    .kernarg_segment_align: 8
    .kernarg_segment_size: 88
    .language:       OpenCL C
    .language_version:
      - 2
      - 0
    .max_flat_workgroup_size: 1024
    .name:           _ZN5aiter24add_rmsnorm_quant_kernelItDB8_Li64ELi8ELb0ELb1ELb1ELi1EEEvPT0_PT_PfS5_S5_S5_diiiiiiib
    .private_segment_fixed_size: 0
    .sgpr_count:     35
    .sgpr_spill_count: 0
    .symbol:         _ZN5aiter24add_rmsnorm_quant_kernelItDB8_Li64ELi8ELb0ELb1ELb1ELi1EEEvPT0_PT_PfS5_S5_S5_diiiiiiib.kd
    .uniform_work_group_size: 1
    .uses_dynamic_stack: false
    .vgpr_count:     28
    .vgpr_spill_count: 0
    .wavefront_size: 64
  - .agpr_count:     0
    .args:
      - .address_space:  global
        .offset:         0
        .size:           8
        .value_kind:     global_buffer
      - .address_space:  global
        .offset:         8
        .size:           8
        .value_kind:     global_buffer
      - .address_space:  global
        .offset:         16
        .size:           8
        .value_kind:     global_buffer
      - .address_space:  global
        .offset:         24
        .size:           8
        .value_kind:     global_buffer
      - .address_space:  global
        .offset:         32
        .size:           8
        .value_kind:     global_buffer
      - .address_space:  global
        .offset:         40
        .size:           8
        .value_kind:     global_buffer
      - .offset:         48
        .size:           8
        .value_kind:     by_value
      - .offset:         56
        .size:           4
        .value_kind:     by_value
      - .offset:         60
        .size:           4
        .value_kind:     by_value
      - .offset:         64
        .size:           4
        .value_kind:     by_value
      - .offset:         68
        .size:           4
        .value_kind:     by_value
      - .offset:         72
        .size:           4
        .value_kind:     by_value
      - .offset:         76
        .size:           4
        .value_kind:     by_value
      - .offset:         80
        .size:           4
        .value_kind:     by_value
      - .offset:         84
        .size:           1
        .value_kind:     by_value
    .group_segment_fixed_size: 0
    .kernarg_segment_align: 8
    .kernarg_segment_size: 88
    .language:       OpenCL C
    .language_version:
      - 2
      - 0
    .max_flat_workgroup_size: 1024
    .name:           _ZN5aiter24add_rmsnorm_quant_kernelIDF16_DB8_Li64ELi8ELb0ELb1ELb0ELi1EEEvPT0_PT_PfS5_S5_S5_diiiiiiib
    .private_segment_fixed_size: 0
    .sgpr_count:     35
    .sgpr_spill_count: 0
    .symbol:         _ZN5aiter24add_rmsnorm_quant_kernelIDF16_DB8_Li64ELi8ELb0ELb1ELb0ELi1EEEvPT0_PT_PfS5_S5_S5_diiiiiiib.kd
    .uniform_work_group_size: 1
    .uses_dynamic_stack: false
    .vgpr_count:     28
    .vgpr_spill_count: 0
    .wavefront_size: 64
  - .agpr_count:     0
    .args:
      - .address_space:  global
        .offset:         0
        .size:           8
        .value_kind:     global_buffer
      - .address_space:  global
        .offset:         8
        .size:           8
        .value_kind:     global_buffer
      - .address_space:  global
        .offset:         16
        .size:           8
        .value_kind:     global_buffer
      - .address_space:  global
        .offset:         24
        .size:           8
        .value_kind:     global_buffer
      - .address_space:  global
        .offset:         32
        .size:           8
        .value_kind:     global_buffer
      - .address_space:  global
        .offset:         40
        .size:           8
        .value_kind:     global_buffer
      - .offset:         48
        .size:           8
        .value_kind:     by_value
      - .offset:         56
        .size:           4
        .value_kind:     by_value
      - .offset:         60
        .size:           4
        .value_kind:     by_value
      - .offset:         64
        .size:           4
        .value_kind:     by_value
      - .offset:         68
        .size:           4
        .value_kind:     by_value
      - .offset:         72
        .size:           4
        .value_kind:     by_value
      - .offset:         76
        .size:           4
        .value_kind:     by_value
      - .offset:         80
        .size:           4
        .value_kind:     by_value
      - .offset:         84
        .size:           1
        .value_kind:     by_value
    .group_segment_fixed_size: 0
    .kernarg_segment_align: 8
    .kernarg_segment_size: 88
    .language:       OpenCL C
    .language_version:
      - 2
      - 0
    .max_flat_workgroup_size: 1024
    .name:           _ZN5aiter24add_rmsnorm_quant_kernelItDB8_Li64ELi8ELb0ELb1ELb0ELi1EEEvPT0_PT_PfS5_S5_S5_diiiiiiib
    .private_segment_fixed_size: 0
    .sgpr_count:     35
    .sgpr_spill_count: 0
    .symbol:         _ZN5aiter24add_rmsnorm_quant_kernelItDB8_Li64ELi8ELb0ELb1ELb0ELi1EEEvPT0_PT_PfS5_S5_S5_diiiiiiib.kd
    .uniform_work_group_size: 1
    .uses_dynamic_stack: false
    .vgpr_count:     28
    .vgpr_spill_count: 0
    .wavefront_size: 64
  - .agpr_count:     0
    .args:
      - .address_space:  global
        .offset:         0
        .size:           8
        .value_kind:     global_buffer
      - .address_space:  global
        .offset:         8
        .size:           8
        .value_kind:     global_buffer
      - .address_space:  global
        .offset:         16
        .size:           8
        .value_kind:     global_buffer
      - .address_space:  global
        .offset:         24
        .size:           8
        .value_kind:     global_buffer
      - .address_space:  global
        .offset:         32
        .size:           8
        .value_kind:     global_buffer
      - .address_space:  global
        .offset:         40
        .size:           8
        .value_kind:     global_buffer
      - .offset:         48
        .size:           8
        .value_kind:     by_value
      - .offset:         56
        .size:           4
        .value_kind:     by_value
      - .offset:         60
        .size:           4
        .value_kind:     by_value
      - .offset:         64
        .size:           4
        .value_kind:     by_value
      - .offset:         68
        .size:           4
        .value_kind:     by_value
      - .offset:         72
        .size:           4
        .value_kind:     by_value
      - .offset:         76
        .size:           4
        .value_kind:     by_value
      - .offset:         80
        .size:           4
        .value_kind:     by_value
      - .offset:         84
        .size:           1
        .value_kind:     by_value
    .group_segment_fixed_size: 16
    .kernarg_segment_align: 8
    .kernarg_segment_size: 88
    .language:       OpenCL C
    .language_version:
      - 2
      - 0
    .max_flat_workgroup_size: 1024
    .name:           _ZN5aiter24add_rmsnorm_quant_kernelIDF16_DB8_Li128ELi8ELb0ELb1ELb1ELi1EEEvPT0_PT_PfS5_S5_S5_diiiiiiib
    .private_segment_fixed_size: 0
    .sgpr_count:     38
    .sgpr_spill_count: 0
    .symbol:         _ZN5aiter24add_rmsnorm_quant_kernelIDF16_DB8_Li128ELi8ELb0ELb1ELb1ELi1EEEvPT0_PT_PfS5_S5_S5_diiiiiiib.kd
    .uniform_work_group_size: 1
    .uses_dynamic_stack: false
    .vgpr_count:     24
    .vgpr_spill_count: 0
    .wavefront_size: 64
  - .agpr_count:     0
    .args:
      - .address_space:  global
        .offset:         0
        .size:           8
        .value_kind:     global_buffer
      - .address_space:  global
        .offset:         8
        .size:           8
        .value_kind:     global_buffer
      - .address_space:  global
        .offset:         16
        .size:           8
        .value_kind:     global_buffer
      - .address_space:  global
        .offset:         24
        .size:           8
        .value_kind:     global_buffer
      - .address_space:  global
        .offset:         32
        .size:           8
        .value_kind:     global_buffer
      - .address_space:  global
        .offset:         40
        .size:           8
        .value_kind:     global_buffer
      - .offset:         48
        .size:           8
        .value_kind:     by_value
      - .offset:         56
        .size:           4
        .value_kind:     by_value
      - .offset:         60
        .size:           4
        .value_kind:     by_value
      - .offset:         64
        .size:           4
        .value_kind:     by_value
      - .offset:         68
        .size:           4
        .value_kind:     by_value
      - .offset:         72
        .size:           4
        .value_kind:     by_value
      - .offset:         76
        .size:           4
        .value_kind:     by_value
      - .offset:         80
        .size:           4
        .value_kind:     by_value
      - .offset:         84
        .size:           1
        .value_kind:     by_value
    .group_segment_fixed_size: 16
    .kernarg_segment_align: 8
    .kernarg_segment_size: 88
    .language:       OpenCL C
    .language_version:
      - 2
      - 0
    .max_flat_workgroup_size: 1024
    .name:           _ZN5aiter24add_rmsnorm_quant_kernelItDB8_Li128ELi8ELb0ELb1ELb1ELi1EEEvPT0_PT_PfS5_S5_S5_diiiiiiib
    .private_segment_fixed_size: 0
    .sgpr_count:     38
    .sgpr_spill_count: 0
    .symbol:         _ZN5aiter24add_rmsnorm_quant_kernelItDB8_Li128ELi8ELb0ELb1ELb1ELi1EEEvPT0_PT_PfS5_S5_S5_diiiiiiib.kd
    .uniform_work_group_size: 1
    .uses_dynamic_stack: false
    .vgpr_count:     24
    .vgpr_spill_count: 0
    .wavefront_size: 64
  - .agpr_count:     0
    .args:
      - .address_space:  global
        .offset:         0
        .size:           8
        .value_kind:     global_buffer
      - .address_space:  global
        .offset:         8
        .size:           8
        .value_kind:     global_buffer
      - .address_space:  global
        .offset:         16
        .size:           8
        .value_kind:     global_buffer
      - .address_space:  global
        .offset:         24
        .size:           8
        .value_kind:     global_buffer
      - .address_space:  global
        .offset:         32
        .size:           8
        .value_kind:     global_buffer
      - .address_space:  global
        .offset:         40
        .size:           8
        .value_kind:     global_buffer
      - .offset:         48
        .size:           8
        .value_kind:     by_value
      - .offset:         56
        .size:           4
        .value_kind:     by_value
      - .offset:         60
        .size:           4
        .value_kind:     by_value
      - .offset:         64
        .size:           4
        .value_kind:     by_value
      - .offset:         68
        .size:           4
        .value_kind:     by_value
      - .offset:         72
        .size:           4
        .value_kind:     by_value
      - .offset:         76
        .size:           4
        .value_kind:     by_value
      - .offset:         80
        .size:           4
        .value_kind:     by_value
      - .offset:         84
        .size:           1
        .value_kind:     by_value
    .group_segment_fixed_size: 16
    .kernarg_segment_align: 8
    .kernarg_segment_size: 88
    .language:       OpenCL C
    .language_version:
      - 2
      - 0
    .max_flat_workgroup_size: 1024
    .name:           _ZN5aiter24add_rmsnorm_quant_kernelIDF16_DB8_Li128ELi8ELb0ELb1ELb0ELi1EEEvPT0_PT_PfS5_S5_S5_diiiiiiib
    .private_segment_fixed_size: 0
    .sgpr_count:     38
    .sgpr_spill_count: 0
    .symbol:         _ZN5aiter24add_rmsnorm_quant_kernelIDF16_DB8_Li128ELi8ELb0ELb1ELb0ELi1EEEvPT0_PT_PfS5_S5_S5_diiiiiiib.kd
    .uniform_work_group_size: 1
    .uses_dynamic_stack: false
    .vgpr_count:     24
    .vgpr_spill_count: 0
    .wavefront_size: 64
  - .agpr_count:     0
    .args:
      - .address_space:  global
        .offset:         0
        .size:           8
        .value_kind:     global_buffer
      - .address_space:  global
        .offset:         8
        .size:           8
        .value_kind:     global_buffer
      - .address_space:  global
        .offset:         16
        .size:           8
        .value_kind:     global_buffer
      - .address_space:  global
        .offset:         24
        .size:           8
        .value_kind:     global_buffer
      - .address_space:  global
        .offset:         32
        .size:           8
        .value_kind:     global_buffer
      - .address_space:  global
        .offset:         40
        .size:           8
        .value_kind:     global_buffer
      - .offset:         48
        .size:           8
        .value_kind:     by_value
      - .offset:         56
        .size:           4
        .value_kind:     by_value
      - .offset:         60
        .size:           4
        .value_kind:     by_value
      - .offset:         64
        .size:           4
        .value_kind:     by_value
      - .offset:         68
        .size:           4
        .value_kind:     by_value
      - .offset:         72
        .size:           4
        .value_kind:     by_value
      - .offset:         76
        .size:           4
        .value_kind:     by_value
      - .offset:         80
        .size:           4
        .value_kind:     by_value
      - .offset:         84
        .size:           1
        .value_kind:     by_value
    .group_segment_fixed_size: 16
    .kernarg_segment_align: 8
    .kernarg_segment_size: 88
    .language:       OpenCL C
    .language_version:
      - 2
      - 0
    .max_flat_workgroup_size: 1024
    .name:           _ZN5aiter24add_rmsnorm_quant_kernelItDB8_Li128ELi8ELb0ELb1ELb0ELi1EEEvPT0_PT_PfS5_S5_S5_diiiiiiib
    .private_segment_fixed_size: 0
    .sgpr_count:     38
    .sgpr_spill_count: 0
    .symbol:         _ZN5aiter24add_rmsnorm_quant_kernelItDB8_Li128ELi8ELb0ELb1ELb0ELi1EEEvPT0_PT_PfS5_S5_S5_diiiiiiib.kd
    .uniform_work_group_size: 1
    .uses_dynamic_stack: false
    .vgpr_count:     24
    .vgpr_spill_count: 0
    .wavefront_size: 64
  - .agpr_count:     0
    .args:
      - .address_space:  global
        .offset:         0
        .size:           8
        .value_kind:     global_buffer
      - .address_space:  global
        .offset:         8
        .size:           8
        .value_kind:     global_buffer
      - .address_space:  global
        .offset:         16
        .size:           8
        .value_kind:     global_buffer
      - .address_space:  global
        .offset:         24
        .size:           8
        .value_kind:     global_buffer
      - .address_space:  global
        .offset:         32
        .size:           8
        .value_kind:     global_buffer
      - .address_space:  global
        .offset:         40
        .size:           8
        .value_kind:     global_buffer
      - .offset:         48
        .size:           8
        .value_kind:     by_value
      - .offset:         56
        .size:           4
        .value_kind:     by_value
      - .offset:         60
        .size:           4
        .value_kind:     by_value
      - .offset:         64
        .size:           4
        .value_kind:     by_value
      - .offset:         68
        .size:           4
        .value_kind:     by_value
      - .offset:         72
        .size:           4
        .value_kind:     by_value
      - .offset:         76
        .size:           4
        .value_kind:     by_value
      - .offset:         80
        .size:           4
        .value_kind:     by_value
      - .offset:         84
        .size:           1
        .value_kind:     by_value
    .group_segment_fixed_size: 32
    .kernarg_segment_align: 8
    .kernarg_segment_size: 88
    .language:       OpenCL C
    .language_version:
      - 2
      - 0
    .max_flat_workgroup_size: 1024
    .name:           _ZN5aiter24add_rmsnorm_quant_kernelIDF16_DB8_Li256ELi8ELb0ELb1ELb1ELi1EEEvPT0_PT_PfS5_S5_S5_diiiiiiib
    .private_segment_fixed_size: 0
    .sgpr_count:     38
    .sgpr_spill_count: 0
    .symbol:         _ZN5aiter24add_rmsnorm_quant_kernelIDF16_DB8_Li256ELi8ELb0ELb1ELb1ELi1EEEvPT0_PT_PfS5_S5_S5_diiiiiiib.kd
    .uniform_work_group_size: 1
    .uses_dynamic_stack: false
    .vgpr_count:     24
    .vgpr_spill_count: 0
    .wavefront_size: 64
  - .agpr_count:     0
    .args:
      - .address_space:  global
        .offset:         0
        .size:           8
        .value_kind:     global_buffer
      - .address_space:  global
        .offset:         8
        .size:           8
        .value_kind:     global_buffer
      - .address_space:  global
        .offset:         16
        .size:           8
        .value_kind:     global_buffer
      - .address_space:  global
        .offset:         24
        .size:           8
        .value_kind:     global_buffer
      - .address_space:  global
        .offset:         32
        .size:           8
        .value_kind:     global_buffer
      - .address_space:  global
        .offset:         40
        .size:           8
        .value_kind:     global_buffer
      - .offset:         48
        .size:           8
        .value_kind:     by_value
      - .offset:         56
        .size:           4
        .value_kind:     by_value
      - .offset:         60
        .size:           4
        .value_kind:     by_value
      - .offset:         64
        .size:           4
        .value_kind:     by_value
      - .offset:         68
        .size:           4
        .value_kind:     by_value
      - .offset:         72
        .size:           4
        .value_kind:     by_value
      - .offset:         76
        .size:           4
        .value_kind:     by_value
      - .offset:         80
        .size:           4
        .value_kind:     by_value
      - .offset:         84
        .size:           1
        .value_kind:     by_value
    .group_segment_fixed_size: 32
    .kernarg_segment_align: 8
    .kernarg_segment_size: 88
    .language:       OpenCL C
    .language_version:
      - 2
      - 0
    .max_flat_workgroup_size: 1024
    .name:           _ZN5aiter24add_rmsnorm_quant_kernelItDB8_Li256ELi8ELb0ELb1ELb1ELi1EEEvPT0_PT_PfS5_S5_S5_diiiiiiib
    .private_segment_fixed_size: 0
    .sgpr_count:     38
    .sgpr_spill_count: 0
    .symbol:         _ZN5aiter24add_rmsnorm_quant_kernelItDB8_Li256ELi8ELb0ELb1ELb1ELi1EEEvPT0_PT_PfS5_S5_S5_diiiiiiib.kd
    .uniform_work_group_size: 1
    .uses_dynamic_stack: false
    .vgpr_count:     24
    .vgpr_spill_count: 0
    .wavefront_size: 64
  - .agpr_count:     0
    .args:
      - .address_space:  global
        .offset:         0
        .size:           8
        .value_kind:     global_buffer
      - .address_space:  global
        .offset:         8
        .size:           8
        .value_kind:     global_buffer
      - .address_space:  global
        .offset:         16
        .size:           8
        .value_kind:     global_buffer
      - .address_space:  global
        .offset:         24
        .size:           8
        .value_kind:     global_buffer
      - .address_space:  global
        .offset:         32
        .size:           8
        .value_kind:     global_buffer
      - .address_space:  global
        .offset:         40
        .size:           8
        .value_kind:     global_buffer
      - .offset:         48
        .size:           8
        .value_kind:     by_value
      - .offset:         56
        .size:           4
        .value_kind:     by_value
      - .offset:         60
        .size:           4
        .value_kind:     by_value
      - .offset:         64
        .size:           4
        .value_kind:     by_value
      - .offset:         68
        .size:           4
        .value_kind:     by_value
      - .offset:         72
        .size:           4
        .value_kind:     by_value
      - .offset:         76
        .size:           4
        .value_kind:     by_value
      - .offset:         80
        .size:           4
        .value_kind:     by_value
      - .offset:         84
        .size:           1
        .value_kind:     by_value
    .group_segment_fixed_size: 32
    .kernarg_segment_align: 8
    .kernarg_segment_size: 88
    .language:       OpenCL C
    .language_version:
      - 2
      - 0
    .max_flat_workgroup_size: 1024
    .name:           _ZN5aiter24add_rmsnorm_quant_kernelIDF16_DB8_Li256ELi8ELb0ELb1ELb0ELi1EEEvPT0_PT_PfS5_S5_S5_diiiiiiib
    .private_segment_fixed_size: 0
    .sgpr_count:     38
    .sgpr_spill_count: 0
    .symbol:         _ZN5aiter24add_rmsnorm_quant_kernelIDF16_DB8_Li256ELi8ELb0ELb1ELb0ELi1EEEvPT0_PT_PfS5_S5_S5_diiiiiiib.kd
    .uniform_work_group_size: 1
    .uses_dynamic_stack: false
    .vgpr_count:     24
    .vgpr_spill_count: 0
    .wavefront_size: 64
  - .agpr_count:     0
    .args:
      - .address_space:  global
        .offset:         0
        .size:           8
        .value_kind:     global_buffer
      - .address_space:  global
        .offset:         8
        .size:           8
        .value_kind:     global_buffer
      - .address_space:  global
        .offset:         16
        .size:           8
        .value_kind:     global_buffer
      - .address_space:  global
        .offset:         24
        .size:           8
        .value_kind:     global_buffer
      - .address_space:  global
        .offset:         32
        .size:           8
        .value_kind:     global_buffer
      - .address_space:  global
        .offset:         40
        .size:           8
        .value_kind:     global_buffer
      - .offset:         48
        .size:           8
        .value_kind:     by_value
      - .offset:         56
        .size:           4
        .value_kind:     by_value
      - .offset:         60
        .size:           4
        .value_kind:     by_value
      - .offset:         64
        .size:           4
        .value_kind:     by_value
      - .offset:         68
        .size:           4
        .value_kind:     by_value
      - .offset:         72
        .size:           4
        .value_kind:     by_value
      - .offset:         76
        .size:           4
        .value_kind:     by_value
      - .offset:         80
        .size:           4
        .value_kind:     by_value
      - .offset:         84
        .size:           1
        .value_kind:     by_value
    .group_segment_fixed_size: 32
    .kernarg_segment_align: 8
    .kernarg_segment_size: 88
    .language:       OpenCL C
    .language_version:
      - 2
      - 0
    .max_flat_workgroup_size: 1024
    .name:           _ZN5aiter24add_rmsnorm_quant_kernelItDB8_Li256ELi8ELb0ELb1ELb0ELi1EEEvPT0_PT_PfS5_S5_S5_diiiiiiib
    .private_segment_fixed_size: 0
    .sgpr_count:     38
    .sgpr_spill_count: 0
    .symbol:         _ZN5aiter24add_rmsnorm_quant_kernelItDB8_Li256ELi8ELb0ELb1ELb0ELi1EEEvPT0_PT_PfS5_S5_S5_diiiiiiib.kd
    .uniform_work_group_size: 1
    .uses_dynamic_stack: false
    .vgpr_count:     24
    .vgpr_spill_count: 0
    .wavefront_size: 64
  - .agpr_count:     0
    .args:
      - .address_space:  global
        .offset:         0
        .size:           8
        .value_kind:     global_buffer
      - .address_space:  global
        .offset:         8
        .size:           8
        .value_kind:     global_buffer
      - .address_space:  global
        .offset:         16
        .size:           8
        .value_kind:     global_buffer
      - .address_space:  global
        .offset:         24
        .size:           8
        .value_kind:     global_buffer
      - .address_space:  global
        .offset:         32
        .size:           8
        .value_kind:     global_buffer
      - .address_space:  global
        .offset:         40
        .size:           8
        .value_kind:     global_buffer
      - .offset:         48
        .size:           8
        .value_kind:     by_value
      - .offset:         56
        .size:           4
        .value_kind:     by_value
      - .offset:         60
        .size:           4
        .value_kind:     by_value
      - .offset:         64
        .size:           4
        .value_kind:     by_value
      - .offset:         68
        .size:           4
        .value_kind:     by_value
      - .offset:         72
        .size:           4
        .value_kind:     by_value
      - .offset:         76
        .size:           4
        .value_kind:     by_value
      - .offset:         80
        .size:           4
        .value_kind:     by_value
      - .offset:         84
        .size:           1
        .value_kind:     by_value
    .group_segment_fixed_size: 32
    .kernarg_segment_align: 8
    .kernarg_segment_size: 88
    .language:       OpenCL C
    .language_version:
      - 2
      - 0
    .max_flat_workgroup_size: 1024
    .name:           _ZN5aiter24add_rmsnorm_quant_kernelIDF16_DB8_Li256ELi16ELb0ELb1ELb1ELi1EEEvPT0_PT_PfS5_S5_S5_diiiiiiib
    .private_segment_fixed_size: 0
    .sgpr_count:     38
    .sgpr_spill_count: 0
    .symbol:         _ZN5aiter24add_rmsnorm_quant_kernelIDF16_DB8_Li256ELi16ELb0ELb1ELb1ELi1EEEvPT0_PT_PfS5_S5_S5_diiiiiiib.kd
    .uniform_work_group_size: 1
    .uses_dynamic_stack: false
    .vgpr_count:     45
    .vgpr_spill_count: 0
    .wavefront_size: 64
  - .agpr_count:     0
    .args:
      - .address_space:  global
        .offset:         0
        .size:           8
        .value_kind:     global_buffer
      - .address_space:  global
        .offset:         8
        .size:           8
        .value_kind:     global_buffer
      - .address_space:  global
        .offset:         16
        .size:           8
        .value_kind:     global_buffer
      - .address_space:  global
        .offset:         24
        .size:           8
        .value_kind:     global_buffer
      - .address_space:  global
        .offset:         32
        .size:           8
        .value_kind:     global_buffer
      - .address_space:  global
        .offset:         40
        .size:           8
        .value_kind:     global_buffer
      - .offset:         48
        .size:           8
        .value_kind:     by_value
      - .offset:         56
        .size:           4
        .value_kind:     by_value
      - .offset:         60
        .size:           4
        .value_kind:     by_value
      - .offset:         64
        .size:           4
        .value_kind:     by_value
      - .offset:         68
        .size:           4
        .value_kind:     by_value
      - .offset:         72
        .size:           4
        .value_kind:     by_value
      - .offset:         76
        .size:           4
        .value_kind:     by_value
      - .offset:         80
        .size:           4
        .value_kind:     by_value
      - .offset:         84
        .size:           1
        .value_kind:     by_value
    .group_segment_fixed_size: 32
    .kernarg_segment_align: 8
    .kernarg_segment_size: 88
    .language:       OpenCL C
    .language_version:
      - 2
      - 0
    .max_flat_workgroup_size: 1024
    .name:           _ZN5aiter24add_rmsnorm_quant_kernelItDB8_Li256ELi16ELb0ELb1ELb1ELi1EEEvPT0_PT_PfS5_S5_S5_diiiiiiib
    .private_segment_fixed_size: 0
    .sgpr_count:     38
    .sgpr_spill_count: 0
    .symbol:         _ZN5aiter24add_rmsnorm_quant_kernelItDB8_Li256ELi16ELb0ELb1ELb1ELi1EEEvPT0_PT_PfS5_S5_S5_diiiiiiib.kd
    .uniform_work_group_size: 1
    .uses_dynamic_stack: false
    .vgpr_count:     45
    .vgpr_spill_count: 0
    .wavefront_size: 64
  - .agpr_count:     0
    .args:
      - .address_space:  global
        .offset:         0
        .size:           8
        .value_kind:     global_buffer
      - .address_space:  global
        .offset:         8
        .size:           8
        .value_kind:     global_buffer
      - .address_space:  global
        .offset:         16
        .size:           8
        .value_kind:     global_buffer
      - .address_space:  global
        .offset:         24
        .size:           8
        .value_kind:     global_buffer
      - .address_space:  global
        .offset:         32
        .size:           8
        .value_kind:     global_buffer
      - .address_space:  global
        .offset:         40
        .size:           8
        .value_kind:     global_buffer
      - .offset:         48
        .size:           8
        .value_kind:     by_value
      - .offset:         56
        .size:           4
        .value_kind:     by_value
      - .offset:         60
        .size:           4
        .value_kind:     by_value
      - .offset:         64
        .size:           4
        .value_kind:     by_value
      - .offset:         68
        .size:           4
        .value_kind:     by_value
      - .offset:         72
        .size:           4
        .value_kind:     by_value
      - .offset:         76
        .size:           4
        .value_kind:     by_value
      - .offset:         80
        .size:           4
        .value_kind:     by_value
      - .offset:         84
        .size:           1
        .value_kind:     by_value
    .group_segment_fixed_size: 32
    .kernarg_segment_align: 8
    .kernarg_segment_size: 88
    .language:       OpenCL C
    .language_version:
      - 2
      - 0
    .max_flat_workgroup_size: 1024
    .name:           _ZN5aiter24add_rmsnorm_quant_kernelIDF16_DB8_Li256ELi16ELb0ELb1ELb0ELi1EEEvPT0_PT_PfS5_S5_S5_diiiiiiib
    .private_segment_fixed_size: 0
    .sgpr_count:     38
    .sgpr_spill_count: 0
    .symbol:         _ZN5aiter24add_rmsnorm_quant_kernelIDF16_DB8_Li256ELi16ELb0ELb1ELb0ELi1EEEvPT0_PT_PfS5_S5_S5_diiiiiiib.kd
    .uniform_work_group_size: 1
    .uses_dynamic_stack: false
    .vgpr_count:     43
    .vgpr_spill_count: 0
    .wavefront_size: 64
  - .agpr_count:     0
    .args:
      - .address_space:  global
        .offset:         0
        .size:           8
        .value_kind:     global_buffer
      - .address_space:  global
        .offset:         8
        .size:           8
        .value_kind:     global_buffer
      - .address_space:  global
        .offset:         16
        .size:           8
        .value_kind:     global_buffer
      - .address_space:  global
        .offset:         24
        .size:           8
        .value_kind:     global_buffer
      - .address_space:  global
        .offset:         32
        .size:           8
        .value_kind:     global_buffer
      - .address_space:  global
        .offset:         40
        .size:           8
        .value_kind:     global_buffer
      - .offset:         48
        .size:           8
        .value_kind:     by_value
      - .offset:         56
        .size:           4
        .value_kind:     by_value
      - .offset:         60
        .size:           4
        .value_kind:     by_value
      - .offset:         64
        .size:           4
        .value_kind:     by_value
      - .offset:         68
        .size:           4
        .value_kind:     by_value
      - .offset:         72
        .size:           4
        .value_kind:     by_value
      - .offset:         76
        .size:           4
        .value_kind:     by_value
      - .offset:         80
        .size:           4
        .value_kind:     by_value
      - .offset:         84
        .size:           1
        .value_kind:     by_value
    .group_segment_fixed_size: 32
    .kernarg_segment_align: 8
    .kernarg_segment_size: 88
    .language:       OpenCL C
    .language_version:
      - 2
      - 0
    .max_flat_workgroup_size: 1024
    .name:           _ZN5aiter24add_rmsnorm_quant_kernelItDB8_Li256ELi16ELb0ELb1ELb0ELi1EEEvPT0_PT_PfS5_S5_S5_diiiiiiib
    .private_segment_fixed_size: 0
    .sgpr_count:     38
    .sgpr_spill_count: 0
    .symbol:         _ZN5aiter24add_rmsnorm_quant_kernelItDB8_Li256ELi16ELb0ELb1ELb0ELi1EEEvPT0_PT_PfS5_S5_S5_diiiiiiib.kd
    .uniform_work_group_size: 1
    .uses_dynamic_stack: false
    .vgpr_count:     43
    .vgpr_spill_count: 0
    .wavefront_size: 64
  - .agpr_count:     0
    .args:
      - .address_space:  global
        .offset:         0
        .size:           8
        .value_kind:     global_buffer
      - .address_space:  global
        .offset:         8
        .size:           8
        .value_kind:     global_buffer
      - .address_space:  global
        .offset:         16
        .size:           8
        .value_kind:     global_buffer
      - .address_space:  global
        .offset:         24
        .size:           8
        .value_kind:     global_buffer
      - .address_space:  global
        .offset:         32
        .size:           8
        .value_kind:     global_buffer
      - .address_space:  global
        .offset:         40
        .size:           8
        .value_kind:     global_buffer
      - .offset:         48
        .size:           8
        .value_kind:     by_value
      - .offset:         56
        .size:           4
        .value_kind:     by_value
      - .offset:         60
        .size:           4
        .value_kind:     by_value
      - .offset:         64
        .size:           4
        .value_kind:     by_value
      - .offset:         68
        .size:           4
        .value_kind:     by_value
      - .offset:         72
        .size:           4
        .value_kind:     by_value
      - .offset:         76
        .size:           4
        .value_kind:     by_value
      - .offset:         80
        .size:           4
        .value_kind:     by_value
      - .offset:         84
        .size:           1
        .value_kind:     by_value
    .group_segment_fixed_size: 32
    .kernarg_segment_align: 8
    .kernarg_segment_size: 88
    .language:       OpenCL C
    .language_version:
      - 2
      - 0
    .max_flat_workgroup_size: 1024
    .name:           _ZN5aiter24add_rmsnorm_quant_kernelIDF16_DB8_Li256ELi24ELb0ELb1ELb1ELi1EEEvPT0_PT_PfS5_S5_S5_diiiiiiib
    .private_segment_fixed_size: 0
    .sgpr_count:     38
    .sgpr_spill_count: 0
    .symbol:         _ZN5aiter24add_rmsnorm_quant_kernelIDF16_DB8_Li256ELi24ELb0ELb1ELb1ELi1EEEvPT0_PT_PfS5_S5_S5_diiiiiiib.kd
    .uniform_work_group_size: 1
    .uses_dynamic_stack: false
    .vgpr_count:     61
    .vgpr_spill_count: 0
    .wavefront_size: 64
  - .agpr_count:     0
    .args:
      - .address_space:  global
        .offset:         0
        .size:           8
        .value_kind:     global_buffer
      - .address_space:  global
        .offset:         8
        .size:           8
        .value_kind:     global_buffer
      - .address_space:  global
        .offset:         16
        .size:           8
        .value_kind:     global_buffer
      - .address_space:  global
        .offset:         24
        .size:           8
        .value_kind:     global_buffer
      - .address_space:  global
        .offset:         32
        .size:           8
        .value_kind:     global_buffer
      - .address_space:  global
        .offset:         40
        .size:           8
        .value_kind:     global_buffer
      - .offset:         48
        .size:           8
        .value_kind:     by_value
      - .offset:         56
        .size:           4
        .value_kind:     by_value
      - .offset:         60
        .size:           4
        .value_kind:     by_value
      - .offset:         64
        .size:           4
        .value_kind:     by_value
      - .offset:         68
        .size:           4
        .value_kind:     by_value
      - .offset:         72
        .size:           4
        .value_kind:     by_value
      - .offset:         76
        .size:           4
        .value_kind:     by_value
      - .offset:         80
        .size:           4
        .value_kind:     by_value
      - .offset:         84
        .size:           1
        .value_kind:     by_value
    .group_segment_fixed_size: 32
    .kernarg_segment_align: 8
    .kernarg_segment_size: 88
    .language:       OpenCL C
    .language_version:
      - 2
      - 0
    .max_flat_workgroup_size: 1024
    .name:           _ZN5aiter24add_rmsnorm_quant_kernelItDB8_Li256ELi24ELb0ELb1ELb1ELi1EEEvPT0_PT_PfS5_S5_S5_diiiiiiib
    .private_segment_fixed_size: 0
    .sgpr_count:     38
    .sgpr_spill_count: 0
    .symbol:         _ZN5aiter24add_rmsnorm_quant_kernelItDB8_Li256ELi24ELb0ELb1ELb1ELi1EEEvPT0_PT_PfS5_S5_S5_diiiiiiib.kd
    .uniform_work_group_size: 1
    .uses_dynamic_stack: false
    .vgpr_count:     61
    .vgpr_spill_count: 0
    .wavefront_size: 64
  - .agpr_count:     0
    .args:
      - .address_space:  global
        .offset:         0
        .size:           8
        .value_kind:     global_buffer
      - .address_space:  global
        .offset:         8
        .size:           8
        .value_kind:     global_buffer
      - .address_space:  global
        .offset:         16
        .size:           8
        .value_kind:     global_buffer
      - .address_space:  global
        .offset:         24
        .size:           8
        .value_kind:     global_buffer
      - .address_space:  global
        .offset:         32
        .size:           8
        .value_kind:     global_buffer
      - .address_space:  global
        .offset:         40
        .size:           8
        .value_kind:     global_buffer
      - .offset:         48
        .size:           8
        .value_kind:     by_value
      - .offset:         56
        .size:           4
        .value_kind:     by_value
      - .offset:         60
        .size:           4
        .value_kind:     by_value
      - .offset:         64
        .size:           4
        .value_kind:     by_value
      - .offset:         68
        .size:           4
        .value_kind:     by_value
      - .offset:         72
        .size:           4
        .value_kind:     by_value
      - .offset:         76
        .size:           4
        .value_kind:     by_value
      - .offset:         80
        .size:           4
        .value_kind:     by_value
      - .offset:         84
        .size:           1
        .value_kind:     by_value
    .group_segment_fixed_size: 32
    .kernarg_segment_align: 8
    .kernarg_segment_size: 88
    .language:       OpenCL C
    .language_version:
      - 2
      - 0
    .max_flat_workgroup_size: 1024
    .name:           _ZN5aiter24add_rmsnorm_quant_kernelIDF16_DB8_Li256ELi24ELb0ELb1ELb0ELi1EEEvPT0_PT_PfS5_S5_S5_diiiiiiib
    .private_segment_fixed_size: 0
    .sgpr_count:     38
    .sgpr_spill_count: 0
    .symbol:         _ZN5aiter24add_rmsnorm_quant_kernelIDF16_DB8_Li256ELi24ELb0ELb1ELb0ELi1EEEvPT0_PT_PfS5_S5_S5_diiiiiiib.kd
    .uniform_work_group_size: 1
    .uses_dynamic_stack: false
    .vgpr_count:     61
    .vgpr_spill_count: 0
    .wavefront_size: 64
  - .agpr_count:     0
    .args:
      - .address_space:  global
        .offset:         0
        .size:           8
        .value_kind:     global_buffer
      - .address_space:  global
        .offset:         8
        .size:           8
        .value_kind:     global_buffer
      - .address_space:  global
        .offset:         16
        .size:           8
        .value_kind:     global_buffer
      - .address_space:  global
        .offset:         24
        .size:           8
        .value_kind:     global_buffer
      - .address_space:  global
        .offset:         32
        .size:           8
        .value_kind:     global_buffer
      - .address_space:  global
        .offset:         40
        .size:           8
        .value_kind:     global_buffer
      - .offset:         48
        .size:           8
        .value_kind:     by_value
      - .offset:         56
        .size:           4
        .value_kind:     by_value
      - .offset:         60
        .size:           4
        .value_kind:     by_value
      - .offset:         64
        .size:           4
        .value_kind:     by_value
      - .offset:         68
        .size:           4
        .value_kind:     by_value
      - .offset:         72
        .size:           4
        .value_kind:     by_value
      - .offset:         76
        .size:           4
        .value_kind:     by_value
      - .offset:         80
        .size:           4
        .value_kind:     by_value
      - .offset:         84
        .size:           1
        .value_kind:     by_value
    .group_segment_fixed_size: 32
    .kernarg_segment_align: 8
    .kernarg_segment_size: 88
    .language:       OpenCL C
    .language_version:
      - 2
      - 0
    .max_flat_workgroup_size: 1024
    .name:           _ZN5aiter24add_rmsnorm_quant_kernelItDB8_Li256ELi24ELb0ELb1ELb0ELi1EEEvPT0_PT_PfS5_S5_S5_diiiiiiib
    .private_segment_fixed_size: 0
    .sgpr_count:     38
    .sgpr_spill_count: 0
    .symbol:         _ZN5aiter24add_rmsnorm_quant_kernelItDB8_Li256ELi24ELb0ELb1ELb0ELi1EEEvPT0_PT_PfS5_S5_S5_diiiiiiib.kd
    .uniform_work_group_size: 1
    .uses_dynamic_stack: false
    .vgpr_count:     61
    .vgpr_spill_count: 0
    .wavefront_size: 64
  - .agpr_count:     0
    .args:
      - .address_space:  global
        .offset:         0
        .size:           8
        .value_kind:     global_buffer
      - .address_space:  global
        .offset:         8
        .size:           8
        .value_kind:     global_buffer
      - .address_space:  global
        .offset:         16
        .size:           8
        .value_kind:     global_buffer
      - .address_space:  global
        .offset:         24
        .size:           8
        .value_kind:     global_buffer
      - .address_space:  global
        .offset:         32
        .size:           8
        .value_kind:     global_buffer
      - .address_space:  global
        .offset:         40
        .size:           8
        .value_kind:     global_buffer
      - .offset:         48
        .size:           8
        .value_kind:     by_value
      - .offset:         56
        .size:           4
        .value_kind:     by_value
      - .offset:         60
        .size:           4
        .value_kind:     by_value
      - .offset:         64
        .size:           4
        .value_kind:     by_value
      - .offset:         68
        .size:           4
        .value_kind:     by_value
      - .offset:         72
        .size:           4
        .value_kind:     by_value
      - .offset:         76
        .size:           4
        .value_kind:     by_value
      - .offset:         80
        .size:           4
        .value_kind:     by_value
      - .offset:         84
        .size:           1
        .value_kind:     by_value
    .group_segment_fixed_size: 32
    .kernarg_segment_align: 8
    .kernarg_segment_size: 88
    .language:       OpenCL C
    .language_version:
      - 2
      - 0
    .max_flat_workgroup_size: 1024
    .name:           _ZN5aiter24add_rmsnorm_quant_kernelIDF16_DB8_Li256ELi32ELb0ELb1ELb1ELi1EEEvPT0_PT_PfS5_S5_S5_diiiiiiib
    .private_segment_fixed_size: 0
    .sgpr_count:     38
    .sgpr_spill_count: 0
    .symbol:         _ZN5aiter24add_rmsnorm_quant_kernelIDF16_DB8_Li256ELi32ELb0ELb1ELb1ELi1EEEvPT0_PT_PfS5_S5_S5_diiiiiiib.kd
    .uniform_work_group_size: 1
    .uses_dynamic_stack: false
    .vgpr_count:     68
    .vgpr_spill_count: 0
    .wavefront_size: 64
  - .agpr_count:     0
    .args:
      - .address_space:  global
        .offset:         0
        .size:           8
        .value_kind:     global_buffer
      - .address_space:  global
        .offset:         8
        .size:           8
        .value_kind:     global_buffer
      - .address_space:  global
        .offset:         16
        .size:           8
        .value_kind:     global_buffer
      - .address_space:  global
        .offset:         24
        .size:           8
        .value_kind:     global_buffer
      - .address_space:  global
        .offset:         32
        .size:           8
        .value_kind:     global_buffer
      - .address_space:  global
        .offset:         40
        .size:           8
        .value_kind:     global_buffer
      - .offset:         48
        .size:           8
        .value_kind:     by_value
      - .offset:         56
        .size:           4
        .value_kind:     by_value
      - .offset:         60
        .size:           4
        .value_kind:     by_value
      - .offset:         64
        .size:           4
        .value_kind:     by_value
      - .offset:         68
        .size:           4
        .value_kind:     by_value
      - .offset:         72
        .size:           4
        .value_kind:     by_value
      - .offset:         76
        .size:           4
        .value_kind:     by_value
      - .offset:         80
        .size:           4
        .value_kind:     by_value
      - .offset:         84
        .size:           1
        .value_kind:     by_value
    .group_segment_fixed_size: 32
    .kernarg_segment_align: 8
    .kernarg_segment_size: 88
    .language:       OpenCL C
    .language_version:
      - 2
      - 0
    .max_flat_workgroup_size: 1024
    .name:           _ZN5aiter24add_rmsnorm_quant_kernelItDB8_Li256ELi32ELb0ELb1ELb1ELi1EEEvPT0_PT_PfS5_S5_S5_diiiiiiib
    .private_segment_fixed_size: 0
    .sgpr_count:     38
    .sgpr_spill_count: 0
    .symbol:         _ZN5aiter24add_rmsnorm_quant_kernelItDB8_Li256ELi32ELb0ELb1ELb1ELi1EEEvPT0_PT_PfS5_S5_S5_diiiiiiib.kd
    .uniform_work_group_size: 1
    .uses_dynamic_stack: false
    .vgpr_count:     68
    .vgpr_spill_count: 0
    .wavefront_size: 64
  - .agpr_count:     0
    .args:
      - .address_space:  global
        .offset:         0
        .size:           8
        .value_kind:     global_buffer
      - .address_space:  global
        .offset:         8
        .size:           8
        .value_kind:     global_buffer
      - .address_space:  global
        .offset:         16
        .size:           8
        .value_kind:     global_buffer
      - .address_space:  global
        .offset:         24
        .size:           8
        .value_kind:     global_buffer
      - .address_space:  global
        .offset:         32
        .size:           8
        .value_kind:     global_buffer
      - .address_space:  global
        .offset:         40
        .size:           8
        .value_kind:     global_buffer
      - .offset:         48
        .size:           8
        .value_kind:     by_value
      - .offset:         56
        .size:           4
        .value_kind:     by_value
      - .offset:         60
        .size:           4
        .value_kind:     by_value
      - .offset:         64
        .size:           4
        .value_kind:     by_value
      - .offset:         68
        .size:           4
        .value_kind:     by_value
      - .offset:         72
        .size:           4
        .value_kind:     by_value
      - .offset:         76
        .size:           4
        .value_kind:     by_value
      - .offset:         80
        .size:           4
        .value_kind:     by_value
      - .offset:         84
        .size:           1
        .value_kind:     by_value
    .group_segment_fixed_size: 32
    .kernarg_segment_align: 8
    .kernarg_segment_size: 88
    .language:       OpenCL C
    .language_version:
      - 2
      - 0
    .max_flat_workgroup_size: 1024
    .name:           _ZN5aiter24add_rmsnorm_quant_kernelIDF16_DB8_Li256ELi32ELb0ELb1ELb0ELi1EEEvPT0_PT_PfS5_S5_S5_diiiiiiib
    .private_segment_fixed_size: 0
    .sgpr_count:     38
    .sgpr_spill_count: 0
    .symbol:         _ZN5aiter24add_rmsnorm_quant_kernelIDF16_DB8_Li256ELi32ELb0ELb1ELb0ELi1EEEvPT0_PT_PfS5_S5_S5_diiiiiiib.kd
    .uniform_work_group_size: 1
    .uses_dynamic_stack: false
    .vgpr_count:     68
    .vgpr_spill_count: 0
    .wavefront_size: 64
  - .agpr_count:     0
    .args:
      - .address_space:  global
        .offset:         0
        .size:           8
        .value_kind:     global_buffer
      - .address_space:  global
        .offset:         8
        .size:           8
        .value_kind:     global_buffer
      - .address_space:  global
        .offset:         16
        .size:           8
        .value_kind:     global_buffer
      - .address_space:  global
        .offset:         24
        .size:           8
        .value_kind:     global_buffer
      - .address_space:  global
        .offset:         32
        .size:           8
        .value_kind:     global_buffer
      - .address_space:  global
        .offset:         40
        .size:           8
        .value_kind:     global_buffer
      - .offset:         48
        .size:           8
        .value_kind:     by_value
      - .offset:         56
        .size:           4
        .value_kind:     by_value
      - .offset:         60
        .size:           4
        .value_kind:     by_value
      - .offset:         64
        .size:           4
        .value_kind:     by_value
      - .offset:         68
        .size:           4
        .value_kind:     by_value
      - .offset:         72
        .size:           4
        .value_kind:     by_value
      - .offset:         76
        .size:           4
        .value_kind:     by_value
      - .offset:         80
        .size:           4
        .value_kind:     by_value
      - .offset:         84
        .size:           1
        .value_kind:     by_value
    .group_segment_fixed_size: 32
    .kernarg_segment_align: 8
    .kernarg_segment_size: 88
    .language:       OpenCL C
    .language_version:
      - 2
      - 0
    .max_flat_workgroup_size: 1024
    .name:           _ZN5aiter24add_rmsnorm_quant_kernelItDB8_Li256ELi32ELb0ELb1ELb0ELi1EEEvPT0_PT_PfS5_S5_S5_diiiiiiib
    .private_segment_fixed_size: 0
    .sgpr_count:     38
    .sgpr_spill_count: 0
    .symbol:         _ZN5aiter24add_rmsnorm_quant_kernelItDB8_Li256ELi32ELb0ELb1ELb0ELi1EEEvPT0_PT_PfS5_S5_S5_diiiiiiib.kd
    .uniform_work_group_size: 1
    .uses_dynamic_stack: false
    .vgpr_count:     68
    .vgpr_spill_count: 0
    .wavefront_size: 64
  - .agpr_count:     0
    .args:
      - .address_space:  global
        .offset:         0
        .size:           8
        .value_kind:     global_buffer
      - .address_space:  global
        .offset:         8
        .size:           8
        .value_kind:     global_buffer
      - .address_space:  global
        .offset:         16
        .size:           8
        .value_kind:     global_buffer
      - .address_space:  global
        .offset:         24
        .size:           8
        .value_kind:     global_buffer
      - .address_space:  global
        .offset:         32
        .size:           8
        .value_kind:     global_buffer
      - .address_space:  global
        .offset:         40
        .size:           8
        .value_kind:     global_buffer
      - .offset:         48
        .size:           8
        .value_kind:     by_value
      - .offset:         56
        .size:           4
        .value_kind:     by_value
      - .offset:         60
        .size:           4
        .value_kind:     by_value
      - .offset:         64
        .size:           4
        .value_kind:     by_value
      - .offset:         68
        .size:           4
        .value_kind:     by_value
      - .offset:         72
        .size:           4
        .value_kind:     by_value
      - .offset:         76
        .size:           4
        .value_kind:     by_value
      - .offset:         80
        .size:           4
        .value_kind:     by_value
      - .offset:         84
        .size:           1
        .value_kind:     by_value
    .group_segment_fixed_size: 0
    .kernarg_segment_align: 8
    .kernarg_segment_size: 88
    .language:       OpenCL C
    .language_version:
      - 2
      - 0
    .max_flat_workgroup_size: 1024
    .name:           _ZN5aiter24add_rmsnorm_quant_kernelIDF16_aLi64ELi8ELb0ELb1ELb1ELi1EEEvPT0_PT_PfS4_S4_S4_diiiiiiib
    .private_segment_fixed_size: 0
    .sgpr_count:     35
    .sgpr_spill_count: 0
    .symbol:         _ZN5aiter24add_rmsnorm_quant_kernelIDF16_aLi64ELi8ELb0ELb1ELb1ELi1EEEvPT0_PT_PfS4_S4_S4_diiiiiiib.kd
    .uniform_work_group_size: 1
    .uses_dynamic_stack: false
    .vgpr_count:     28
    .vgpr_spill_count: 0
    .wavefront_size: 64
  - .agpr_count:     0
    .args:
      - .address_space:  global
        .offset:         0
        .size:           8
        .value_kind:     global_buffer
      - .address_space:  global
        .offset:         8
        .size:           8
        .value_kind:     global_buffer
      - .address_space:  global
        .offset:         16
        .size:           8
        .value_kind:     global_buffer
      - .address_space:  global
        .offset:         24
        .size:           8
        .value_kind:     global_buffer
      - .address_space:  global
        .offset:         32
        .size:           8
        .value_kind:     global_buffer
      - .address_space:  global
        .offset:         40
        .size:           8
        .value_kind:     global_buffer
      - .offset:         48
        .size:           8
        .value_kind:     by_value
      - .offset:         56
        .size:           4
        .value_kind:     by_value
      - .offset:         60
        .size:           4
        .value_kind:     by_value
      - .offset:         64
        .size:           4
        .value_kind:     by_value
      - .offset:         68
        .size:           4
        .value_kind:     by_value
      - .offset:         72
        .size:           4
        .value_kind:     by_value
      - .offset:         76
        .size:           4
        .value_kind:     by_value
      - .offset:         80
        .size:           4
        .value_kind:     by_value
      - .offset:         84
        .size:           1
        .value_kind:     by_value
    .group_segment_fixed_size: 0
    .kernarg_segment_align: 8
    .kernarg_segment_size: 88
    .language:       OpenCL C
    .language_version:
      - 2
      - 0
    .max_flat_workgroup_size: 1024
    .name:           _ZN5aiter24add_rmsnorm_quant_kernelItaLi64ELi8ELb0ELb1ELb1ELi1EEEvPT0_PT_PfS4_S4_S4_diiiiiiib
    .private_segment_fixed_size: 0
    .sgpr_count:     35
    .sgpr_spill_count: 0
    .symbol:         _ZN5aiter24add_rmsnorm_quant_kernelItaLi64ELi8ELb0ELb1ELb1ELi1EEEvPT0_PT_PfS4_S4_S4_diiiiiiib.kd
    .uniform_work_group_size: 1
    .uses_dynamic_stack: false
    .vgpr_count:     28
    .vgpr_spill_count: 0
    .wavefront_size: 64
  - .agpr_count:     0
    .args:
      - .address_space:  global
        .offset:         0
        .size:           8
        .value_kind:     global_buffer
      - .address_space:  global
        .offset:         8
        .size:           8
        .value_kind:     global_buffer
      - .address_space:  global
        .offset:         16
        .size:           8
        .value_kind:     global_buffer
      - .address_space:  global
        .offset:         24
        .size:           8
        .value_kind:     global_buffer
      - .address_space:  global
        .offset:         32
        .size:           8
        .value_kind:     global_buffer
      - .address_space:  global
        .offset:         40
        .size:           8
        .value_kind:     global_buffer
      - .offset:         48
        .size:           8
        .value_kind:     by_value
      - .offset:         56
        .size:           4
        .value_kind:     by_value
      - .offset:         60
        .size:           4
        .value_kind:     by_value
      - .offset:         64
        .size:           4
        .value_kind:     by_value
      - .offset:         68
        .size:           4
        .value_kind:     by_value
      - .offset:         72
        .size:           4
        .value_kind:     by_value
      - .offset:         76
        .size:           4
        .value_kind:     by_value
      - .offset:         80
        .size:           4
        .value_kind:     by_value
      - .offset:         84
        .size:           1
        .value_kind:     by_value
    .group_segment_fixed_size: 0
    .kernarg_segment_align: 8
    .kernarg_segment_size: 88
    .language:       OpenCL C
    .language_version:
      - 2
      - 0
    .max_flat_workgroup_size: 1024
    .name:           _ZN5aiter24add_rmsnorm_quant_kernelIDF16_aLi64ELi8ELb0ELb1ELb0ELi1EEEvPT0_PT_PfS4_S4_S4_diiiiiiib
    .private_segment_fixed_size: 0
    .sgpr_count:     35
    .sgpr_spill_count: 0
    .symbol:         _ZN5aiter24add_rmsnorm_quant_kernelIDF16_aLi64ELi8ELb0ELb1ELb0ELi1EEEvPT0_PT_PfS4_S4_S4_diiiiiiib.kd
    .uniform_work_group_size: 1
    .uses_dynamic_stack: false
    .vgpr_count:     28
    .vgpr_spill_count: 0
    .wavefront_size: 64
  - .agpr_count:     0
    .args:
      - .address_space:  global
        .offset:         0
        .size:           8
        .value_kind:     global_buffer
      - .address_space:  global
        .offset:         8
        .size:           8
        .value_kind:     global_buffer
      - .address_space:  global
        .offset:         16
        .size:           8
        .value_kind:     global_buffer
      - .address_space:  global
        .offset:         24
        .size:           8
        .value_kind:     global_buffer
      - .address_space:  global
        .offset:         32
        .size:           8
        .value_kind:     global_buffer
      - .address_space:  global
        .offset:         40
        .size:           8
        .value_kind:     global_buffer
      - .offset:         48
        .size:           8
        .value_kind:     by_value
      - .offset:         56
        .size:           4
        .value_kind:     by_value
      - .offset:         60
        .size:           4
        .value_kind:     by_value
      - .offset:         64
        .size:           4
        .value_kind:     by_value
      - .offset:         68
        .size:           4
        .value_kind:     by_value
      - .offset:         72
        .size:           4
        .value_kind:     by_value
      - .offset:         76
        .size:           4
        .value_kind:     by_value
      - .offset:         80
        .size:           4
        .value_kind:     by_value
      - .offset:         84
        .size:           1
        .value_kind:     by_value
    .group_segment_fixed_size: 0
    .kernarg_segment_align: 8
    .kernarg_segment_size: 88
    .language:       OpenCL C
    .language_version:
      - 2
      - 0
    .max_flat_workgroup_size: 1024
    .name:           _ZN5aiter24add_rmsnorm_quant_kernelItaLi64ELi8ELb0ELb1ELb0ELi1EEEvPT0_PT_PfS4_S4_S4_diiiiiiib
    .private_segment_fixed_size: 0
    .sgpr_count:     35
    .sgpr_spill_count: 0
    .symbol:         _ZN5aiter24add_rmsnorm_quant_kernelItaLi64ELi8ELb0ELb1ELb0ELi1EEEvPT0_PT_PfS4_S4_S4_diiiiiiib.kd
    .uniform_work_group_size: 1
    .uses_dynamic_stack: false
    .vgpr_count:     28
    .vgpr_spill_count: 0
    .wavefront_size: 64
  - .agpr_count:     0
    .args:
      - .address_space:  global
        .offset:         0
        .size:           8
        .value_kind:     global_buffer
      - .address_space:  global
        .offset:         8
        .size:           8
        .value_kind:     global_buffer
      - .address_space:  global
        .offset:         16
        .size:           8
        .value_kind:     global_buffer
      - .address_space:  global
        .offset:         24
        .size:           8
        .value_kind:     global_buffer
      - .address_space:  global
        .offset:         32
        .size:           8
        .value_kind:     global_buffer
      - .address_space:  global
        .offset:         40
        .size:           8
        .value_kind:     global_buffer
      - .offset:         48
        .size:           8
        .value_kind:     by_value
      - .offset:         56
        .size:           4
        .value_kind:     by_value
      - .offset:         60
        .size:           4
        .value_kind:     by_value
      - .offset:         64
        .size:           4
        .value_kind:     by_value
      - .offset:         68
        .size:           4
        .value_kind:     by_value
      - .offset:         72
        .size:           4
        .value_kind:     by_value
      - .offset:         76
        .size:           4
        .value_kind:     by_value
      - .offset:         80
        .size:           4
        .value_kind:     by_value
      - .offset:         84
        .size:           1
        .value_kind:     by_value
    .group_segment_fixed_size: 16
    .kernarg_segment_align: 8
    .kernarg_segment_size: 88
    .language:       OpenCL C
    .language_version:
      - 2
      - 0
    .max_flat_workgroup_size: 1024
    .name:           _ZN5aiter24add_rmsnorm_quant_kernelIDF16_aLi128ELi8ELb0ELb1ELb1ELi1EEEvPT0_PT_PfS4_S4_S4_diiiiiiib
    .private_segment_fixed_size: 0
    .sgpr_count:     38
    .sgpr_spill_count: 0
    .symbol:         _ZN5aiter24add_rmsnorm_quant_kernelIDF16_aLi128ELi8ELb0ELb1ELb1ELi1EEEvPT0_PT_PfS4_S4_S4_diiiiiiib.kd
    .uniform_work_group_size: 1
    .uses_dynamic_stack: false
    .vgpr_count:     24
    .vgpr_spill_count: 0
    .wavefront_size: 64
  - .agpr_count:     0
    .args:
      - .address_space:  global
        .offset:         0
        .size:           8
        .value_kind:     global_buffer
      - .address_space:  global
        .offset:         8
        .size:           8
        .value_kind:     global_buffer
      - .address_space:  global
        .offset:         16
        .size:           8
        .value_kind:     global_buffer
      - .address_space:  global
        .offset:         24
        .size:           8
        .value_kind:     global_buffer
      - .address_space:  global
        .offset:         32
        .size:           8
        .value_kind:     global_buffer
      - .address_space:  global
        .offset:         40
        .size:           8
        .value_kind:     global_buffer
      - .offset:         48
        .size:           8
        .value_kind:     by_value
      - .offset:         56
        .size:           4
        .value_kind:     by_value
      - .offset:         60
        .size:           4
        .value_kind:     by_value
      - .offset:         64
        .size:           4
        .value_kind:     by_value
      - .offset:         68
        .size:           4
        .value_kind:     by_value
      - .offset:         72
        .size:           4
        .value_kind:     by_value
      - .offset:         76
        .size:           4
        .value_kind:     by_value
      - .offset:         80
        .size:           4
        .value_kind:     by_value
      - .offset:         84
        .size:           1
        .value_kind:     by_value
    .group_segment_fixed_size: 16
    .kernarg_segment_align: 8
    .kernarg_segment_size: 88
    .language:       OpenCL C
    .language_version:
      - 2
      - 0
    .max_flat_workgroup_size: 1024
    .name:           _ZN5aiter24add_rmsnorm_quant_kernelItaLi128ELi8ELb0ELb1ELb1ELi1EEEvPT0_PT_PfS4_S4_S4_diiiiiiib
    .private_segment_fixed_size: 0
    .sgpr_count:     38
    .sgpr_spill_count: 0
    .symbol:         _ZN5aiter24add_rmsnorm_quant_kernelItaLi128ELi8ELb0ELb1ELb1ELi1EEEvPT0_PT_PfS4_S4_S4_diiiiiiib.kd
    .uniform_work_group_size: 1
    .uses_dynamic_stack: false
    .vgpr_count:     24
    .vgpr_spill_count: 0
    .wavefront_size: 64
  - .agpr_count:     0
    .args:
      - .address_space:  global
        .offset:         0
        .size:           8
        .value_kind:     global_buffer
      - .address_space:  global
        .offset:         8
        .size:           8
        .value_kind:     global_buffer
      - .address_space:  global
        .offset:         16
        .size:           8
        .value_kind:     global_buffer
      - .address_space:  global
        .offset:         24
        .size:           8
        .value_kind:     global_buffer
      - .address_space:  global
        .offset:         32
        .size:           8
        .value_kind:     global_buffer
      - .address_space:  global
        .offset:         40
        .size:           8
        .value_kind:     global_buffer
      - .offset:         48
        .size:           8
        .value_kind:     by_value
      - .offset:         56
        .size:           4
        .value_kind:     by_value
      - .offset:         60
        .size:           4
        .value_kind:     by_value
      - .offset:         64
        .size:           4
        .value_kind:     by_value
      - .offset:         68
        .size:           4
        .value_kind:     by_value
      - .offset:         72
        .size:           4
        .value_kind:     by_value
      - .offset:         76
        .size:           4
        .value_kind:     by_value
      - .offset:         80
        .size:           4
        .value_kind:     by_value
      - .offset:         84
        .size:           1
        .value_kind:     by_value
    .group_segment_fixed_size: 16
    .kernarg_segment_align: 8
    .kernarg_segment_size: 88
    .language:       OpenCL C
    .language_version:
      - 2
      - 0
    .max_flat_workgroup_size: 1024
    .name:           _ZN5aiter24add_rmsnorm_quant_kernelIDF16_aLi128ELi8ELb0ELb1ELb0ELi1EEEvPT0_PT_PfS4_S4_S4_diiiiiiib
    .private_segment_fixed_size: 0
    .sgpr_count:     38
    .sgpr_spill_count: 0
    .symbol:         _ZN5aiter24add_rmsnorm_quant_kernelIDF16_aLi128ELi8ELb0ELb1ELb0ELi1EEEvPT0_PT_PfS4_S4_S4_diiiiiiib.kd
    .uniform_work_group_size: 1
    .uses_dynamic_stack: false
    .vgpr_count:     24
    .vgpr_spill_count: 0
    .wavefront_size: 64
  - .agpr_count:     0
    .args:
      - .address_space:  global
        .offset:         0
        .size:           8
        .value_kind:     global_buffer
      - .address_space:  global
        .offset:         8
        .size:           8
        .value_kind:     global_buffer
      - .address_space:  global
        .offset:         16
        .size:           8
        .value_kind:     global_buffer
      - .address_space:  global
        .offset:         24
        .size:           8
        .value_kind:     global_buffer
      - .address_space:  global
        .offset:         32
        .size:           8
        .value_kind:     global_buffer
      - .address_space:  global
        .offset:         40
        .size:           8
        .value_kind:     global_buffer
      - .offset:         48
        .size:           8
        .value_kind:     by_value
      - .offset:         56
        .size:           4
        .value_kind:     by_value
      - .offset:         60
        .size:           4
        .value_kind:     by_value
      - .offset:         64
        .size:           4
        .value_kind:     by_value
      - .offset:         68
        .size:           4
        .value_kind:     by_value
      - .offset:         72
        .size:           4
        .value_kind:     by_value
      - .offset:         76
        .size:           4
        .value_kind:     by_value
      - .offset:         80
        .size:           4
        .value_kind:     by_value
      - .offset:         84
        .size:           1
        .value_kind:     by_value
    .group_segment_fixed_size: 16
    .kernarg_segment_align: 8
    .kernarg_segment_size: 88
    .language:       OpenCL C
    .language_version:
      - 2
      - 0
    .max_flat_workgroup_size: 1024
    .name:           _ZN5aiter24add_rmsnorm_quant_kernelItaLi128ELi8ELb0ELb1ELb0ELi1EEEvPT0_PT_PfS4_S4_S4_diiiiiiib
    .private_segment_fixed_size: 0
    .sgpr_count:     38
    .sgpr_spill_count: 0
    .symbol:         _ZN5aiter24add_rmsnorm_quant_kernelItaLi128ELi8ELb0ELb1ELb0ELi1EEEvPT0_PT_PfS4_S4_S4_diiiiiiib.kd
    .uniform_work_group_size: 1
    .uses_dynamic_stack: false
    .vgpr_count:     24
    .vgpr_spill_count: 0
    .wavefront_size: 64
  - .agpr_count:     0
    .args:
      - .address_space:  global
        .offset:         0
        .size:           8
        .value_kind:     global_buffer
      - .address_space:  global
        .offset:         8
        .size:           8
        .value_kind:     global_buffer
      - .address_space:  global
        .offset:         16
        .size:           8
        .value_kind:     global_buffer
      - .address_space:  global
        .offset:         24
        .size:           8
        .value_kind:     global_buffer
      - .address_space:  global
        .offset:         32
        .size:           8
        .value_kind:     global_buffer
      - .address_space:  global
        .offset:         40
        .size:           8
        .value_kind:     global_buffer
      - .offset:         48
        .size:           8
        .value_kind:     by_value
      - .offset:         56
        .size:           4
        .value_kind:     by_value
      - .offset:         60
        .size:           4
        .value_kind:     by_value
      - .offset:         64
        .size:           4
        .value_kind:     by_value
      - .offset:         68
        .size:           4
        .value_kind:     by_value
      - .offset:         72
        .size:           4
        .value_kind:     by_value
      - .offset:         76
        .size:           4
        .value_kind:     by_value
      - .offset:         80
        .size:           4
        .value_kind:     by_value
      - .offset:         84
        .size:           1
        .value_kind:     by_value
    .group_segment_fixed_size: 32
    .kernarg_segment_align: 8
    .kernarg_segment_size: 88
    .language:       OpenCL C
    .language_version:
      - 2
      - 0
    .max_flat_workgroup_size: 1024
    .name:           _ZN5aiter24add_rmsnorm_quant_kernelIDF16_aLi256ELi8ELb0ELb1ELb1ELi1EEEvPT0_PT_PfS4_S4_S4_diiiiiiib
    .private_segment_fixed_size: 0
    .sgpr_count:     38
    .sgpr_spill_count: 0
    .symbol:         _ZN5aiter24add_rmsnorm_quant_kernelIDF16_aLi256ELi8ELb0ELb1ELb1ELi1EEEvPT0_PT_PfS4_S4_S4_diiiiiiib.kd
    .uniform_work_group_size: 1
    .uses_dynamic_stack: false
    .vgpr_count:     24
    .vgpr_spill_count: 0
    .wavefront_size: 64
  - .agpr_count:     0
    .args:
      - .address_space:  global
        .offset:         0
        .size:           8
        .value_kind:     global_buffer
      - .address_space:  global
        .offset:         8
        .size:           8
        .value_kind:     global_buffer
      - .address_space:  global
        .offset:         16
        .size:           8
        .value_kind:     global_buffer
      - .address_space:  global
        .offset:         24
        .size:           8
        .value_kind:     global_buffer
      - .address_space:  global
        .offset:         32
        .size:           8
        .value_kind:     global_buffer
      - .address_space:  global
        .offset:         40
        .size:           8
        .value_kind:     global_buffer
      - .offset:         48
        .size:           8
        .value_kind:     by_value
      - .offset:         56
        .size:           4
        .value_kind:     by_value
      - .offset:         60
        .size:           4
        .value_kind:     by_value
      - .offset:         64
        .size:           4
        .value_kind:     by_value
      - .offset:         68
        .size:           4
        .value_kind:     by_value
      - .offset:         72
        .size:           4
        .value_kind:     by_value
      - .offset:         76
        .size:           4
        .value_kind:     by_value
      - .offset:         80
        .size:           4
        .value_kind:     by_value
      - .offset:         84
        .size:           1
        .value_kind:     by_value
    .group_segment_fixed_size: 32
    .kernarg_segment_align: 8
    .kernarg_segment_size: 88
    .language:       OpenCL C
    .language_version:
      - 2
      - 0
    .max_flat_workgroup_size: 1024
    .name:           _ZN5aiter24add_rmsnorm_quant_kernelItaLi256ELi8ELb0ELb1ELb1ELi1EEEvPT0_PT_PfS4_S4_S4_diiiiiiib
    .private_segment_fixed_size: 0
    .sgpr_count:     38
    .sgpr_spill_count: 0
    .symbol:         _ZN5aiter24add_rmsnorm_quant_kernelItaLi256ELi8ELb0ELb1ELb1ELi1EEEvPT0_PT_PfS4_S4_S4_diiiiiiib.kd
    .uniform_work_group_size: 1
    .uses_dynamic_stack: false
    .vgpr_count:     24
    .vgpr_spill_count: 0
    .wavefront_size: 64
  - .agpr_count:     0
    .args:
      - .address_space:  global
        .offset:         0
        .size:           8
        .value_kind:     global_buffer
      - .address_space:  global
        .offset:         8
        .size:           8
        .value_kind:     global_buffer
      - .address_space:  global
        .offset:         16
        .size:           8
        .value_kind:     global_buffer
      - .address_space:  global
        .offset:         24
        .size:           8
        .value_kind:     global_buffer
      - .address_space:  global
        .offset:         32
        .size:           8
        .value_kind:     global_buffer
      - .address_space:  global
        .offset:         40
        .size:           8
        .value_kind:     global_buffer
      - .offset:         48
        .size:           8
        .value_kind:     by_value
      - .offset:         56
        .size:           4
        .value_kind:     by_value
      - .offset:         60
        .size:           4
        .value_kind:     by_value
      - .offset:         64
        .size:           4
        .value_kind:     by_value
      - .offset:         68
        .size:           4
        .value_kind:     by_value
      - .offset:         72
        .size:           4
        .value_kind:     by_value
      - .offset:         76
        .size:           4
        .value_kind:     by_value
      - .offset:         80
        .size:           4
        .value_kind:     by_value
      - .offset:         84
        .size:           1
        .value_kind:     by_value
    .group_segment_fixed_size: 32
    .kernarg_segment_align: 8
    .kernarg_segment_size: 88
    .language:       OpenCL C
    .language_version:
      - 2
      - 0
    .max_flat_workgroup_size: 1024
    .name:           _ZN5aiter24add_rmsnorm_quant_kernelIDF16_aLi256ELi8ELb0ELb1ELb0ELi1EEEvPT0_PT_PfS4_S4_S4_diiiiiiib
    .private_segment_fixed_size: 0
    .sgpr_count:     38
    .sgpr_spill_count: 0
    .symbol:         _ZN5aiter24add_rmsnorm_quant_kernelIDF16_aLi256ELi8ELb0ELb1ELb0ELi1EEEvPT0_PT_PfS4_S4_S4_diiiiiiib.kd
    .uniform_work_group_size: 1
    .uses_dynamic_stack: false
    .vgpr_count:     24
    .vgpr_spill_count: 0
    .wavefront_size: 64
  - .agpr_count:     0
    .args:
      - .address_space:  global
        .offset:         0
        .size:           8
        .value_kind:     global_buffer
      - .address_space:  global
        .offset:         8
        .size:           8
        .value_kind:     global_buffer
      - .address_space:  global
        .offset:         16
        .size:           8
        .value_kind:     global_buffer
      - .address_space:  global
        .offset:         24
        .size:           8
        .value_kind:     global_buffer
      - .address_space:  global
        .offset:         32
        .size:           8
        .value_kind:     global_buffer
      - .address_space:  global
        .offset:         40
        .size:           8
        .value_kind:     global_buffer
      - .offset:         48
        .size:           8
        .value_kind:     by_value
      - .offset:         56
        .size:           4
        .value_kind:     by_value
      - .offset:         60
        .size:           4
        .value_kind:     by_value
      - .offset:         64
        .size:           4
        .value_kind:     by_value
      - .offset:         68
        .size:           4
        .value_kind:     by_value
      - .offset:         72
        .size:           4
        .value_kind:     by_value
      - .offset:         76
        .size:           4
        .value_kind:     by_value
      - .offset:         80
        .size:           4
        .value_kind:     by_value
      - .offset:         84
        .size:           1
        .value_kind:     by_value
    .group_segment_fixed_size: 32
    .kernarg_segment_align: 8
    .kernarg_segment_size: 88
    .language:       OpenCL C
    .language_version:
      - 2
      - 0
    .max_flat_workgroup_size: 1024
    .name:           _ZN5aiter24add_rmsnorm_quant_kernelItaLi256ELi8ELb0ELb1ELb0ELi1EEEvPT0_PT_PfS4_S4_S4_diiiiiiib
    .private_segment_fixed_size: 0
    .sgpr_count:     38
    .sgpr_spill_count: 0
    .symbol:         _ZN5aiter24add_rmsnorm_quant_kernelItaLi256ELi8ELb0ELb1ELb0ELi1EEEvPT0_PT_PfS4_S4_S4_diiiiiiib.kd
    .uniform_work_group_size: 1
    .uses_dynamic_stack: false
    .vgpr_count:     24
    .vgpr_spill_count: 0
    .wavefront_size: 64
  - .agpr_count:     0
    .args:
      - .address_space:  global
        .offset:         0
        .size:           8
        .value_kind:     global_buffer
      - .address_space:  global
        .offset:         8
        .size:           8
        .value_kind:     global_buffer
      - .address_space:  global
        .offset:         16
        .size:           8
        .value_kind:     global_buffer
      - .address_space:  global
        .offset:         24
        .size:           8
        .value_kind:     global_buffer
      - .address_space:  global
        .offset:         32
        .size:           8
        .value_kind:     global_buffer
      - .address_space:  global
        .offset:         40
        .size:           8
        .value_kind:     global_buffer
      - .offset:         48
        .size:           8
        .value_kind:     by_value
      - .offset:         56
        .size:           4
        .value_kind:     by_value
      - .offset:         60
        .size:           4
        .value_kind:     by_value
      - .offset:         64
        .size:           4
        .value_kind:     by_value
      - .offset:         68
        .size:           4
        .value_kind:     by_value
      - .offset:         72
        .size:           4
        .value_kind:     by_value
      - .offset:         76
        .size:           4
        .value_kind:     by_value
      - .offset:         80
        .size:           4
        .value_kind:     by_value
      - .offset:         84
        .size:           1
        .value_kind:     by_value
    .group_segment_fixed_size: 32
    .kernarg_segment_align: 8
    .kernarg_segment_size: 88
    .language:       OpenCL C
    .language_version:
      - 2
      - 0
    .max_flat_workgroup_size: 1024
    .name:           _ZN5aiter24add_rmsnorm_quant_kernelIDF16_aLi256ELi16ELb0ELb1ELb1ELi1EEEvPT0_PT_PfS4_S4_S4_diiiiiiib
    .private_segment_fixed_size: 0
    .sgpr_count:     38
    .sgpr_spill_count: 0
    .symbol:         _ZN5aiter24add_rmsnorm_quant_kernelIDF16_aLi256ELi16ELb0ELb1ELb1ELi1EEEvPT0_PT_PfS4_S4_S4_diiiiiiib.kd
    .uniform_work_group_size: 1
    .uses_dynamic_stack: false
    .vgpr_count:     45
    .vgpr_spill_count: 0
    .wavefront_size: 64
  - .agpr_count:     0
    .args:
      - .address_space:  global
        .offset:         0
        .size:           8
        .value_kind:     global_buffer
      - .address_space:  global
        .offset:         8
        .size:           8
        .value_kind:     global_buffer
      - .address_space:  global
        .offset:         16
        .size:           8
        .value_kind:     global_buffer
      - .address_space:  global
        .offset:         24
        .size:           8
        .value_kind:     global_buffer
      - .address_space:  global
        .offset:         32
        .size:           8
        .value_kind:     global_buffer
      - .address_space:  global
        .offset:         40
        .size:           8
        .value_kind:     global_buffer
      - .offset:         48
        .size:           8
        .value_kind:     by_value
      - .offset:         56
        .size:           4
        .value_kind:     by_value
      - .offset:         60
        .size:           4
        .value_kind:     by_value
      - .offset:         64
        .size:           4
        .value_kind:     by_value
      - .offset:         68
        .size:           4
        .value_kind:     by_value
      - .offset:         72
        .size:           4
        .value_kind:     by_value
      - .offset:         76
        .size:           4
        .value_kind:     by_value
      - .offset:         80
        .size:           4
        .value_kind:     by_value
      - .offset:         84
        .size:           1
        .value_kind:     by_value
    .group_segment_fixed_size: 32
    .kernarg_segment_align: 8
    .kernarg_segment_size: 88
    .language:       OpenCL C
    .language_version:
      - 2
      - 0
    .max_flat_workgroup_size: 1024
    .name:           _ZN5aiter24add_rmsnorm_quant_kernelItaLi256ELi16ELb0ELb1ELb1ELi1EEEvPT0_PT_PfS4_S4_S4_diiiiiiib
    .private_segment_fixed_size: 0
    .sgpr_count:     38
    .sgpr_spill_count: 0
    .symbol:         _ZN5aiter24add_rmsnorm_quant_kernelItaLi256ELi16ELb0ELb1ELb1ELi1EEEvPT0_PT_PfS4_S4_S4_diiiiiiib.kd
    .uniform_work_group_size: 1
    .uses_dynamic_stack: false
    .vgpr_count:     45
    .vgpr_spill_count: 0
    .wavefront_size: 64
  - .agpr_count:     0
    .args:
      - .address_space:  global
        .offset:         0
        .size:           8
        .value_kind:     global_buffer
      - .address_space:  global
        .offset:         8
        .size:           8
        .value_kind:     global_buffer
      - .address_space:  global
        .offset:         16
        .size:           8
        .value_kind:     global_buffer
      - .address_space:  global
        .offset:         24
        .size:           8
        .value_kind:     global_buffer
      - .address_space:  global
        .offset:         32
        .size:           8
        .value_kind:     global_buffer
      - .address_space:  global
        .offset:         40
        .size:           8
        .value_kind:     global_buffer
      - .offset:         48
        .size:           8
        .value_kind:     by_value
      - .offset:         56
        .size:           4
        .value_kind:     by_value
      - .offset:         60
        .size:           4
        .value_kind:     by_value
      - .offset:         64
        .size:           4
        .value_kind:     by_value
      - .offset:         68
        .size:           4
        .value_kind:     by_value
      - .offset:         72
        .size:           4
        .value_kind:     by_value
      - .offset:         76
        .size:           4
        .value_kind:     by_value
      - .offset:         80
        .size:           4
        .value_kind:     by_value
      - .offset:         84
        .size:           1
        .value_kind:     by_value
    .group_segment_fixed_size: 32
    .kernarg_segment_align: 8
    .kernarg_segment_size: 88
    .language:       OpenCL C
    .language_version:
      - 2
      - 0
    .max_flat_workgroup_size: 1024
    .name:           _ZN5aiter24add_rmsnorm_quant_kernelIDF16_aLi256ELi16ELb0ELb1ELb0ELi1EEEvPT0_PT_PfS4_S4_S4_diiiiiiib
    .private_segment_fixed_size: 0
    .sgpr_count:     38
    .sgpr_spill_count: 0
    .symbol:         _ZN5aiter24add_rmsnorm_quant_kernelIDF16_aLi256ELi16ELb0ELb1ELb0ELi1EEEvPT0_PT_PfS4_S4_S4_diiiiiiib.kd
    .uniform_work_group_size: 1
    .uses_dynamic_stack: false
    .vgpr_count:     43
    .vgpr_spill_count: 0
    .wavefront_size: 64
  - .agpr_count:     0
    .args:
      - .address_space:  global
        .offset:         0
        .size:           8
        .value_kind:     global_buffer
      - .address_space:  global
        .offset:         8
        .size:           8
        .value_kind:     global_buffer
      - .address_space:  global
        .offset:         16
        .size:           8
        .value_kind:     global_buffer
      - .address_space:  global
        .offset:         24
        .size:           8
        .value_kind:     global_buffer
      - .address_space:  global
        .offset:         32
        .size:           8
        .value_kind:     global_buffer
      - .address_space:  global
        .offset:         40
        .size:           8
        .value_kind:     global_buffer
      - .offset:         48
        .size:           8
        .value_kind:     by_value
      - .offset:         56
        .size:           4
        .value_kind:     by_value
      - .offset:         60
        .size:           4
        .value_kind:     by_value
      - .offset:         64
        .size:           4
        .value_kind:     by_value
      - .offset:         68
        .size:           4
        .value_kind:     by_value
      - .offset:         72
        .size:           4
        .value_kind:     by_value
      - .offset:         76
        .size:           4
        .value_kind:     by_value
      - .offset:         80
        .size:           4
        .value_kind:     by_value
      - .offset:         84
        .size:           1
        .value_kind:     by_value
    .group_segment_fixed_size: 32
    .kernarg_segment_align: 8
    .kernarg_segment_size: 88
    .language:       OpenCL C
    .language_version:
      - 2
      - 0
    .max_flat_workgroup_size: 1024
    .name:           _ZN5aiter24add_rmsnorm_quant_kernelItaLi256ELi16ELb0ELb1ELb0ELi1EEEvPT0_PT_PfS4_S4_S4_diiiiiiib
    .private_segment_fixed_size: 0
    .sgpr_count:     38
    .sgpr_spill_count: 0
    .symbol:         _ZN5aiter24add_rmsnorm_quant_kernelItaLi256ELi16ELb0ELb1ELb0ELi1EEEvPT0_PT_PfS4_S4_S4_diiiiiiib.kd
    .uniform_work_group_size: 1
    .uses_dynamic_stack: false
    .vgpr_count:     43
    .vgpr_spill_count: 0
    .wavefront_size: 64
  - .agpr_count:     0
    .args:
      - .address_space:  global
        .offset:         0
        .size:           8
        .value_kind:     global_buffer
      - .address_space:  global
        .offset:         8
        .size:           8
        .value_kind:     global_buffer
      - .address_space:  global
        .offset:         16
        .size:           8
        .value_kind:     global_buffer
      - .address_space:  global
        .offset:         24
        .size:           8
        .value_kind:     global_buffer
      - .address_space:  global
        .offset:         32
        .size:           8
        .value_kind:     global_buffer
      - .address_space:  global
        .offset:         40
        .size:           8
        .value_kind:     global_buffer
      - .offset:         48
        .size:           8
        .value_kind:     by_value
      - .offset:         56
        .size:           4
        .value_kind:     by_value
      - .offset:         60
        .size:           4
        .value_kind:     by_value
      - .offset:         64
        .size:           4
        .value_kind:     by_value
      - .offset:         68
        .size:           4
        .value_kind:     by_value
      - .offset:         72
        .size:           4
        .value_kind:     by_value
      - .offset:         76
        .size:           4
        .value_kind:     by_value
      - .offset:         80
        .size:           4
        .value_kind:     by_value
      - .offset:         84
        .size:           1
        .value_kind:     by_value
    .group_segment_fixed_size: 32
    .kernarg_segment_align: 8
    .kernarg_segment_size: 88
    .language:       OpenCL C
    .language_version:
      - 2
      - 0
    .max_flat_workgroup_size: 1024
    .name:           _ZN5aiter24add_rmsnorm_quant_kernelIDF16_aLi256ELi24ELb0ELb1ELb1ELi1EEEvPT0_PT_PfS4_S4_S4_diiiiiiib
    .private_segment_fixed_size: 0
    .sgpr_count:     38
    .sgpr_spill_count: 0
    .symbol:         _ZN5aiter24add_rmsnorm_quant_kernelIDF16_aLi256ELi24ELb0ELb1ELb1ELi1EEEvPT0_PT_PfS4_S4_S4_diiiiiiib.kd
    .uniform_work_group_size: 1
    .uses_dynamic_stack: false
    .vgpr_count:     60
    .vgpr_spill_count: 0
    .wavefront_size: 64
  - .agpr_count:     0
    .args:
      - .address_space:  global
        .offset:         0
        .size:           8
        .value_kind:     global_buffer
      - .address_space:  global
        .offset:         8
        .size:           8
        .value_kind:     global_buffer
      - .address_space:  global
        .offset:         16
        .size:           8
        .value_kind:     global_buffer
      - .address_space:  global
        .offset:         24
        .size:           8
        .value_kind:     global_buffer
      - .address_space:  global
        .offset:         32
        .size:           8
        .value_kind:     global_buffer
      - .address_space:  global
        .offset:         40
        .size:           8
        .value_kind:     global_buffer
      - .offset:         48
        .size:           8
        .value_kind:     by_value
      - .offset:         56
        .size:           4
        .value_kind:     by_value
      - .offset:         60
        .size:           4
        .value_kind:     by_value
      - .offset:         64
        .size:           4
        .value_kind:     by_value
      - .offset:         68
        .size:           4
        .value_kind:     by_value
      - .offset:         72
        .size:           4
        .value_kind:     by_value
      - .offset:         76
        .size:           4
        .value_kind:     by_value
      - .offset:         80
        .size:           4
        .value_kind:     by_value
      - .offset:         84
        .size:           1
        .value_kind:     by_value
    .group_segment_fixed_size: 32
    .kernarg_segment_align: 8
    .kernarg_segment_size: 88
    .language:       OpenCL C
    .language_version:
      - 2
      - 0
    .max_flat_workgroup_size: 1024
    .name:           _ZN5aiter24add_rmsnorm_quant_kernelItaLi256ELi24ELb0ELb1ELb1ELi1EEEvPT0_PT_PfS4_S4_S4_diiiiiiib
    .private_segment_fixed_size: 0
    .sgpr_count:     38
    .sgpr_spill_count: 0
    .symbol:         _ZN5aiter24add_rmsnorm_quant_kernelItaLi256ELi24ELb0ELb1ELb1ELi1EEEvPT0_PT_PfS4_S4_S4_diiiiiiib.kd
    .uniform_work_group_size: 1
    .uses_dynamic_stack: false
    .vgpr_count:     60
    .vgpr_spill_count: 0
    .wavefront_size: 64
  - .agpr_count:     0
    .args:
      - .address_space:  global
        .offset:         0
        .size:           8
        .value_kind:     global_buffer
      - .address_space:  global
        .offset:         8
        .size:           8
        .value_kind:     global_buffer
      - .address_space:  global
        .offset:         16
        .size:           8
        .value_kind:     global_buffer
      - .address_space:  global
        .offset:         24
        .size:           8
        .value_kind:     global_buffer
      - .address_space:  global
        .offset:         32
        .size:           8
        .value_kind:     global_buffer
      - .address_space:  global
        .offset:         40
        .size:           8
        .value_kind:     global_buffer
      - .offset:         48
        .size:           8
        .value_kind:     by_value
      - .offset:         56
        .size:           4
        .value_kind:     by_value
      - .offset:         60
        .size:           4
        .value_kind:     by_value
      - .offset:         64
        .size:           4
        .value_kind:     by_value
      - .offset:         68
        .size:           4
        .value_kind:     by_value
      - .offset:         72
        .size:           4
        .value_kind:     by_value
      - .offset:         76
        .size:           4
        .value_kind:     by_value
      - .offset:         80
        .size:           4
        .value_kind:     by_value
      - .offset:         84
        .size:           1
        .value_kind:     by_value
    .group_segment_fixed_size: 32
    .kernarg_segment_align: 8
    .kernarg_segment_size: 88
    .language:       OpenCL C
    .language_version:
      - 2
      - 0
    .max_flat_workgroup_size: 1024
    .name:           _ZN5aiter24add_rmsnorm_quant_kernelIDF16_aLi256ELi24ELb0ELb1ELb0ELi1EEEvPT0_PT_PfS4_S4_S4_diiiiiiib
    .private_segment_fixed_size: 0
    .sgpr_count:     38
    .sgpr_spill_count: 0
    .symbol:         _ZN5aiter24add_rmsnorm_quant_kernelIDF16_aLi256ELi24ELb0ELb1ELb0ELi1EEEvPT0_PT_PfS4_S4_S4_diiiiiiib.kd
    .uniform_work_group_size: 1
    .uses_dynamic_stack: false
    .vgpr_count:     61
    .vgpr_spill_count: 0
    .wavefront_size: 64
  - .agpr_count:     0
    .args:
      - .address_space:  global
        .offset:         0
        .size:           8
        .value_kind:     global_buffer
      - .address_space:  global
        .offset:         8
        .size:           8
        .value_kind:     global_buffer
      - .address_space:  global
        .offset:         16
        .size:           8
        .value_kind:     global_buffer
      - .address_space:  global
        .offset:         24
        .size:           8
        .value_kind:     global_buffer
      - .address_space:  global
        .offset:         32
        .size:           8
        .value_kind:     global_buffer
      - .address_space:  global
        .offset:         40
        .size:           8
        .value_kind:     global_buffer
      - .offset:         48
        .size:           8
        .value_kind:     by_value
      - .offset:         56
        .size:           4
        .value_kind:     by_value
      - .offset:         60
        .size:           4
        .value_kind:     by_value
      - .offset:         64
        .size:           4
        .value_kind:     by_value
      - .offset:         68
        .size:           4
        .value_kind:     by_value
      - .offset:         72
        .size:           4
        .value_kind:     by_value
      - .offset:         76
        .size:           4
        .value_kind:     by_value
      - .offset:         80
        .size:           4
        .value_kind:     by_value
      - .offset:         84
        .size:           1
        .value_kind:     by_value
    .group_segment_fixed_size: 32
    .kernarg_segment_align: 8
    .kernarg_segment_size: 88
    .language:       OpenCL C
    .language_version:
      - 2
      - 0
    .max_flat_workgroup_size: 1024
    .name:           _ZN5aiter24add_rmsnorm_quant_kernelItaLi256ELi24ELb0ELb1ELb0ELi1EEEvPT0_PT_PfS4_S4_S4_diiiiiiib
    .private_segment_fixed_size: 0
    .sgpr_count:     38
    .sgpr_spill_count: 0
    .symbol:         _ZN5aiter24add_rmsnorm_quant_kernelItaLi256ELi24ELb0ELb1ELb0ELi1EEEvPT0_PT_PfS4_S4_S4_diiiiiiib.kd
    .uniform_work_group_size: 1
    .uses_dynamic_stack: false
    .vgpr_count:     61
    .vgpr_spill_count: 0
    .wavefront_size: 64
  - .agpr_count:     0
    .args:
      - .address_space:  global
        .offset:         0
        .size:           8
        .value_kind:     global_buffer
      - .address_space:  global
        .offset:         8
        .size:           8
        .value_kind:     global_buffer
      - .address_space:  global
        .offset:         16
        .size:           8
        .value_kind:     global_buffer
      - .address_space:  global
        .offset:         24
        .size:           8
        .value_kind:     global_buffer
      - .address_space:  global
        .offset:         32
        .size:           8
        .value_kind:     global_buffer
      - .address_space:  global
        .offset:         40
        .size:           8
        .value_kind:     global_buffer
      - .offset:         48
        .size:           8
        .value_kind:     by_value
      - .offset:         56
        .size:           4
        .value_kind:     by_value
      - .offset:         60
        .size:           4
        .value_kind:     by_value
      - .offset:         64
        .size:           4
        .value_kind:     by_value
      - .offset:         68
        .size:           4
        .value_kind:     by_value
      - .offset:         72
        .size:           4
        .value_kind:     by_value
      - .offset:         76
        .size:           4
        .value_kind:     by_value
      - .offset:         80
        .size:           4
        .value_kind:     by_value
      - .offset:         84
        .size:           1
        .value_kind:     by_value
    .group_segment_fixed_size: 32
    .kernarg_segment_align: 8
    .kernarg_segment_size: 88
    .language:       OpenCL C
    .language_version:
      - 2
      - 0
    .max_flat_workgroup_size: 1024
    .name:           _ZN5aiter24add_rmsnorm_quant_kernelIDF16_aLi256ELi32ELb0ELb1ELb1ELi1EEEvPT0_PT_PfS4_S4_S4_diiiiiiib
    .private_segment_fixed_size: 0
    .sgpr_count:     38
    .sgpr_spill_count: 0
    .symbol:         _ZN5aiter24add_rmsnorm_quant_kernelIDF16_aLi256ELi32ELb0ELb1ELb1ELi1EEEvPT0_PT_PfS4_S4_S4_diiiiiiib.kd
    .uniform_work_group_size: 1
    .uses_dynamic_stack: false
    .vgpr_count:     68
    .vgpr_spill_count: 0
    .wavefront_size: 64
  - .agpr_count:     0
    .args:
      - .address_space:  global
        .offset:         0
        .size:           8
        .value_kind:     global_buffer
      - .address_space:  global
        .offset:         8
        .size:           8
        .value_kind:     global_buffer
      - .address_space:  global
        .offset:         16
        .size:           8
        .value_kind:     global_buffer
      - .address_space:  global
        .offset:         24
        .size:           8
        .value_kind:     global_buffer
      - .address_space:  global
        .offset:         32
        .size:           8
        .value_kind:     global_buffer
      - .address_space:  global
        .offset:         40
        .size:           8
        .value_kind:     global_buffer
      - .offset:         48
        .size:           8
        .value_kind:     by_value
      - .offset:         56
        .size:           4
        .value_kind:     by_value
      - .offset:         60
        .size:           4
        .value_kind:     by_value
      - .offset:         64
        .size:           4
        .value_kind:     by_value
      - .offset:         68
        .size:           4
        .value_kind:     by_value
      - .offset:         72
        .size:           4
        .value_kind:     by_value
      - .offset:         76
        .size:           4
        .value_kind:     by_value
      - .offset:         80
        .size:           4
        .value_kind:     by_value
      - .offset:         84
        .size:           1
        .value_kind:     by_value
    .group_segment_fixed_size: 32
    .kernarg_segment_align: 8
    .kernarg_segment_size: 88
    .language:       OpenCL C
    .language_version:
      - 2
      - 0
    .max_flat_workgroup_size: 1024
    .name:           _ZN5aiter24add_rmsnorm_quant_kernelItaLi256ELi32ELb0ELb1ELb1ELi1EEEvPT0_PT_PfS4_S4_S4_diiiiiiib
    .private_segment_fixed_size: 0
    .sgpr_count:     38
    .sgpr_spill_count: 0
    .symbol:         _ZN5aiter24add_rmsnorm_quant_kernelItaLi256ELi32ELb0ELb1ELb1ELi1EEEvPT0_PT_PfS4_S4_S4_diiiiiiib.kd
    .uniform_work_group_size: 1
    .uses_dynamic_stack: false
    .vgpr_count:     68
    .vgpr_spill_count: 0
    .wavefront_size: 64
  - .agpr_count:     0
    .args:
      - .address_space:  global
        .offset:         0
        .size:           8
        .value_kind:     global_buffer
      - .address_space:  global
        .offset:         8
        .size:           8
        .value_kind:     global_buffer
      - .address_space:  global
        .offset:         16
        .size:           8
        .value_kind:     global_buffer
      - .address_space:  global
        .offset:         24
        .size:           8
        .value_kind:     global_buffer
      - .address_space:  global
        .offset:         32
        .size:           8
        .value_kind:     global_buffer
      - .address_space:  global
        .offset:         40
        .size:           8
        .value_kind:     global_buffer
      - .offset:         48
        .size:           8
        .value_kind:     by_value
      - .offset:         56
        .size:           4
        .value_kind:     by_value
      - .offset:         60
        .size:           4
        .value_kind:     by_value
      - .offset:         64
        .size:           4
        .value_kind:     by_value
      - .offset:         68
        .size:           4
        .value_kind:     by_value
      - .offset:         72
        .size:           4
        .value_kind:     by_value
      - .offset:         76
        .size:           4
        .value_kind:     by_value
      - .offset:         80
        .size:           4
        .value_kind:     by_value
      - .offset:         84
        .size:           1
        .value_kind:     by_value
    .group_segment_fixed_size: 32
    .kernarg_segment_align: 8
    .kernarg_segment_size: 88
    .language:       OpenCL C
    .language_version:
      - 2
      - 0
    .max_flat_workgroup_size: 1024
    .name:           _ZN5aiter24add_rmsnorm_quant_kernelIDF16_aLi256ELi32ELb0ELb1ELb0ELi1EEEvPT0_PT_PfS4_S4_S4_diiiiiiib
    .private_segment_fixed_size: 0
    .sgpr_count:     38
    .sgpr_spill_count: 0
    .symbol:         _ZN5aiter24add_rmsnorm_quant_kernelIDF16_aLi256ELi32ELb0ELb1ELb0ELi1EEEvPT0_PT_PfS4_S4_S4_diiiiiiib.kd
    .uniform_work_group_size: 1
    .uses_dynamic_stack: false
    .vgpr_count:     68
    .vgpr_spill_count: 0
    .wavefront_size: 64
  - .agpr_count:     0
    .args:
      - .address_space:  global
        .offset:         0
        .size:           8
        .value_kind:     global_buffer
      - .address_space:  global
        .offset:         8
        .size:           8
        .value_kind:     global_buffer
      - .address_space:  global
        .offset:         16
        .size:           8
        .value_kind:     global_buffer
      - .address_space:  global
        .offset:         24
        .size:           8
        .value_kind:     global_buffer
      - .address_space:  global
        .offset:         32
        .size:           8
        .value_kind:     global_buffer
      - .address_space:  global
        .offset:         40
        .size:           8
        .value_kind:     global_buffer
      - .offset:         48
        .size:           8
        .value_kind:     by_value
      - .offset:         56
        .size:           4
        .value_kind:     by_value
      - .offset:         60
        .size:           4
        .value_kind:     by_value
      - .offset:         64
        .size:           4
        .value_kind:     by_value
      - .offset:         68
        .size:           4
        .value_kind:     by_value
      - .offset:         72
        .size:           4
        .value_kind:     by_value
      - .offset:         76
        .size:           4
        .value_kind:     by_value
      - .offset:         80
        .size:           4
        .value_kind:     by_value
      - .offset:         84
        .size:           1
        .value_kind:     by_value
    .group_segment_fixed_size: 32
    .kernarg_segment_align: 8
    .kernarg_segment_size: 88
    .language:       OpenCL C
    .language_version:
      - 2
      - 0
    .max_flat_workgroup_size: 1024
    .name:           _ZN5aiter24add_rmsnorm_quant_kernelItaLi256ELi32ELb0ELb1ELb0ELi1EEEvPT0_PT_PfS4_S4_S4_diiiiiiib
    .private_segment_fixed_size: 0
    .sgpr_count:     38
    .sgpr_spill_count: 0
    .symbol:         _ZN5aiter24add_rmsnorm_quant_kernelItaLi256ELi32ELb0ELb1ELb0ELi1EEEvPT0_PT_PfS4_S4_S4_diiiiiiib.kd
    .uniform_work_group_size: 1
    .uses_dynamic_stack: false
    .vgpr_count:     68
    .vgpr_spill_count: 0
    .wavefront_size: 64
  - .agpr_count:     0
    .args:
      - .address_space:  global
        .offset:         0
        .size:           8
        .value_kind:     global_buffer
      - .address_space:  global
        .offset:         8
        .size:           8
        .value_kind:     global_buffer
      - .address_space:  global
        .offset:         16
        .size:           8
        .value_kind:     global_buffer
      - .address_space:  global
        .offset:         24
        .size:           8
        .value_kind:     global_buffer
      - .address_space:  global
        .offset:         32
        .size:           8
        .value_kind:     global_buffer
      - .address_space:  global
        .offset:         40
        .size:           8
        .value_kind:     global_buffer
      - .offset:         48
        .size:           8
        .value_kind:     by_value
      - .offset:         56
        .size:           4
        .value_kind:     by_value
      - .offset:         60
        .size:           4
        .value_kind:     by_value
      - .offset:         64
        .size:           4
        .value_kind:     by_value
      - .offset:         68
        .size:           4
        .value_kind:     by_value
      - .offset:         72
        .size:           4
        .value_kind:     by_value
      - .offset:         76
        .size:           4
        .value_kind:     by_value
      - .offset:         80
        .size:           4
        .value_kind:     by_value
      - .offset:         84
        .size:           1
        .value_kind:     by_value
    .group_segment_fixed_size: 0
    .kernarg_segment_align: 8
    .kernarg_segment_size: 88
    .language:       OpenCL C
    .language_version:
      - 2
      - 0
    .max_flat_workgroup_size: 1024
    .name:           _ZN5aiter24add_rmsnorm_quant_kernelIDF16_DF16_Li64ELi8ELb1ELb0ELb1ELi1EEEvPT0_PT_PfS4_S4_S4_diiiiiiib
    .private_segment_fixed_size: 0
    .sgpr_count:     28
    .sgpr_spill_count: 0
    .symbol:         _ZN5aiter24add_rmsnorm_quant_kernelIDF16_DF16_Li64ELi8ELb1ELb0ELb1ELi1EEEvPT0_PT_PfS4_S4_S4_diiiiiiib.kd
    .uniform_work_group_size: 1
    .uses_dynamic_stack: false
    .vgpr_count:     33
    .vgpr_spill_count: 0
    .wavefront_size: 64
  - .agpr_count:     0
    .args:
      - .address_space:  global
        .offset:         0
        .size:           8
        .value_kind:     global_buffer
      - .address_space:  global
        .offset:         8
        .size:           8
        .value_kind:     global_buffer
      - .address_space:  global
        .offset:         16
        .size:           8
        .value_kind:     global_buffer
      - .address_space:  global
        .offset:         24
        .size:           8
        .value_kind:     global_buffer
      - .address_space:  global
        .offset:         32
        .size:           8
        .value_kind:     global_buffer
      - .address_space:  global
        .offset:         40
        .size:           8
        .value_kind:     global_buffer
      - .offset:         48
        .size:           8
        .value_kind:     by_value
      - .offset:         56
        .size:           4
        .value_kind:     by_value
      - .offset:         60
        .size:           4
        .value_kind:     by_value
      - .offset:         64
        .size:           4
        .value_kind:     by_value
      - .offset:         68
        .size:           4
        .value_kind:     by_value
      - .offset:         72
        .size:           4
        .value_kind:     by_value
      - .offset:         76
        .size:           4
        .value_kind:     by_value
      - .offset:         80
        .size:           4
        .value_kind:     by_value
      - .offset:         84
        .size:           1
        .value_kind:     by_value
    .group_segment_fixed_size: 0
    .kernarg_segment_align: 8
    .kernarg_segment_size: 88
    .language:       OpenCL C
    .language_version:
      - 2
      - 0
    .max_flat_workgroup_size: 1024
    .name:           _ZN5aiter24add_rmsnorm_quant_kernelIttLi64ELi8ELb1ELb0ELb1ELi1EEEvPT0_PT_PfS4_S4_S4_diiiiiiib
    .private_segment_fixed_size: 0
    .sgpr_count:     28
    .sgpr_spill_count: 0
    .symbol:         _ZN5aiter24add_rmsnorm_quant_kernelIttLi64ELi8ELb1ELb0ELb1ELi1EEEvPT0_PT_PfS4_S4_S4_diiiiiiib.kd
    .uniform_work_group_size: 1
    .uses_dynamic_stack: false
    .vgpr_count:     31
    .vgpr_spill_count: 0
    .wavefront_size: 64
  - .agpr_count:     0
    .args:
      - .address_space:  global
        .offset:         0
        .size:           8
        .value_kind:     global_buffer
      - .address_space:  global
        .offset:         8
        .size:           8
        .value_kind:     global_buffer
      - .address_space:  global
        .offset:         16
        .size:           8
        .value_kind:     global_buffer
      - .address_space:  global
        .offset:         24
        .size:           8
        .value_kind:     global_buffer
      - .address_space:  global
        .offset:         32
        .size:           8
        .value_kind:     global_buffer
      - .address_space:  global
        .offset:         40
        .size:           8
        .value_kind:     global_buffer
      - .offset:         48
        .size:           8
        .value_kind:     by_value
      - .offset:         56
        .size:           4
        .value_kind:     by_value
      - .offset:         60
        .size:           4
        .value_kind:     by_value
      - .offset:         64
        .size:           4
        .value_kind:     by_value
      - .offset:         68
        .size:           4
        .value_kind:     by_value
      - .offset:         72
        .size:           4
        .value_kind:     by_value
      - .offset:         76
        .size:           4
        .value_kind:     by_value
      - .offset:         80
        .size:           4
        .value_kind:     by_value
      - .offset:         84
        .size:           1
        .value_kind:     by_value
    .group_segment_fixed_size: 0
    .kernarg_segment_align: 8
    .kernarg_segment_size: 88
    .language:       OpenCL C
    .language_version:
      - 2
      - 0
    .max_flat_workgroup_size: 1024
    .name:           _ZN5aiter24add_rmsnorm_quant_kernelIDF16_DF16_Li64ELi8ELb1ELb0ELb0ELi1EEEvPT0_PT_PfS4_S4_S4_diiiiiiib
    .private_segment_fixed_size: 0
    .sgpr_count:     28
    .sgpr_spill_count: 0
    .symbol:         _ZN5aiter24add_rmsnorm_quant_kernelIDF16_DF16_Li64ELi8ELb1ELb0ELb0ELi1EEEvPT0_PT_PfS4_S4_S4_diiiiiiib.kd
    .uniform_work_group_size: 1
    .uses_dynamic_stack: false
    .vgpr_count:     33
    .vgpr_spill_count: 0
    .wavefront_size: 64
  - .agpr_count:     0
    .args:
      - .address_space:  global
        .offset:         0
        .size:           8
        .value_kind:     global_buffer
      - .address_space:  global
        .offset:         8
        .size:           8
        .value_kind:     global_buffer
      - .address_space:  global
        .offset:         16
        .size:           8
        .value_kind:     global_buffer
      - .address_space:  global
        .offset:         24
        .size:           8
        .value_kind:     global_buffer
      - .address_space:  global
        .offset:         32
        .size:           8
        .value_kind:     global_buffer
      - .address_space:  global
        .offset:         40
        .size:           8
        .value_kind:     global_buffer
      - .offset:         48
        .size:           8
        .value_kind:     by_value
      - .offset:         56
        .size:           4
        .value_kind:     by_value
      - .offset:         60
        .size:           4
        .value_kind:     by_value
      - .offset:         64
        .size:           4
        .value_kind:     by_value
      - .offset:         68
        .size:           4
        .value_kind:     by_value
      - .offset:         72
        .size:           4
        .value_kind:     by_value
      - .offset:         76
        .size:           4
        .value_kind:     by_value
      - .offset:         80
        .size:           4
        .value_kind:     by_value
      - .offset:         84
        .size:           1
        .value_kind:     by_value
    .group_segment_fixed_size: 0
    .kernarg_segment_align: 8
    .kernarg_segment_size: 88
    .language:       OpenCL C
    .language_version:
      - 2
      - 0
    .max_flat_workgroup_size: 1024
    .name:           _ZN5aiter24add_rmsnorm_quant_kernelIttLi64ELi8ELb1ELb0ELb0ELi1EEEvPT0_PT_PfS4_S4_S4_diiiiiiib
    .private_segment_fixed_size: 0
    .sgpr_count:     28
    .sgpr_spill_count: 0
    .symbol:         _ZN5aiter24add_rmsnorm_quant_kernelIttLi64ELi8ELb1ELb0ELb0ELi1EEEvPT0_PT_PfS4_S4_S4_diiiiiiib.kd
    .uniform_work_group_size: 1
    .uses_dynamic_stack: false
    .vgpr_count:     31
    .vgpr_spill_count: 0
    .wavefront_size: 64
  - .agpr_count:     0
    .args:
      - .address_space:  global
        .offset:         0
        .size:           8
        .value_kind:     global_buffer
      - .address_space:  global
        .offset:         8
        .size:           8
        .value_kind:     global_buffer
      - .address_space:  global
        .offset:         16
        .size:           8
        .value_kind:     global_buffer
      - .address_space:  global
        .offset:         24
        .size:           8
        .value_kind:     global_buffer
      - .address_space:  global
        .offset:         32
        .size:           8
        .value_kind:     global_buffer
      - .address_space:  global
        .offset:         40
        .size:           8
        .value_kind:     global_buffer
      - .offset:         48
        .size:           8
        .value_kind:     by_value
      - .offset:         56
        .size:           4
        .value_kind:     by_value
      - .offset:         60
        .size:           4
        .value_kind:     by_value
      - .offset:         64
        .size:           4
        .value_kind:     by_value
      - .offset:         68
        .size:           4
        .value_kind:     by_value
      - .offset:         72
        .size:           4
        .value_kind:     by_value
      - .offset:         76
        .size:           4
        .value_kind:     by_value
      - .offset:         80
        .size:           4
        .value_kind:     by_value
      - .offset:         84
        .size:           1
        .value_kind:     by_value
    .group_segment_fixed_size: 8
    .kernarg_segment_align: 8
    .kernarg_segment_size: 88
    .language:       OpenCL C
    .language_version:
      - 2
      - 0
    .max_flat_workgroup_size: 1024
    .name:           _ZN5aiter24add_rmsnorm_quant_kernelIDF16_DF16_Li128ELi8ELb1ELb0ELb1ELi1EEEvPT0_PT_PfS4_S4_S4_diiiiiiib
    .private_segment_fixed_size: 0
    .sgpr_count:     24
    .sgpr_spill_count: 0
    .symbol:         _ZN5aiter24add_rmsnorm_quant_kernelIDF16_DF16_Li128ELi8ELb1ELb0ELb1ELi1EEEvPT0_PT_PfS4_S4_S4_diiiiiiib.kd
    .uniform_work_group_size: 1
    .uses_dynamic_stack: false
    .vgpr_count:     32
    .vgpr_spill_count: 0
    .wavefront_size: 64
  - .agpr_count:     0
    .args:
      - .address_space:  global
        .offset:         0
        .size:           8
        .value_kind:     global_buffer
      - .address_space:  global
        .offset:         8
        .size:           8
        .value_kind:     global_buffer
      - .address_space:  global
        .offset:         16
        .size:           8
        .value_kind:     global_buffer
      - .address_space:  global
        .offset:         24
        .size:           8
        .value_kind:     global_buffer
      - .address_space:  global
        .offset:         32
        .size:           8
        .value_kind:     global_buffer
      - .address_space:  global
        .offset:         40
        .size:           8
        .value_kind:     global_buffer
      - .offset:         48
        .size:           8
        .value_kind:     by_value
      - .offset:         56
        .size:           4
        .value_kind:     by_value
      - .offset:         60
        .size:           4
        .value_kind:     by_value
      - .offset:         64
        .size:           4
        .value_kind:     by_value
      - .offset:         68
        .size:           4
        .value_kind:     by_value
      - .offset:         72
        .size:           4
        .value_kind:     by_value
      - .offset:         76
        .size:           4
        .value_kind:     by_value
      - .offset:         80
        .size:           4
        .value_kind:     by_value
      - .offset:         84
        .size:           1
        .value_kind:     by_value
    .group_segment_fixed_size: 8
    .kernarg_segment_align: 8
    .kernarg_segment_size: 88
    .language:       OpenCL C
    .language_version:
      - 2
      - 0
    .max_flat_workgroup_size: 1024
    .name:           _ZN5aiter24add_rmsnorm_quant_kernelIttLi128ELi8ELb1ELb0ELb1ELi1EEEvPT0_PT_PfS4_S4_S4_diiiiiiib
    .private_segment_fixed_size: 0
    .sgpr_count:     24
    .sgpr_spill_count: 0
    .symbol:         _ZN5aiter24add_rmsnorm_quant_kernelIttLi128ELi8ELb1ELb0ELb1ELi1EEEvPT0_PT_PfS4_S4_S4_diiiiiiib.kd
    .uniform_work_group_size: 1
    .uses_dynamic_stack: false
    .vgpr_count:     27
    .vgpr_spill_count: 0
    .wavefront_size: 64
  - .agpr_count:     0
    .args:
      - .address_space:  global
        .offset:         0
        .size:           8
        .value_kind:     global_buffer
      - .address_space:  global
        .offset:         8
        .size:           8
        .value_kind:     global_buffer
      - .address_space:  global
        .offset:         16
        .size:           8
        .value_kind:     global_buffer
      - .address_space:  global
        .offset:         24
        .size:           8
        .value_kind:     global_buffer
      - .address_space:  global
        .offset:         32
        .size:           8
        .value_kind:     global_buffer
      - .address_space:  global
        .offset:         40
        .size:           8
        .value_kind:     global_buffer
      - .offset:         48
        .size:           8
        .value_kind:     by_value
      - .offset:         56
        .size:           4
        .value_kind:     by_value
      - .offset:         60
        .size:           4
        .value_kind:     by_value
      - .offset:         64
        .size:           4
        .value_kind:     by_value
      - .offset:         68
        .size:           4
        .value_kind:     by_value
      - .offset:         72
        .size:           4
        .value_kind:     by_value
      - .offset:         76
        .size:           4
        .value_kind:     by_value
      - .offset:         80
        .size:           4
        .value_kind:     by_value
      - .offset:         84
        .size:           1
        .value_kind:     by_value
    .group_segment_fixed_size: 8
    .kernarg_segment_align: 8
    .kernarg_segment_size: 88
    .language:       OpenCL C
    .language_version:
      - 2
      - 0
    .max_flat_workgroup_size: 1024
    .name:           _ZN5aiter24add_rmsnorm_quant_kernelIDF16_DF16_Li128ELi8ELb1ELb0ELb0ELi1EEEvPT0_PT_PfS4_S4_S4_diiiiiiib
    .private_segment_fixed_size: 0
    .sgpr_count:     24
    .sgpr_spill_count: 0
    .symbol:         _ZN5aiter24add_rmsnorm_quant_kernelIDF16_DF16_Li128ELi8ELb1ELb0ELb0ELi1EEEvPT0_PT_PfS4_S4_S4_diiiiiiib.kd
    .uniform_work_group_size: 1
    .uses_dynamic_stack: false
    .vgpr_count:     32
    .vgpr_spill_count: 0
    .wavefront_size: 64
  - .agpr_count:     0
    .args:
      - .address_space:  global
        .offset:         0
        .size:           8
        .value_kind:     global_buffer
      - .address_space:  global
        .offset:         8
        .size:           8
        .value_kind:     global_buffer
      - .address_space:  global
        .offset:         16
        .size:           8
        .value_kind:     global_buffer
      - .address_space:  global
        .offset:         24
        .size:           8
        .value_kind:     global_buffer
      - .address_space:  global
        .offset:         32
        .size:           8
        .value_kind:     global_buffer
      - .address_space:  global
        .offset:         40
        .size:           8
        .value_kind:     global_buffer
      - .offset:         48
        .size:           8
        .value_kind:     by_value
      - .offset:         56
        .size:           4
        .value_kind:     by_value
      - .offset:         60
        .size:           4
        .value_kind:     by_value
      - .offset:         64
        .size:           4
        .value_kind:     by_value
      - .offset:         68
        .size:           4
        .value_kind:     by_value
      - .offset:         72
        .size:           4
        .value_kind:     by_value
      - .offset:         76
        .size:           4
        .value_kind:     by_value
      - .offset:         80
        .size:           4
        .value_kind:     by_value
      - .offset:         84
        .size:           1
        .value_kind:     by_value
    .group_segment_fixed_size: 8
    .kernarg_segment_align: 8
    .kernarg_segment_size: 88
    .language:       OpenCL C
    .language_version:
      - 2
      - 0
    .max_flat_workgroup_size: 1024
    .name:           _ZN5aiter24add_rmsnorm_quant_kernelIttLi128ELi8ELb1ELb0ELb0ELi1EEEvPT0_PT_PfS4_S4_S4_diiiiiiib
    .private_segment_fixed_size: 0
    .sgpr_count:     24
    .sgpr_spill_count: 0
    .symbol:         _ZN5aiter24add_rmsnorm_quant_kernelIttLi128ELi8ELb1ELb0ELb0ELi1EEEvPT0_PT_PfS4_S4_S4_diiiiiiib.kd
    .uniform_work_group_size: 1
    .uses_dynamic_stack: false
    .vgpr_count:     27
    .vgpr_spill_count: 0
    .wavefront_size: 64
  - .agpr_count:     0
    .args:
      - .address_space:  global
        .offset:         0
        .size:           8
        .value_kind:     global_buffer
      - .address_space:  global
        .offset:         8
        .size:           8
        .value_kind:     global_buffer
      - .address_space:  global
        .offset:         16
        .size:           8
        .value_kind:     global_buffer
      - .address_space:  global
        .offset:         24
        .size:           8
        .value_kind:     global_buffer
      - .address_space:  global
        .offset:         32
        .size:           8
        .value_kind:     global_buffer
      - .address_space:  global
        .offset:         40
        .size:           8
        .value_kind:     global_buffer
      - .offset:         48
        .size:           8
        .value_kind:     by_value
      - .offset:         56
        .size:           4
        .value_kind:     by_value
      - .offset:         60
        .size:           4
        .value_kind:     by_value
      - .offset:         64
        .size:           4
        .value_kind:     by_value
      - .offset:         68
        .size:           4
        .value_kind:     by_value
      - .offset:         72
        .size:           4
        .value_kind:     by_value
      - .offset:         76
        .size:           4
        .value_kind:     by_value
      - .offset:         80
        .size:           4
        .value_kind:     by_value
      - .offset:         84
        .size:           1
        .value_kind:     by_value
    .group_segment_fixed_size: 16
    .kernarg_segment_align: 8
    .kernarg_segment_size: 88
    .language:       OpenCL C
    .language_version:
      - 2
      - 0
    .max_flat_workgroup_size: 1024
    .name:           _ZN5aiter24add_rmsnorm_quant_kernelIDF16_DF16_Li256ELi8ELb1ELb0ELb1ELi1EEEvPT0_PT_PfS4_S4_S4_diiiiiiib
    .private_segment_fixed_size: 0
    .sgpr_count:     24
    .sgpr_spill_count: 0
    .symbol:         _ZN5aiter24add_rmsnorm_quant_kernelIDF16_DF16_Li256ELi8ELb1ELb0ELb1ELi1EEEvPT0_PT_PfS4_S4_S4_diiiiiiib.kd
    .uniform_work_group_size: 1
    .uses_dynamic_stack: false
    .vgpr_count:     32
    .vgpr_spill_count: 0
    .wavefront_size: 64
  - .agpr_count:     0
    .args:
      - .address_space:  global
        .offset:         0
        .size:           8
        .value_kind:     global_buffer
      - .address_space:  global
        .offset:         8
        .size:           8
        .value_kind:     global_buffer
      - .address_space:  global
        .offset:         16
        .size:           8
        .value_kind:     global_buffer
      - .address_space:  global
        .offset:         24
        .size:           8
        .value_kind:     global_buffer
      - .address_space:  global
        .offset:         32
        .size:           8
        .value_kind:     global_buffer
      - .address_space:  global
        .offset:         40
        .size:           8
        .value_kind:     global_buffer
      - .offset:         48
        .size:           8
        .value_kind:     by_value
      - .offset:         56
        .size:           4
        .value_kind:     by_value
      - .offset:         60
        .size:           4
        .value_kind:     by_value
      - .offset:         64
        .size:           4
        .value_kind:     by_value
      - .offset:         68
        .size:           4
        .value_kind:     by_value
      - .offset:         72
        .size:           4
        .value_kind:     by_value
      - .offset:         76
        .size:           4
        .value_kind:     by_value
      - .offset:         80
        .size:           4
        .value_kind:     by_value
      - .offset:         84
        .size:           1
        .value_kind:     by_value
    .group_segment_fixed_size: 16
    .kernarg_segment_align: 8
    .kernarg_segment_size: 88
    .language:       OpenCL C
    .language_version:
      - 2
      - 0
    .max_flat_workgroup_size: 1024
    .name:           _ZN5aiter24add_rmsnorm_quant_kernelIttLi256ELi8ELb1ELb0ELb1ELi1EEEvPT0_PT_PfS4_S4_S4_diiiiiiib
    .private_segment_fixed_size: 0
    .sgpr_count:     24
    .sgpr_spill_count: 0
    .symbol:         _ZN5aiter24add_rmsnorm_quant_kernelIttLi256ELi8ELb1ELb0ELb1ELi1EEEvPT0_PT_PfS4_S4_S4_diiiiiiib.kd
    .uniform_work_group_size: 1
    .uses_dynamic_stack: false
    .vgpr_count:     27
    .vgpr_spill_count: 0
    .wavefront_size: 64
  - .agpr_count:     0
    .args:
      - .address_space:  global
        .offset:         0
        .size:           8
        .value_kind:     global_buffer
      - .address_space:  global
        .offset:         8
        .size:           8
        .value_kind:     global_buffer
      - .address_space:  global
        .offset:         16
        .size:           8
        .value_kind:     global_buffer
      - .address_space:  global
        .offset:         24
        .size:           8
        .value_kind:     global_buffer
      - .address_space:  global
        .offset:         32
        .size:           8
        .value_kind:     global_buffer
      - .address_space:  global
        .offset:         40
        .size:           8
        .value_kind:     global_buffer
      - .offset:         48
        .size:           8
        .value_kind:     by_value
      - .offset:         56
        .size:           4
        .value_kind:     by_value
      - .offset:         60
        .size:           4
        .value_kind:     by_value
      - .offset:         64
        .size:           4
        .value_kind:     by_value
      - .offset:         68
        .size:           4
        .value_kind:     by_value
      - .offset:         72
        .size:           4
        .value_kind:     by_value
      - .offset:         76
        .size:           4
        .value_kind:     by_value
      - .offset:         80
        .size:           4
        .value_kind:     by_value
      - .offset:         84
        .size:           1
        .value_kind:     by_value
    .group_segment_fixed_size: 16
    .kernarg_segment_align: 8
    .kernarg_segment_size: 88
    .language:       OpenCL C
    .language_version:
      - 2
      - 0
    .max_flat_workgroup_size: 1024
    .name:           _ZN5aiter24add_rmsnorm_quant_kernelIDF16_DF16_Li256ELi8ELb1ELb0ELb0ELi1EEEvPT0_PT_PfS4_S4_S4_diiiiiiib
    .private_segment_fixed_size: 0
    .sgpr_count:     24
    .sgpr_spill_count: 0
    .symbol:         _ZN5aiter24add_rmsnorm_quant_kernelIDF16_DF16_Li256ELi8ELb1ELb0ELb0ELi1EEEvPT0_PT_PfS4_S4_S4_diiiiiiib.kd
    .uniform_work_group_size: 1
    .uses_dynamic_stack: false
    .vgpr_count:     32
    .vgpr_spill_count: 0
    .wavefront_size: 64
  - .agpr_count:     0
    .args:
      - .address_space:  global
        .offset:         0
        .size:           8
        .value_kind:     global_buffer
      - .address_space:  global
        .offset:         8
        .size:           8
        .value_kind:     global_buffer
      - .address_space:  global
        .offset:         16
        .size:           8
        .value_kind:     global_buffer
      - .address_space:  global
        .offset:         24
        .size:           8
        .value_kind:     global_buffer
      - .address_space:  global
        .offset:         32
        .size:           8
        .value_kind:     global_buffer
      - .address_space:  global
        .offset:         40
        .size:           8
        .value_kind:     global_buffer
      - .offset:         48
        .size:           8
        .value_kind:     by_value
      - .offset:         56
        .size:           4
        .value_kind:     by_value
      - .offset:         60
        .size:           4
        .value_kind:     by_value
      - .offset:         64
        .size:           4
        .value_kind:     by_value
      - .offset:         68
        .size:           4
        .value_kind:     by_value
      - .offset:         72
        .size:           4
        .value_kind:     by_value
      - .offset:         76
        .size:           4
        .value_kind:     by_value
      - .offset:         80
        .size:           4
        .value_kind:     by_value
      - .offset:         84
        .size:           1
        .value_kind:     by_value
    .group_segment_fixed_size: 16
    .kernarg_segment_align: 8
    .kernarg_segment_size: 88
    .language:       OpenCL C
    .language_version:
      - 2
      - 0
    .max_flat_workgroup_size: 1024
    .name:           _ZN5aiter24add_rmsnorm_quant_kernelIttLi256ELi8ELb1ELb0ELb0ELi1EEEvPT0_PT_PfS4_S4_S4_diiiiiiib
    .private_segment_fixed_size: 0
    .sgpr_count:     24
    .sgpr_spill_count: 0
    .symbol:         _ZN5aiter24add_rmsnorm_quant_kernelIttLi256ELi8ELb1ELb0ELb0ELi1EEEvPT0_PT_PfS4_S4_S4_diiiiiiib.kd
    .uniform_work_group_size: 1
    .uses_dynamic_stack: false
    .vgpr_count:     27
    .vgpr_spill_count: 0
    .wavefront_size: 64
  - .agpr_count:     0
    .args:
      - .address_space:  global
        .offset:         0
        .size:           8
        .value_kind:     global_buffer
      - .address_space:  global
        .offset:         8
        .size:           8
        .value_kind:     global_buffer
      - .address_space:  global
        .offset:         16
        .size:           8
        .value_kind:     global_buffer
      - .address_space:  global
        .offset:         24
        .size:           8
        .value_kind:     global_buffer
      - .address_space:  global
        .offset:         32
        .size:           8
        .value_kind:     global_buffer
      - .address_space:  global
        .offset:         40
        .size:           8
        .value_kind:     global_buffer
      - .offset:         48
        .size:           8
        .value_kind:     by_value
      - .offset:         56
        .size:           4
        .value_kind:     by_value
      - .offset:         60
        .size:           4
        .value_kind:     by_value
      - .offset:         64
        .size:           4
        .value_kind:     by_value
      - .offset:         68
        .size:           4
        .value_kind:     by_value
      - .offset:         72
        .size:           4
        .value_kind:     by_value
      - .offset:         76
        .size:           4
        .value_kind:     by_value
      - .offset:         80
        .size:           4
        .value_kind:     by_value
      - .offset:         84
        .size:           1
        .value_kind:     by_value
    .group_segment_fixed_size: 16
    .kernarg_segment_align: 8
    .kernarg_segment_size: 88
    .language:       OpenCL C
    .language_version:
      - 2
      - 0
    .max_flat_workgroup_size: 1024
    .name:           _ZN5aiter24add_rmsnorm_quant_kernelIDF16_DF16_Li256ELi16ELb1ELb0ELb1ELi1EEEvPT0_PT_PfS4_S4_S4_diiiiiiib
    .private_segment_fixed_size: 0
    .sgpr_count:     28
    .sgpr_spill_count: 0
    .symbol:         _ZN5aiter24add_rmsnorm_quant_kernelIDF16_DF16_Li256ELi16ELb1ELb0ELb1ELi1EEEvPT0_PT_PfS4_S4_S4_diiiiiiib.kd
    .uniform_work_group_size: 1
    .uses_dynamic_stack: false
    .vgpr_count:     46
    .vgpr_spill_count: 0
    .wavefront_size: 64
  - .agpr_count:     0
    .args:
      - .address_space:  global
        .offset:         0
        .size:           8
        .value_kind:     global_buffer
      - .address_space:  global
        .offset:         8
        .size:           8
        .value_kind:     global_buffer
      - .address_space:  global
        .offset:         16
        .size:           8
        .value_kind:     global_buffer
      - .address_space:  global
        .offset:         24
        .size:           8
        .value_kind:     global_buffer
      - .address_space:  global
        .offset:         32
        .size:           8
        .value_kind:     global_buffer
      - .address_space:  global
        .offset:         40
        .size:           8
        .value_kind:     global_buffer
      - .offset:         48
        .size:           8
        .value_kind:     by_value
      - .offset:         56
        .size:           4
        .value_kind:     by_value
      - .offset:         60
        .size:           4
        .value_kind:     by_value
      - .offset:         64
        .size:           4
        .value_kind:     by_value
      - .offset:         68
        .size:           4
        .value_kind:     by_value
      - .offset:         72
        .size:           4
        .value_kind:     by_value
      - .offset:         76
        .size:           4
        .value_kind:     by_value
      - .offset:         80
        .size:           4
        .value_kind:     by_value
      - .offset:         84
        .size:           1
        .value_kind:     by_value
    .group_segment_fixed_size: 16
    .kernarg_segment_align: 8
    .kernarg_segment_size: 88
    .language:       OpenCL C
    .language_version:
      - 2
      - 0
    .max_flat_workgroup_size: 1024
    .name:           _ZN5aiter24add_rmsnorm_quant_kernelIttLi256ELi16ELb1ELb0ELb1ELi1EEEvPT0_PT_PfS4_S4_S4_diiiiiiib
    .private_segment_fixed_size: 0
    .sgpr_count:     28
    .sgpr_spill_count: 0
    .symbol:         _ZN5aiter24add_rmsnorm_quant_kernelIttLi256ELi16ELb1ELb0ELb1ELi1EEEvPT0_PT_PfS4_S4_S4_diiiiiiib.kd
    .uniform_work_group_size: 1
    .uses_dynamic_stack: false
    .vgpr_count:     46
    .vgpr_spill_count: 0
    .wavefront_size: 64
  - .agpr_count:     0
    .args:
      - .address_space:  global
        .offset:         0
        .size:           8
        .value_kind:     global_buffer
      - .address_space:  global
        .offset:         8
        .size:           8
        .value_kind:     global_buffer
      - .address_space:  global
        .offset:         16
        .size:           8
        .value_kind:     global_buffer
      - .address_space:  global
        .offset:         24
        .size:           8
        .value_kind:     global_buffer
      - .address_space:  global
        .offset:         32
        .size:           8
        .value_kind:     global_buffer
      - .address_space:  global
        .offset:         40
        .size:           8
        .value_kind:     global_buffer
      - .offset:         48
        .size:           8
        .value_kind:     by_value
      - .offset:         56
        .size:           4
        .value_kind:     by_value
      - .offset:         60
        .size:           4
        .value_kind:     by_value
      - .offset:         64
        .size:           4
        .value_kind:     by_value
      - .offset:         68
        .size:           4
        .value_kind:     by_value
      - .offset:         72
        .size:           4
        .value_kind:     by_value
      - .offset:         76
        .size:           4
        .value_kind:     by_value
      - .offset:         80
        .size:           4
        .value_kind:     by_value
      - .offset:         84
        .size:           1
        .value_kind:     by_value
    .group_segment_fixed_size: 16
    .kernarg_segment_align: 8
    .kernarg_segment_size: 88
    .language:       OpenCL C
    .language_version:
      - 2
      - 0
    .max_flat_workgroup_size: 1024
    .name:           _ZN5aiter24add_rmsnorm_quant_kernelIDF16_DF16_Li256ELi16ELb1ELb0ELb0ELi1EEEvPT0_PT_PfS4_S4_S4_diiiiiiib
    .private_segment_fixed_size: 0
    .sgpr_count:     28
    .sgpr_spill_count: 0
    .symbol:         _ZN5aiter24add_rmsnorm_quant_kernelIDF16_DF16_Li256ELi16ELb1ELb0ELb0ELi1EEEvPT0_PT_PfS4_S4_S4_diiiiiiib.kd
    .uniform_work_group_size: 1
    .uses_dynamic_stack: false
    .vgpr_count:     46
    .vgpr_spill_count: 0
    .wavefront_size: 64
  - .agpr_count:     0
    .args:
      - .address_space:  global
        .offset:         0
        .size:           8
        .value_kind:     global_buffer
      - .address_space:  global
        .offset:         8
        .size:           8
        .value_kind:     global_buffer
      - .address_space:  global
        .offset:         16
        .size:           8
        .value_kind:     global_buffer
      - .address_space:  global
        .offset:         24
        .size:           8
        .value_kind:     global_buffer
      - .address_space:  global
        .offset:         32
        .size:           8
        .value_kind:     global_buffer
      - .address_space:  global
        .offset:         40
        .size:           8
        .value_kind:     global_buffer
      - .offset:         48
        .size:           8
        .value_kind:     by_value
      - .offset:         56
        .size:           4
        .value_kind:     by_value
      - .offset:         60
        .size:           4
        .value_kind:     by_value
      - .offset:         64
        .size:           4
        .value_kind:     by_value
      - .offset:         68
        .size:           4
        .value_kind:     by_value
      - .offset:         72
        .size:           4
        .value_kind:     by_value
      - .offset:         76
        .size:           4
        .value_kind:     by_value
      - .offset:         80
        .size:           4
        .value_kind:     by_value
      - .offset:         84
        .size:           1
        .value_kind:     by_value
    .group_segment_fixed_size: 16
    .kernarg_segment_align: 8
    .kernarg_segment_size: 88
    .language:       OpenCL C
    .language_version:
      - 2
      - 0
    .max_flat_workgroup_size: 1024
    .name:           _ZN5aiter24add_rmsnorm_quant_kernelIttLi256ELi16ELb1ELb0ELb0ELi1EEEvPT0_PT_PfS4_S4_S4_diiiiiiib
    .private_segment_fixed_size: 0
    .sgpr_count:     28
    .sgpr_spill_count: 0
    .symbol:         _ZN5aiter24add_rmsnorm_quant_kernelIttLi256ELi16ELb1ELb0ELb0ELi1EEEvPT0_PT_PfS4_S4_S4_diiiiiiib.kd
    .uniform_work_group_size: 1
    .uses_dynamic_stack: false
    .vgpr_count:     46
    .vgpr_spill_count: 0
    .wavefront_size: 64
  - .agpr_count:     0
    .args:
      - .address_space:  global
        .offset:         0
        .size:           8
        .value_kind:     global_buffer
      - .address_space:  global
        .offset:         8
        .size:           8
        .value_kind:     global_buffer
      - .address_space:  global
        .offset:         16
        .size:           8
        .value_kind:     global_buffer
      - .address_space:  global
        .offset:         24
        .size:           8
        .value_kind:     global_buffer
      - .address_space:  global
        .offset:         32
        .size:           8
        .value_kind:     global_buffer
      - .address_space:  global
        .offset:         40
        .size:           8
        .value_kind:     global_buffer
      - .offset:         48
        .size:           8
        .value_kind:     by_value
      - .offset:         56
        .size:           4
        .value_kind:     by_value
      - .offset:         60
        .size:           4
        .value_kind:     by_value
      - .offset:         64
        .size:           4
        .value_kind:     by_value
      - .offset:         68
        .size:           4
        .value_kind:     by_value
      - .offset:         72
        .size:           4
        .value_kind:     by_value
      - .offset:         76
        .size:           4
        .value_kind:     by_value
      - .offset:         80
        .size:           4
        .value_kind:     by_value
      - .offset:         84
        .size:           1
        .value_kind:     by_value
    .group_segment_fixed_size: 16
    .kernarg_segment_align: 8
    .kernarg_segment_size: 88
    .language:       OpenCL C
    .language_version:
      - 2
      - 0
    .max_flat_workgroup_size: 1024
    .name:           _ZN5aiter24add_rmsnorm_quant_kernelIDF16_DF16_Li256ELi24ELb1ELb0ELb1ELi1EEEvPT0_PT_PfS4_S4_S4_diiiiiiib
    .private_segment_fixed_size: 0
    .sgpr_count:     28
    .sgpr_spill_count: 0
    .symbol:         _ZN5aiter24add_rmsnorm_quant_kernelIDF16_DF16_Li256ELi24ELb1ELb0ELb1ELi1EEEvPT0_PT_PfS4_S4_S4_diiiiiiib.kd
    .uniform_work_group_size: 1
    .uses_dynamic_stack: false
    .vgpr_count:     64
    .vgpr_spill_count: 0
    .wavefront_size: 64
  - .agpr_count:     0
    .args:
      - .address_space:  global
        .offset:         0
        .size:           8
        .value_kind:     global_buffer
      - .address_space:  global
        .offset:         8
        .size:           8
        .value_kind:     global_buffer
      - .address_space:  global
        .offset:         16
        .size:           8
        .value_kind:     global_buffer
      - .address_space:  global
        .offset:         24
        .size:           8
        .value_kind:     global_buffer
      - .address_space:  global
        .offset:         32
        .size:           8
        .value_kind:     global_buffer
      - .address_space:  global
        .offset:         40
        .size:           8
        .value_kind:     global_buffer
      - .offset:         48
        .size:           8
        .value_kind:     by_value
      - .offset:         56
        .size:           4
        .value_kind:     by_value
      - .offset:         60
        .size:           4
        .value_kind:     by_value
      - .offset:         64
        .size:           4
        .value_kind:     by_value
      - .offset:         68
        .size:           4
        .value_kind:     by_value
      - .offset:         72
        .size:           4
        .value_kind:     by_value
      - .offset:         76
        .size:           4
        .value_kind:     by_value
      - .offset:         80
        .size:           4
        .value_kind:     by_value
      - .offset:         84
        .size:           1
        .value_kind:     by_value
    .group_segment_fixed_size: 16
    .kernarg_segment_align: 8
    .kernarg_segment_size: 88
    .language:       OpenCL C
    .language_version:
      - 2
      - 0
    .max_flat_workgroup_size: 1024
    .name:           _ZN5aiter24add_rmsnorm_quant_kernelIttLi256ELi24ELb1ELb0ELb1ELi1EEEvPT0_PT_PfS4_S4_S4_diiiiiiib
    .private_segment_fixed_size: 0
    .sgpr_count:     28
    .sgpr_spill_count: 0
    .symbol:         _ZN5aiter24add_rmsnorm_quant_kernelIttLi256ELi24ELb1ELb0ELb1ELi1EEEvPT0_PT_PfS4_S4_S4_diiiiiiib.kd
    .uniform_work_group_size: 1
    .uses_dynamic_stack: false
    .vgpr_count:     64
    .vgpr_spill_count: 0
    .wavefront_size: 64
  - .agpr_count:     0
    .args:
      - .address_space:  global
        .offset:         0
        .size:           8
        .value_kind:     global_buffer
      - .address_space:  global
        .offset:         8
        .size:           8
        .value_kind:     global_buffer
      - .address_space:  global
        .offset:         16
        .size:           8
        .value_kind:     global_buffer
      - .address_space:  global
        .offset:         24
        .size:           8
        .value_kind:     global_buffer
      - .address_space:  global
        .offset:         32
        .size:           8
        .value_kind:     global_buffer
      - .address_space:  global
        .offset:         40
        .size:           8
        .value_kind:     global_buffer
      - .offset:         48
        .size:           8
        .value_kind:     by_value
      - .offset:         56
        .size:           4
        .value_kind:     by_value
      - .offset:         60
        .size:           4
        .value_kind:     by_value
      - .offset:         64
        .size:           4
        .value_kind:     by_value
      - .offset:         68
        .size:           4
        .value_kind:     by_value
      - .offset:         72
        .size:           4
        .value_kind:     by_value
      - .offset:         76
        .size:           4
        .value_kind:     by_value
      - .offset:         80
        .size:           4
        .value_kind:     by_value
      - .offset:         84
        .size:           1
        .value_kind:     by_value
    .group_segment_fixed_size: 16
    .kernarg_segment_align: 8
    .kernarg_segment_size: 88
    .language:       OpenCL C
    .language_version:
      - 2
      - 0
    .max_flat_workgroup_size: 1024
    .name:           _ZN5aiter24add_rmsnorm_quant_kernelIDF16_DF16_Li256ELi24ELb1ELb0ELb0ELi1EEEvPT0_PT_PfS4_S4_S4_diiiiiiib
    .private_segment_fixed_size: 0
    .sgpr_count:     28
    .sgpr_spill_count: 0
    .symbol:         _ZN5aiter24add_rmsnorm_quant_kernelIDF16_DF16_Li256ELi24ELb1ELb0ELb0ELi1EEEvPT0_PT_PfS4_S4_S4_diiiiiiib.kd
    .uniform_work_group_size: 1
    .uses_dynamic_stack: false
    .vgpr_count:     64
    .vgpr_spill_count: 0
    .wavefront_size: 64
  - .agpr_count:     0
    .args:
      - .address_space:  global
        .offset:         0
        .size:           8
        .value_kind:     global_buffer
      - .address_space:  global
        .offset:         8
        .size:           8
        .value_kind:     global_buffer
      - .address_space:  global
        .offset:         16
        .size:           8
        .value_kind:     global_buffer
      - .address_space:  global
        .offset:         24
        .size:           8
        .value_kind:     global_buffer
      - .address_space:  global
        .offset:         32
        .size:           8
        .value_kind:     global_buffer
      - .address_space:  global
        .offset:         40
        .size:           8
        .value_kind:     global_buffer
      - .offset:         48
        .size:           8
        .value_kind:     by_value
      - .offset:         56
        .size:           4
        .value_kind:     by_value
      - .offset:         60
        .size:           4
        .value_kind:     by_value
      - .offset:         64
        .size:           4
        .value_kind:     by_value
      - .offset:         68
        .size:           4
        .value_kind:     by_value
      - .offset:         72
        .size:           4
        .value_kind:     by_value
      - .offset:         76
        .size:           4
        .value_kind:     by_value
      - .offset:         80
        .size:           4
        .value_kind:     by_value
      - .offset:         84
        .size:           1
        .value_kind:     by_value
    .group_segment_fixed_size: 16
    .kernarg_segment_align: 8
    .kernarg_segment_size: 88
    .language:       OpenCL C
    .language_version:
      - 2
      - 0
    .max_flat_workgroup_size: 1024
    .name:           _ZN5aiter24add_rmsnorm_quant_kernelIttLi256ELi24ELb1ELb0ELb0ELi1EEEvPT0_PT_PfS4_S4_S4_diiiiiiib
    .private_segment_fixed_size: 0
    .sgpr_count:     28
    .sgpr_spill_count: 0
    .symbol:         _ZN5aiter24add_rmsnorm_quant_kernelIttLi256ELi24ELb1ELb0ELb0ELi1EEEvPT0_PT_PfS4_S4_S4_diiiiiiib.kd
    .uniform_work_group_size: 1
    .uses_dynamic_stack: false
    .vgpr_count:     66
    .vgpr_spill_count: 0
    .wavefront_size: 64
  - .agpr_count:     0
    .args:
      - .address_space:  global
        .offset:         0
        .size:           8
        .value_kind:     global_buffer
      - .address_space:  global
        .offset:         8
        .size:           8
        .value_kind:     global_buffer
      - .address_space:  global
        .offset:         16
        .size:           8
        .value_kind:     global_buffer
      - .address_space:  global
        .offset:         24
        .size:           8
        .value_kind:     global_buffer
      - .address_space:  global
        .offset:         32
        .size:           8
        .value_kind:     global_buffer
      - .address_space:  global
        .offset:         40
        .size:           8
        .value_kind:     global_buffer
      - .offset:         48
        .size:           8
        .value_kind:     by_value
      - .offset:         56
        .size:           4
        .value_kind:     by_value
      - .offset:         60
        .size:           4
        .value_kind:     by_value
      - .offset:         64
        .size:           4
        .value_kind:     by_value
      - .offset:         68
        .size:           4
        .value_kind:     by_value
      - .offset:         72
        .size:           4
        .value_kind:     by_value
      - .offset:         76
        .size:           4
        .value_kind:     by_value
      - .offset:         80
        .size:           4
        .value_kind:     by_value
      - .offset:         84
        .size:           1
        .value_kind:     by_value
    .group_segment_fixed_size: 16
    .kernarg_segment_align: 8
    .kernarg_segment_size: 88
    .language:       OpenCL C
    .language_version:
      - 2
      - 0
    .max_flat_workgroup_size: 1024
    .name:           _ZN5aiter24add_rmsnorm_quant_kernelIDF16_DF16_Li256ELi32ELb1ELb0ELb1ELi1EEEvPT0_PT_PfS4_S4_S4_diiiiiiib
    .private_segment_fixed_size: 0
    .sgpr_count:     28
    .sgpr_spill_count: 0
    .symbol:         _ZN5aiter24add_rmsnorm_quant_kernelIDF16_DF16_Li256ELi32ELb1ELb0ELb1ELi1EEEvPT0_PT_PfS4_S4_S4_diiiiiiib.kd
    .uniform_work_group_size: 1
    .uses_dynamic_stack: false
    .vgpr_count:     68
    .vgpr_spill_count: 0
    .wavefront_size: 64
  - .agpr_count:     0
    .args:
      - .address_space:  global
        .offset:         0
        .size:           8
        .value_kind:     global_buffer
      - .address_space:  global
        .offset:         8
        .size:           8
        .value_kind:     global_buffer
      - .address_space:  global
        .offset:         16
        .size:           8
        .value_kind:     global_buffer
      - .address_space:  global
        .offset:         24
        .size:           8
        .value_kind:     global_buffer
      - .address_space:  global
        .offset:         32
        .size:           8
        .value_kind:     global_buffer
      - .address_space:  global
        .offset:         40
        .size:           8
        .value_kind:     global_buffer
      - .offset:         48
        .size:           8
        .value_kind:     by_value
      - .offset:         56
        .size:           4
        .value_kind:     by_value
      - .offset:         60
        .size:           4
        .value_kind:     by_value
      - .offset:         64
        .size:           4
        .value_kind:     by_value
      - .offset:         68
        .size:           4
        .value_kind:     by_value
      - .offset:         72
        .size:           4
        .value_kind:     by_value
      - .offset:         76
        .size:           4
        .value_kind:     by_value
      - .offset:         80
        .size:           4
        .value_kind:     by_value
      - .offset:         84
        .size:           1
        .value_kind:     by_value
    .group_segment_fixed_size: 16
    .kernarg_segment_align: 8
    .kernarg_segment_size: 88
    .language:       OpenCL C
    .language_version:
      - 2
      - 0
    .max_flat_workgroup_size: 1024
    .name:           _ZN5aiter24add_rmsnorm_quant_kernelIttLi256ELi32ELb1ELb0ELb1ELi1EEEvPT0_PT_PfS4_S4_S4_diiiiiiib
    .private_segment_fixed_size: 0
    .sgpr_count:     28
    .sgpr_spill_count: 0
    .symbol:         _ZN5aiter24add_rmsnorm_quant_kernelIttLi256ELi32ELb1ELb0ELb1ELi1EEEvPT0_PT_PfS4_S4_S4_diiiiiiib.kd
    .uniform_work_group_size: 1
    .uses_dynamic_stack: false
    .vgpr_count:     68
    .vgpr_spill_count: 0
    .wavefront_size: 64
  - .agpr_count:     0
    .args:
      - .address_space:  global
        .offset:         0
        .size:           8
        .value_kind:     global_buffer
      - .address_space:  global
        .offset:         8
        .size:           8
        .value_kind:     global_buffer
      - .address_space:  global
        .offset:         16
        .size:           8
        .value_kind:     global_buffer
      - .address_space:  global
        .offset:         24
        .size:           8
        .value_kind:     global_buffer
      - .address_space:  global
        .offset:         32
        .size:           8
        .value_kind:     global_buffer
      - .address_space:  global
        .offset:         40
        .size:           8
        .value_kind:     global_buffer
      - .offset:         48
        .size:           8
        .value_kind:     by_value
      - .offset:         56
        .size:           4
        .value_kind:     by_value
      - .offset:         60
        .size:           4
        .value_kind:     by_value
      - .offset:         64
        .size:           4
        .value_kind:     by_value
      - .offset:         68
        .size:           4
        .value_kind:     by_value
      - .offset:         72
        .size:           4
        .value_kind:     by_value
      - .offset:         76
        .size:           4
        .value_kind:     by_value
      - .offset:         80
        .size:           4
        .value_kind:     by_value
      - .offset:         84
        .size:           1
        .value_kind:     by_value
    .group_segment_fixed_size: 16
    .kernarg_segment_align: 8
    .kernarg_segment_size: 88
    .language:       OpenCL C
    .language_version:
      - 2
      - 0
    .max_flat_workgroup_size: 1024
    .name:           _ZN5aiter24add_rmsnorm_quant_kernelIDF16_DF16_Li256ELi32ELb1ELb0ELb0ELi1EEEvPT0_PT_PfS4_S4_S4_diiiiiiib
    .private_segment_fixed_size: 0
    .sgpr_count:     28
    .sgpr_spill_count: 0
    .symbol:         _ZN5aiter24add_rmsnorm_quant_kernelIDF16_DF16_Li256ELi32ELb1ELb0ELb0ELi1EEEvPT0_PT_PfS4_S4_S4_diiiiiiib.kd
    .uniform_work_group_size: 1
    .uses_dynamic_stack: false
    .vgpr_count:     72
    .vgpr_spill_count: 0
    .wavefront_size: 64
  - .agpr_count:     0
    .args:
      - .address_space:  global
        .offset:         0
        .size:           8
        .value_kind:     global_buffer
      - .address_space:  global
        .offset:         8
        .size:           8
        .value_kind:     global_buffer
      - .address_space:  global
        .offset:         16
        .size:           8
        .value_kind:     global_buffer
      - .address_space:  global
        .offset:         24
        .size:           8
        .value_kind:     global_buffer
      - .address_space:  global
        .offset:         32
        .size:           8
        .value_kind:     global_buffer
      - .address_space:  global
        .offset:         40
        .size:           8
        .value_kind:     global_buffer
      - .offset:         48
        .size:           8
        .value_kind:     by_value
      - .offset:         56
        .size:           4
        .value_kind:     by_value
      - .offset:         60
        .size:           4
        .value_kind:     by_value
      - .offset:         64
        .size:           4
        .value_kind:     by_value
      - .offset:         68
        .size:           4
        .value_kind:     by_value
      - .offset:         72
        .size:           4
        .value_kind:     by_value
      - .offset:         76
        .size:           4
        .value_kind:     by_value
      - .offset:         80
        .size:           4
        .value_kind:     by_value
      - .offset:         84
        .size:           1
        .value_kind:     by_value
    .group_segment_fixed_size: 16
    .kernarg_segment_align: 8
    .kernarg_segment_size: 88
    .language:       OpenCL C
    .language_version:
      - 2
      - 0
    .max_flat_workgroup_size: 1024
    .name:           _ZN5aiter24add_rmsnorm_quant_kernelIttLi256ELi32ELb1ELb0ELb0ELi1EEEvPT0_PT_PfS4_S4_S4_diiiiiiib
    .private_segment_fixed_size: 0
    .sgpr_count:     28
    .sgpr_spill_count: 0
    .symbol:         _ZN5aiter24add_rmsnorm_quant_kernelIttLi256ELi32ELb1ELb0ELb0ELi1EEEvPT0_PT_PfS4_S4_S4_diiiiiiib.kd
    .uniform_work_group_size: 1
    .uses_dynamic_stack: false
    .vgpr_count:     66
    .vgpr_spill_count: 0
    .wavefront_size: 64
  - .agpr_count:     0
    .args:
      - .address_space:  global
        .offset:         0
        .size:           8
        .value_kind:     global_buffer
      - .address_space:  global
        .offset:         8
        .size:           8
        .value_kind:     global_buffer
      - .address_space:  global
        .offset:         16
        .size:           8
        .value_kind:     global_buffer
      - .address_space:  global
        .offset:         24
        .size:           8
        .value_kind:     global_buffer
      - .address_space:  global
        .offset:         32
        .size:           8
        .value_kind:     global_buffer
      - .address_space:  global
        .offset:         40
        .size:           8
        .value_kind:     global_buffer
      - .offset:         48
        .size:           8
        .value_kind:     by_value
      - .offset:         56
        .size:           4
        .value_kind:     by_value
      - .offset:         60
        .size:           4
        .value_kind:     by_value
      - .offset:         64
        .size:           4
        .value_kind:     by_value
      - .offset:         68
        .size:           4
        .value_kind:     by_value
      - .offset:         72
        .size:           4
        .value_kind:     by_value
      - .offset:         76
        .size:           4
        .value_kind:     by_value
      - .offset:         80
        .size:           4
        .value_kind:     by_value
      - .offset:         84
        .size:           1
        .value_kind:     by_value
    .group_segment_fixed_size: 0
    .kernarg_segment_align: 8
    .kernarg_segment_size: 88
    .language:       OpenCL C
    .language_version:
      - 2
      - 0
    .max_flat_workgroup_size: 1024
    .name:           _ZN5aiter24add_rmsnorm_quant_kernelIDF16_DF16_Li64ELi8ELb0ELb0ELb1ELi1EEEvPT0_PT_PfS4_S4_S4_diiiiiiib
    .private_segment_fixed_size: 0
    .sgpr_count:     24
    .sgpr_spill_count: 0
    .symbol:         _ZN5aiter24add_rmsnorm_quant_kernelIDF16_DF16_Li64ELi8ELb0ELb0ELb1ELi1EEEvPT0_PT_PfS4_S4_S4_diiiiiiib.kd
    .uniform_work_group_size: 1
    .uses_dynamic_stack: false
    .vgpr_count:     24
    .vgpr_spill_count: 0
    .wavefront_size: 64
  - .agpr_count:     0
    .args:
      - .address_space:  global
        .offset:         0
        .size:           8
        .value_kind:     global_buffer
      - .address_space:  global
        .offset:         8
        .size:           8
        .value_kind:     global_buffer
      - .address_space:  global
        .offset:         16
        .size:           8
        .value_kind:     global_buffer
      - .address_space:  global
        .offset:         24
        .size:           8
        .value_kind:     global_buffer
      - .address_space:  global
        .offset:         32
        .size:           8
        .value_kind:     global_buffer
      - .address_space:  global
        .offset:         40
        .size:           8
        .value_kind:     global_buffer
      - .offset:         48
        .size:           8
        .value_kind:     by_value
      - .offset:         56
        .size:           4
        .value_kind:     by_value
      - .offset:         60
        .size:           4
        .value_kind:     by_value
      - .offset:         64
        .size:           4
        .value_kind:     by_value
      - .offset:         68
        .size:           4
        .value_kind:     by_value
      - .offset:         72
        .size:           4
        .value_kind:     by_value
      - .offset:         76
        .size:           4
        .value_kind:     by_value
      - .offset:         80
        .size:           4
        .value_kind:     by_value
      - .offset:         84
        .size:           1
        .value_kind:     by_value
    .group_segment_fixed_size: 0
    .kernarg_segment_align: 8
    .kernarg_segment_size: 88
    .language:       OpenCL C
    .language_version:
      - 2
      - 0
    .max_flat_workgroup_size: 1024
    .name:           _ZN5aiter24add_rmsnorm_quant_kernelIttLi64ELi8ELb0ELb0ELb1ELi1EEEvPT0_PT_PfS4_S4_S4_diiiiiiib
    .private_segment_fixed_size: 0
    .sgpr_count:     24
    .sgpr_spill_count: 0
    .symbol:         _ZN5aiter24add_rmsnorm_quant_kernelIttLi64ELi8ELb0ELb0ELb1ELi1EEEvPT0_PT_PfS4_S4_S4_diiiiiiib.kd
    .uniform_work_group_size: 1
    .uses_dynamic_stack: false
    .vgpr_count:     25
    .vgpr_spill_count: 0
    .wavefront_size: 64
  - .agpr_count:     0
    .args:
      - .address_space:  global
        .offset:         0
        .size:           8
        .value_kind:     global_buffer
      - .address_space:  global
        .offset:         8
        .size:           8
        .value_kind:     global_buffer
      - .address_space:  global
        .offset:         16
        .size:           8
        .value_kind:     global_buffer
      - .address_space:  global
        .offset:         24
        .size:           8
        .value_kind:     global_buffer
      - .address_space:  global
        .offset:         32
        .size:           8
        .value_kind:     global_buffer
      - .address_space:  global
        .offset:         40
        .size:           8
        .value_kind:     global_buffer
      - .offset:         48
        .size:           8
        .value_kind:     by_value
      - .offset:         56
        .size:           4
        .value_kind:     by_value
      - .offset:         60
        .size:           4
        .value_kind:     by_value
      - .offset:         64
        .size:           4
        .value_kind:     by_value
      - .offset:         68
        .size:           4
        .value_kind:     by_value
      - .offset:         72
        .size:           4
        .value_kind:     by_value
      - .offset:         76
        .size:           4
        .value_kind:     by_value
      - .offset:         80
        .size:           4
        .value_kind:     by_value
      - .offset:         84
        .size:           1
        .value_kind:     by_value
    .group_segment_fixed_size: 0
    .kernarg_segment_align: 8
    .kernarg_segment_size: 88
    .language:       OpenCL C
    .language_version:
      - 2
      - 0
    .max_flat_workgroup_size: 1024
    .name:           _ZN5aiter24add_rmsnorm_quant_kernelIDF16_DF16_Li64ELi8ELb0ELb0ELb0ELi1EEEvPT0_PT_PfS4_S4_S4_diiiiiiib
    .private_segment_fixed_size: 0
    .sgpr_count:     24
    .sgpr_spill_count: 0
    .symbol:         _ZN5aiter24add_rmsnorm_quant_kernelIDF16_DF16_Li64ELi8ELb0ELb0ELb0ELi1EEEvPT0_PT_PfS4_S4_S4_diiiiiiib.kd
    .uniform_work_group_size: 1
    .uses_dynamic_stack: false
    .vgpr_count:     24
    .vgpr_spill_count: 0
    .wavefront_size: 64
  - .agpr_count:     0
    .args:
      - .address_space:  global
        .offset:         0
        .size:           8
        .value_kind:     global_buffer
      - .address_space:  global
        .offset:         8
        .size:           8
        .value_kind:     global_buffer
      - .address_space:  global
        .offset:         16
        .size:           8
        .value_kind:     global_buffer
      - .address_space:  global
        .offset:         24
        .size:           8
        .value_kind:     global_buffer
      - .address_space:  global
        .offset:         32
        .size:           8
        .value_kind:     global_buffer
      - .address_space:  global
        .offset:         40
        .size:           8
        .value_kind:     global_buffer
      - .offset:         48
        .size:           8
        .value_kind:     by_value
      - .offset:         56
        .size:           4
        .value_kind:     by_value
      - .offset:         60
        .size:           4
        .value_kind:     by_value
      - .offset:         64
        .size:           4
        .value_kind:     by_value
      - .offset:         68
        .size:           4
        .value_kind:     by_value
      - .offset:         72
        .size:           4
        .value_kind:     by_value
      - .offset:         76
        .size:           4
        .value_kind:     by_value
      - .offset:         80
        .size:           4
        .value_kind:     by_value
      - .offset:         84
        .size:           1
        .value_kind:     by_value
    .group_segment_fixed_size: 0
    .kernarg_segment_align: 8
    .kernarg_segment_size: 88
    .language:       OpenCL C
    .language_version:
      - 2
      - 0
    .max_flat_workgroup_size: 1024
    .name:           _ZN5aiter24add_rmsnorm_quant_kernelIttLi64ELi8ELb0ELb0ELb0ELi1EEEvPT0_PT_PfS4_S4_S4_diiiiiiib
    .private_segment_fixed_size: 0
    .sgpr_count:     24
    .sgpr_spill_count: 0
    .symbol:         _ZN5aiter24add_rmsnorm_quant_kernelIttLi64ELi8ELb0ELb0ELb0ELi1EEEvPT0_PT_PfS4_S4_S4_diiiiiiib.kd
    .uniform_work_group_size: 1
    .uses_dynamic_stack: false
    .vgpr_count:     25
    .vgpr_spill_count: 0
    .wavefront_size: 64
  - .agpr_count:     0
    .args:
      - .address_space:  global
        .offset:         0
        .size:           8
        .value_kind:     global_buffer
      - .address_space:  global
        .offset:         8
        .size:           8
        .value_kind:     global_buffer
      - .address_space:  global
        .offset:         16
        .size:           8
        .value_kind:     global_buffer
      - .address_space:  global
        .offset:         24
        .size:           8
        .value_kind:     global_buffer
      - .address_space:  global
        .offset:         32
        .size:           8
        .value_kind:     global_buffer
      - .address_space:  global
        .offset:         40
        .size:           8
        .value_kind:     global_buffer
      - .offset:         48
        .size:           8
        .value_kind:     by_value
      - .offset:         56
        .size:           4
        .value_kind:     by_value
      - .offset:         60
        .size:           4
        .value_kind:     by_value
      - .offset:         64
        .size:           4
        .value_kind:     by_value
      - .offset:         68
        .size:           4
        .value_kind:     by_value
      - .offset:         72
        .size:           4
        .value_kind:     by_value
      - .offset:         76
        .size:           4
        .value_kind:     by_value
      - .offset:         80
        .size:           4
        .value_kind:     by_value
      - .offset:         84
        .size:           1
        .value_kind:     by_value
    .group_segment_fixed_size: 8
    .kernarg_segment_align: 8
    .kernarg_segment_size: 88
    .language:       OpenCL C
    .language_version:
      - 2
      - 0
    .max_flat_workgroup_size: 1024
    .name:           _ZN5aiter24add_rmsnorm_quant_kernelIDF16_DF16_Li128ELi8ELb0ELb0ELb1ELi1EEEvPT0_PT_PfS4_S4_S4_diiiiiiib
    .private_segment_fixed_size: 0
    .sgpr_count:     24
    .sgpr_spill_count: 0
    .symbol:         _ZN5aiter24add_rmsnorm_quant_kernelIDF16_DF16_Li128ELi8ELb0ELb0ELb1ELi1EEEvPT0_PT_PfS4_S4_S4_diiiiiiib.kd
    .uniform_work_group_size: 1
    .uses_dynamic_stack: false
    .vgpr_count:     23
    .vgpr_spill_count: 0
    .wavefront_size: 64
  - .agpr_count:     0
    .args:
      - .address_space:  global
        .offset:         0
        .size:           8
        .value_kind:     global_buffer
      - .address_space:  global
        .offset:         8
        .size:           8
        .value_kind:     global_buffer
      - .address_space:  global
        .offset:         16
        .size:           8
        .value_kind:     global_buffer
      - .address_space:  global
        .offset:         24
        .size:           8
        .value_kind:     global_buffer
      - .address_space:  global
        .offset:         32
        .size:           8
        .value_kind:     global_buffer
      - .address_space:  global
        .offset:         40
        .size:           8
        .value_kind:     global_buffer
      - .offset:         48
        .size:           8
        .value_kind:     by_value
      - .offset:         56
        .size:           4
        .value_kind:     by_value
      - .offset:         60
        .size:           4
        .value_kind:     by_value
      - .offset:         64
        .size:           4
        .value_kind:     by_value
      - .offset:         68
        .size:           4
        .value_kind:     by_value
      - .offset:         72
        .size:           4
        .value_kind:     by_value
      - .offset:         76
        .size:           4
        .value_kind:     by_value
      - .offset:         80
        .size:           4
        .value_kind:     by_value
      - .offset:         84
        .size:           1
        .value_kind:     by_value
    .group_segment_fixed_size: 8
    .kernarg_segment_align: 8
    .kernarg_segment_size: 88
    .language:       OpenCL C
    .language_version:
      - 2
      - 0
    .max_flat_workgroup_size: 1024
    .name:           _ZN5aiter24add_rmsnorm_quant_kernelIttLi128ELi8ELb0ELb0ELb1ELi1EEEvPT0_PT_PfS4_S4_S4_diiiiiiib
    .private_segment_fixed_size: 0
    .sgpr_count:     24
    .sgpr_spill_count: 0
    .symbol:         _ZN5aiter24add_rmsnorm_quant_kernelIttLi128ELi8ELb0ELb0ELb1ELi1EEEvPT0_PT_PfS4_S4_S4_diiiiiiib.kd
    .uniform_work_group_size: 1
    .uses_dynamic_stack: false
    .vgpr_count:     23
    .vgpr_spill_count: 0
    .wavefront_size: 64
  - .agpr_count:     0
    .args:
      - .address_space:  global
        .offset:         0
        .size:           8
        .value_kind:     global_buffer
      - .address_space:  global
        .offset:         8
        .size:           8
        .value_kind:     global_buffer
      - .address_space:  global
        .offset:         16
        .size:           8
        .value_kind:     global_buffer
      - .address_space:  global
        .offset:         24
        .size:           8
        .value_kind:     global_buffer
      - .address_space:  global
        .offset:         32
        .size:           8
        .value_kind:     global_buffer
      - .address_space:  global
        .offset:         40
        .size:           8
        .value_kind:     global_buffer
      - .offset:         48
        .size:           8
        .value_kind:     by_value
      - .offset:         56
        .size:           4
        .value_kind:     by_value
      - .offset:         60
        .size:           4
        .value_kind:     by_value
      - .offset:         64
        .size:           4
        .value_kind:     by_value
      - .offset:         68
        .size:           4
        .value_kind:     by_value
      - .offset:         72
        .size:           4
        .value_kind:     by_value
      - .offset:         76
        .size:           4
        .value_kind:     by_value
      - .offset:         80
        .size:           4
        .value_kind:     by_value
      - .offset:         84
        .size:           1
        .value_kind:     by_value
    .group_segment_fixed_size: 8
    .kernarg_segment_align: 8
    .kernarg_segment_size: 88
    .language:       OpenCL C
    .language_version:
      - 2
      - 0
    .max_flat_workgroup_size: 1024
    .name:           _ZN5aiter24add_rmsnorm_quant_kernelIDF16_DF16_Li128ELi8ELb0ELb0ELb0ELi1EEEvPT0_PT_PfS4_S4_S4_diiiiiiib
    .private_segment_fixed_size: 0
    .sgpr_count:     24
    .sgpr_spill_count: 0
    .symbol:         _ZN5aiter24add_rmsnorm_quant_kernelIDF16_DF16_Li128ELi8ELb0ELb0ELb0ELi1EEEvPT0_PT_PfS4_S4_S4_diiiiiiib.kd
    .uniform_work_group_size: 1
    .uses_dynamic_stack: false
    .vgpr_count:     23
    .vgpr_spill_count: 0
    .wavefront_size: 64
  - .agpr_count:     0
    .args:
      - .address_space:  global
        .offset:         0
        .size:           8
        .value_kind:     global_buffer
      - .address_space:  global
        .offset:         8
        .size:           8
        .value_kind:     global_buffer
      - .address_space:  global
        .offset:         16
        .size:           8
        .value_kind:     global_buffer
      - .address_space:  global
        .offset:         24
        .size:           8
        .value_kind:     global_buffer
      - .address_space:  global
        .offset:         32
        .size:           8
        .value_kind:     global_buffer
      - .address_space:  global
        .offset:         40
        .size:           8
        .value_kind:     global_buffer
      - .offset:         48
        .size:           8
        .value_kind:     by_value
      - .offset:         56
        .size:           4
        .value_kind:     by_value
      - .offset:         60
        .size:           4
        .value_kind:     by_value
      - .offset:         64
        .size:           4
        .value_kind:     by_value
      - .offset:         68
        .size:           4
        .value_kind:     by_value
      - .offset:         72
        .size:           4
        .value_kind:     by_value
      - .offset:         76
        .size:           4
        .value_kind:     by_value
      - .offset:         80
        .size:           4
        .value_kind:     by_value
      - .offset:         84
        .size:           1
        .value_kind:     by_value
    .group_segment_fixed_size: 8
    .kernarg_segment_align: 8
    .kernarg_segment_size: 88
    .language:       OpenCL C
    .language_version:
      - 2
      - 0
    .max_flat_workgroup_size: 1024
    .name:           _ZN5aiter24add_rmsnorm_quant_kernelIttLi128ELi8ELb0ELb0ELb0ELi1EEEvPT0_PT_PfS4_S4_S4_diiiiiiib
    .private_segment_fixed_size: 0
    .sgpr_count:     24
    .sgpr_spill_count: 0
    .symbol:         _ZN5aiter24add_rmsnorm_quant_kernelIttLi128ELi8ELb0ELb0ELb0ELi1EEEvPT0_PT_PfS4_S4_S4_diiiiiiib.kd
    .uniform_work_group_size: 1
    .uses_dynamic_stack: false
    .vgpr_count:     23
    .vgpr_spill_count: 0
    .wavefront_size: 64
  - .agpr_count:     0
    .args:
      - .address_space:  global
        .offset:         0
        .size:           8
        .value_kind:     global_buffer
      - .address_space:  global
        .offset:         8
        .size:           8
        .value_kind:     global_buffer
      - .address_space:  global
        .offset:         16
        .size:           8
        .value_kind:     global_buffer
      - .address_space:  global
        .offset:         24
        .size:           8
        .value_kind:     global_buffer
      - .address_space:  global
        .offset:         32
        .size:           8
        .value_kind:     global_buffer
      - .address_space:  global
        .offset:         40
        .size:           8
        .value_kind:     global_buffer
      - .offset:         48
        .size:           8
        .value_kind:     by_value
      - .offset:         56
        .size:           4
        .value_kind:     by_value
      - .offset:         60
        .size:           4
        .value_kind:     by_value
      - .offset:         64
        .size:           4
        .value_kind:     by_value
      - .offset:         68
        .size:           4
        .value_kind:     by_value
      - .offset:         72
        .size:           4
        .value_kind:     by_value
      - .offset:         76
        .size:           4
        .value_kind:     by_value
      - .offset:         80
        .size:           4
        .value_kind:     by_value
      - .offset:         84
        .size:           1
        .value_kind:     by_value
    .group_segment_fixed_size: 16
    .kernarg_segment_align: 8
    .kernarg_segment_size: 88
    .language:       OpenCL C
    .language_version:
      - 2
      - 0
    .max_flat_workgroup_size: 1024
    .name:           _ZN5aiter24add_rmsnorm_quant_kernelIDF16_DF16_Li256ELi8ELb0ELb0ELb1ELi1EEEvPT0_PT_PfS4_S4_S4_diiiiiiib
    .private_segment_fixed_size: 0
    .sgpr_count:     24
    .sgpr_spill_count: 0
    .symbol:         _ZN5aiter24add_rmsnorm_quant_kernelIDF16_DF16_Li256ELi8ELb0ELb0ELb1ELi1EEEvPT0_PT_PfS4_S4_S4_diiiiiiib.kd
    .uniform_work_group_size: 1
    .uses_dynamic_stack: false
    .vgpr_count:     23
    .vgpr_spill_count: 0
    .wavefront_size: 64
  - .agpr_count:     0
    .args:
      - .address_space:  global
        .offset:         0
        .size:           8
        .value_kind:     global_buffer
      - .address_space:  global
        .offset:         8
        .size:           8
        .value_kind:     global_buffer
      - .address_space:  global
        .offset:         16
        .size:           8
        .value_kind:     global_buffer
      - .address_space:  global
        .offset:         24
        .size:           8
        .value_kind:     global_buffer
      - .address_space:  global
        .offset:         32
        .size:           8
        .value_kind:     global_buffer
      - .address_space:  global
        .offset:         40
        .size:           8
        .value_kind:     global_buffer
      - .offset:         48
        .size:           8
        .value_kind:     by_value
      - .offset:         56
        .size:           4
        .value_kind:     by_value
      - .offset:         60
        .size:           4
        .value_kind:     by_value
      - .offset:         64
        .size:           4
        .value_kind:     by_value
      - .offset:         68
        .size:           4
        .value_kind:     by_value
      - .offset:         72
        .size:           4
        .value_kind:     by_value
      - .offset:         76
        .size:           4
        .value_kind:     by_value
      - .offset:         80
        .size:           4
        .value_kind:     by_value
      - .offset:         84
        .size:           1
        .value_kind:     by_value
    .group_segment_fixed_size: 16
    .kernarg_segment_align: 8
    .kernarg_segment_size: 88
    .language:       OpenCL C
    .language_version:
      - 2
      - 0
    .max_flat_workgroup_size: 1024
    .name:           _ZN5aiter24add_rmsnorm_quant_kernelIttLi256ELi8ELb0ELb0ELb1ELi1EEEvPT0_PT_PfS4_S4_S4_diiiiiiib
    .private_segment_fixed_size: 0
    .sgpr_count:     24
    .sgpr_spill_count: 0
    .symbol:         _ZN5aiter24add_rmsnorm_quant_kernelIttLi256ELi8ELb0ELb0ELb1ELi1EEEvPT0_PT_PfS4_S4_S4_diiiiiiib.kd
    .uniform_work_group_size: 1
    .uses_dynamic_stack: false
    .vgpr_count:     23
    .vgpr_spill_count: 0
    .wavefront_size: 64
  - .agpr_count:     0
    .args:
      - .address_space:  global
        .offset:         0
        .size:           8
        .value_kind:     global_buffer
      - .address_space:  global
        .offset:         8
        .size:           8
        .value_kind:     global_buffer
      - .address_space:  global
        .offset:         16
        .size:           8
        .value_kind:     global_buffer
      - .address_space:  global
        .offset:         24
        .size:           8
        .value_kind:     global_buffer
      - .address_space:  global
        .offset:         32
        .size:           8
        .value_kind:     global_buffer
      - .address_space:  global
        .offset:         40
        .size:           8
        .value_kind:     global_buffer
      - .offset:         48
        .size:           8
        .value_kind:     by_value
      - .offset:         56
        .size:           4
        .value_kind:     by_value
      - .offset:         60
        .size:           4
        .value_kind:     by_value
      - .offset:         64
        .size:           4
        .value_kind:     by_value
      - .offset:         68
        .size:           4
        .value_kind:     by_value
      - .offset:         72
        .size:           4
        .value_kind:     by_value
      - .offset:         76
        .size:           4
        .value_kind:     by_value
      - .offset:         80
        .size:           4
        .value_kind:     by_value
      - .offset:         84
        .size:           1
        .value_kind:     by_value
    .group_segment_fixed_size: 16
    .kernarg_segment_align: 8
    .kernarg_segment_size: 88
    .language:       OpenCL C
    .language_version:
      - 2
      - 0
    .max_flat_workgroup_size: 1024
    .name:           _ZN5aiter24add_rmsnorm_quant_kernelIDF16_DF16_Li256ELi8ELb0ELb0ELb0ELi1EEEvPT0_PT_PfS4_S4_S4_diiiiiiib
    .private_segment_fixed_size: 0
    .sgpr_count:     24
    .sgpr_spill_count: 0
    .symbol:         _ZN5aiter24add_rmsnorm_quant_kernelIDF16_DF16_Li256ELi8ELb0ELb0ELb0ELi1EEEvPT0_PT_PfS4_S4_S4_diiiiiiib.kd
    .uniform_work_group_size: 1
    .uses_dynamic_stack: false
    .vgpr_count:     23
    .vgpr_spill_count: 0
    .wavefront_size: 64
  - .agpr_count:     0
    .args:
      - .address_space:  global
        .offset:         0
        .size:           8
        .value_kind:     global_buffer
      - .address_space:  global
        .offset:         8
        .size:           8
        .value_kind:     global_buffer
      - .address_space:  global
        .offset:         16
        .size:           8
        .value_kind:     global_buffer
      - .address_space:  global
        .offset:         24
        .size:           8
        .value_kind:     global_buffer
      - .address_space:  global
        .offset:         32
        .size:           8
        .value_kind:     global_buffer
      - .address_space:  global
        .offset:         40
        .size:           8
        .value_kind:     global_buffer
      - .offset:         48
        .size:           8
        .value_kind:     by_value
      - .offset:         56
        .size:           4
        .value_kind:     by_value
      - .offset:         60
        .size:           4
        .value_kind:     by_value
      - .offset:         64
        .size:           4
        .value_kind:     by_value
      - .offset:         68
        .size:           4
        .value_kind:     by_value
      - .offset:         72
        .size:           4
        .value_kind:     by_value
      - .offset:         76
        .size:           4
        .value_kind:     by_value
      - .offset:         80
        .size:           4
        .value_kind:     by_value
      - .offset:         84
        .size:           1
        .value_kind:     by_value
    .group_segment_fixed_size: 16
    .kernarg_segment_align: 8
    .kernarg_segment_size: 88
    .language:       OpenCL C
    .language_version:
      - 2
      - 0
    .max_flat_workgroup_size: 1024
    .name:           _ZN5aiter24add_rmsnorm_quant_kernelIttLi256ELi8ELb0ELb0ELb0ELi1EEEvPT0_PT_PfS4_S4_S4_diiiiiiib
    .private_segment_fixed_size: 0
    .sgpr_count:     24
    .sgpr_spill_count: 0
    .symbol:         _ZN5aiter24add_rmsnorm_quant_kernelIttLi256ELi8ELb0ELb0ELb0ELi1EEEvPT0_PT_PfS4_S4_S4_diiiiiiib.kd
    .uniform_work_group_size: 1
    .uses_dynamic_stack: false
    .vgpr_count:     23
    .vgpr_spill_count: 0
    .wavefront_size: 64
  - .agpr_count:     0
    .args:
      - .address_space:  global
        .offset:         0
        .size:           8
        .value_kind:     global_buffer
      - .address_space:  global
        .offset:         8
        .size:           8
        .value_kind:     global_buffer
      - .address_space:  global
        .offset:         16
        .size:           8
        .value_kind:     global_buffer
      - .address_space:  global
        .offset:         24
        .size:           8
        .value_kind:     global_buffer
      - .address_space:  global
        .offset:         32
        .size:           8
        .value_kind:     global_buffer
      - .address_space:  global
        .offset:         40
        .size:           8
        .value_kind:     global_buffer
      - .offset:         48
        .size:           8
        .value_kind:     by_value
      - .offset:         56
        .size:           4
        .value_kind:     by_value
      - .offset:         60
        .size:           4
        .value_kind:     by_value
      - .offset:         64
        .size:           4
        .value_kind:     by_value
      - .offset:         68
        .size:           4
        .value_kind:     by_value
      - .offset:         72
        .size:           4
        .value_kind:     by_value
      - .offset:         76
        .size:           4
        .value_kind:     by_value
      - .offset:         80
        .size:           4
        .value_kind:     by_value
      - .offset:         84
        .size:           1
        .value_kind:     by_value
    .group_segment_fixed_size: 16
    .kernarg_segment_align: 8
    .kernarg_segment_size: 88
    .language:       OpenCL C
    .language_version:
      - 2
      - 0
    .max_flat_workgroup_size: 1024
    .name:           _ZN5aiter24add_rmsnorm_quant_kernelIDF16_DF16_Li256ELi16ELb0ELb0ELb1ELi1EEEvPT0_PT_PfS4_S4_S4_diiiiiiib
    .private_segment_fixed_size: 0
    .sgpr_count:     24
    .sgpr_spill_count: 0
    .symbol:         _ZN5aiter24add_rmsnorm_quant_kernelIDF16_DF16_Li256ELi16ELb0ELb0ELb1ELi1EEEvPT0_PT_PfS4_S4_S4_diiiiiiib.kd
    .uniform_work_group_size: 1
    .uses_dynamic_stack: false
    .vgpr_count:     43
    .vgpr_spill_count: 0
    .wavefront_size: 64
  - .agpr_count:     0
    .args:
      - .address_space:  global
        .offset:         0
        .size:           8
        .value_kind:     global_buffer
      - .address_space:  global
        .offset:         8
        .size:           8
        .value_kind:     global_buffer
      - .address_space:  global
        .offset:         16
        .size:           8
        .value_kind:     global_buffer
      - .address_space:  global
        .offset:         24
        .size:           8
        .value_kind:     global_buffer
      - .address_space:  global
        .offset:         32
        .size:           8
        .value_kind:     global_buffer
      - .address_space:  global
        .offset:         40
        .size:           8
        .value_kind:     global_buffer
      - .offset:         48
        .size:           8
        .value_kind:     by_value
      - .offset:         56
        .size:           4
        .value_kind:     by_value
      - .offset:         60
        .size:           4
        .value_kind:     by_value
      - .offset:         64
        .size:           4
        .value_kind:     by_value
      - .offset:         68
        .size:           4
        .value_kind:     by_value
      - .offset:         72
        .size:           4
        .value_kind:     by_value
      - .offset:         76
        .size:           4
        .value_kind:     by_value
      - .offset:         80
        .size:           4
        .value_kind:     by_value
      - .offset:         84
        .size:           1
        .value_kind:     by_value
    .group_segment_fixed_size: 16
    .kernarg_segment_align: 8
    .kernarg_segment_size: 88
    .language:       OpenCL C
    .language_version:
      - 2
      - 0
    .max_flat_workgroup_size: 1024
    .name:           _ZN5aiter24add_rmsnorm_quant_kernelIttLi256ELi16ELb0ELb0ELb1ELi1EEEvPT0_PT_PfS4_S4_S4_diiiiiiib
    .private_segment_fixed_size: 0
    .sgpr_count:     24
    .sgpr_spill_count: 0
    .symbol:         _ZN5aiter24add_rmsnorm_quant_kernelIttLi256ELi16ELb0ELb0ELb1ELi1EEEvPT0_PT_PfS4_S4_S4_diiiiiiib.kd
    .uniform_work_group_size: 1
    .uses_dynamic_stack: false
    .vgpr_count:     43
    .vgpr_spill_count: 0
    .wavefront_size: 64
  - .agpr_count:     0
    .args:
      - .address_space:  global
        .offset:         0
        .size:           8
        .value_kind:     global_buffer
      - .address_space:  global
        .offset:         8
        .size:           8
        .value_kind:     global_buffer
      - .address_space:  global
        .offset:         16
        .size:           8
        .value_kind:     global_buffer
      - .address_space:  global
        .offset:         24
        .size:           8
        .value_kind:     global_buffer
      - .address_space:  global
        .offset:         32
        .size:           8
        .value_kind:     global_buffer
      - .address_space:  global
        .offset:         40
        .size:           8
        .value_kind:     global_buffer
      - .offset:         48
        .size:           8
        .value_kind:     by_value
      - .offset:         56
        .size:           4
        .value_kind:     by_value
      - .offset:         60
        .size:           4
        .value_kind:     by_value
      - .offset:         64
        .size:           4
        .value_kind:     by_value
      - .offset:         68
        .size:           4
        .value_kind:     by_value
      - .offset:         72
        .size:           4
        .value_kind:     by_value
      - .offset:         76
        .size:           4
        .value_kind:     by_value
      - .offset:         80
        .size:           4
        .value_kind:     by_value
      - .offset:         84
        .size:           1
        .value_kind:     by_value
    .group_segment_fixed_size: 16
    .kernarg_segment_align: 8
    .kernarg_segment_size: 88
    .language:       OpenCL C
    .language_version:
      - 2
      - 0
    .max_flat_workgroup_size: 1024
    .name:           _ZN5aiter24add_rmsnorm_quant_kernelIDF16_DF16_Li256ELi16ELb0ELb0ELb0ELi1EEEvPT0_PT_PfS4_S4_S4_diiiiiiib
    .private_segment_fixed_size: 0
    .sgpr_count:     24
    .sgpr_spill_count: 0
    .symbol:         _ZN5aiter24add_rmsnorm_quant_kernelIDF16_DF16_Li256ELi16ELb0ELb0ELb0ELi1EEEvPT0_PT_PfS4_S4_S4_diiiiiiib.kd
    .uniform_work_group_size: 1
    .uses_dynamic_stack: false
    .vgpr_count:     43
    .vgpr_spill_count: 0
    .wavefront_size: 64
  - .agpr_count:     0
    .args:
      - .address_space:  global
        .offset:         0
        .size:           8
        .value_kind:     global_buffer
      - .address_space:  global
        .offset:         8
        .size:           8
        .value_kind:     global_buffer
      - .address_space:  global
        .offset:         16
        .size:           8
        .value_kind:     global_buffer
      - .address_space:  global
        .offset:         24
        .size:           8
        .value_kind:     global_buffer
      - .address_space:  global
        .offset:         32
        .size:           8
        .value_kind:     global_buffer
      - .address_space:  global
        .offset:         40
        .size:           8
        .value_kind:     global_buffer
      - .offset:         48
        .size:           8
        .value_kind:     by_value
      - .offset:         56
        .size:           4
        .value_kind:     by_value
      - .offset:         60
        .size:           4
        .value_kind:     by_value
      - .offset:         64
        .size:           4
        .value_kind:     by_value
      - .offset:         68
        .size:           4
        .value_kind:     by_value
      - .offset:         72
        .size:           4
        .value_kind:     by_value
      - .offset:         76
        .size:           4
        .value_kind:     by_value
      - .offset:         80
        .size:           4
        .value_kind:     by_value
      - .offset:         84
        .size:           1
        .value_kind:     by_value
    .group_segment_fixed_size: 16
    .kernarg_segment_align: 8
    .kernarg_segment_size: 88
    .language:       OpenCL C
    .language_version:
      - 2
      - 0
    .max_flat_workgroup_size: 1024
    .name:           _ZN5aiter24add_rmsnorm_quant_kernelIttLi256ELi16ELb0ELb0ELb0ELi1EEEvPT0_PT_PfS4_S4_S4_diiiiiiib
    .private_segment_fixed_size: 0
    .sgpr_count:     24
    .sgpr_spill_count: 0
    .symbol:         _ZN5aiter24add_rmsnorm_quant_kernelIttLi256ELi16ELb0ELb0ELb0ELi1EEEvPT0_PT_PfS4_S4_S4_diiiiiiib.kd
    .uniform_work_group_size: 1
    .uses_dynamic_stack: false
    .vgpr_count:     43
    .vgpr_spill_count: 0
    .wavefront_size: 64
  - .agpr_count:     0
    .args:
      - .address_space:  global
        .offset:         0
        .size:           8
        .value_kind:     global_buffer
      - .address_space:  global
        .offset:         8
        .size:           8
        .value_kind:     global_buffer
      - .address_space:  global
        .offset:         16
        .size:           8
        .value_kind:     global_buffer
      - .address_space:  global
        .offset:         24
        .size:           8
        .value_kind:     global_buffer
      - .address_space:  global
        .offset:         32
        .size:           8
        .value_kind:     global_buffer
      - .address_space:  global
        .offset:         40
        .size:           8
        .value_kind:     global_buffer
      - .offset:         48
        .size:           8
        .value_kind:     by_value
      - .offset:         56
        .size:           4
        .value_kind:     by_value
      - .offset:         60
        .size:           4
        .value_kind:     by_value
      - .offset:         64
        .size:           4
        .value_kind:     by_value
      - .offset:         68
        .size:           4
        .value_kind:     by_value
      - .offset:         72
        .size:           4
        .value_kind:     by_value
      - .offset:         76
        .size:           4
        .value_kind:     by_value
      - .offset:         80
        .size:           4
        .value_kind:     by_value
      - .offset:         84
        .size:           1
        .value_kind:     by_value
    .group_segment_fixed_size: 16
    .kernarg_segment_align: 8
    .kernarg_segment_size: 88
    .language:       OpenCL C
    .language_version:
      - 2
      - 0
    .max_flat_workgroup_size: 1024
    .name:           _ZN5aiter24add_rmsnorm_quant_kernelIDF16_DF16_Li256ELi24ELb0ELb0ELb1ELi1EEEvPT0_PT_PfS4_S4_S4_diiiiiiib
    .private_segment_fixed_size: 0
    .sgpr_count:     24
    .sgpr_spill_count: 0
    .symbol:         _ZN5aiter24add_rmsnorm_quant_kernelIDF16_DF16_Li256ELi24ELb0ELb0ELb1ELi1EEEvPT0_PT_PfS4_S4_S4_diiiiiiib.kd
    .uniform_work_group_size: 1
    .uses_dynamic_stack: false
    .vgpr_count:     60
    .vgpr_spill_count: 0
    .wavefront_size: 64
  - .agpr_count:     0
    .args:
      - .address_space:  global
        .offset:         0
        .size:           8
        .value_kind:     global_buffer
      - .address_space:  global
        .offset:         8
        .size:           8
        .value_kind:     global_buffer
      - .address_space:  global
        .offset:         16
        .size:           8
        .value_kind:     global_buffer
      - .address_space:  global
        .offset:         24
        .size:           8
        .value_kind:     global_buffer
      - .address_space:  global
        .offset:         32
        .size:           8
        .value_kind:     global_buffer
      - .address_space:  global
        .offset:         40
        .size:           8
        .value_kind:     global_buffer
      - .offset:         48
        .size:           8
        .value_kind:     by_value
      - .offset:         56
        .size:           4
        .value_kind:     by_value
      - .offset:         60
        .size:           4
        .value_kind:     by_value
      - .offset:         64
        .size:           4
        .value_kind:     by_value
      - .offset:         68
        .size:           4
        .value_kind:     by_value
      - .offset:         72
        .size:           4
        .value_kind:     by_value
      - .offset:         76
        .size:           4
        .value_kind:     by_value
      - .offset:         80
        .size:           4
        .value_kind:     by_value
      - .offset:         84
        .size:           1
        .value_kind:     by_value
    .group_segment_fixed_size: 16
    .kernarg_segment_align: 8
    .kernarg_segment_size: 88
    .language:       OpenCL C
    .language_version:
      - 2
      - 0
    .max_flat_workgroup_size: 1024
    .name:           _ZN5aiter24add_rmsnorm_quant_kernelIttLi256ELi24ELb0ELb0ELb1ELi1EEEvPT0_PT_PfS4_S4_S4_diiiiiiib
    .private_segment_fixed_size: 0
    .sgpr_count:     24
    .sgpr_spill_count: 0
    .symbol:         _ZN5aiter24add_rmsnorm_quant_kernelIttLi256ELi24ELb0ELb0ELb1ELi1EEEvPT0_PT_PfS4_S4_S4_diiiiiiib.kd
    .uniform_work_group_size: 1
    .uses_dynamic_stack: false
    .vgpr_count:     60
    .vgpr_spill_count: 0
    .wavefront_size: 64
  - .agpr_count:     0
    .args:
      - .address_space:  global
        .offset:         0
        .size:           8
        .value_kind:     global_buffer
      - .address_space:  global
        .offset:         8
        .size:           8
        .value_kind:     global_buffer
      - .address_space:  global
        .offset:         16
        .size:           8
        .value_kind:     global_buffer
      - .address_space:  global
        .offset:         24
        .size:           8
        .value_kind:     global_buffer
      - .address_space:  global
        .offset:         32
        .size:           8
        .value_kind:     global_buffer
      - .address_space:  global
        .offset:         40
        .size:           8
        .value_kind:     global_buffer
      - .offset:         48
        .size:           8
        .value_kind:     by_value
      - .offset:         56
        .size:           4
        .value_kind:     by_value
      - .offset:         60
        .size:           4
        .value_kind:     by_value
      - .offset:         64
        .size:           4
        .value_kind:     by_value
      - .offset:         68
        .size:           4
        .value_kind:     by_value
      - .offset:         72
        .size:           4
        .value_kind:     by_value
      - .offset:         76
        .size:           4
        .value_kind:     by_value
      - .offset:         80
        .size:           4
        .value_kind:     by_value
      - .offset:         84
        .size:           1
        .value_kind:     by_value
    .group_segment_fixed_size: 16
    .kernarg_segment_align: 8
    .kernarg_segment_size: 88
    .language:       OpenCL C
    .language_version:
      - 2
      - 0
    .max_flat_workgroup_size: 1024
    .name:           _ZN5aiter24add_rmsnorm_quant_kernelIDF16_DF16_Li256ELi24ELb0ELb0ELb0ELi1EEEvPT0_PT_PfS4_S4_S4_diiiiiiib
    .private_segment_fixed_size: 0
    .sgpr_count:     24
    .sgpr_spill_count: 0
    .symbol:         _ZN5aiter24add_rmsnorm_quant_kernelIDF16_DF16_Li256ELi24ELb0ELb0ELb0ELi1EEEvPT0_PT_PfS4_S4_S4_diiiiiiib.kd
    .uniform_work_group_size: 1
    .uses_dynamic_stack: false
    .vgpr_count:     60
    .vgpr_spill_count: 0
    .wavefront_size: 64
  - .agpr_count:     0
    .args:
      - .address_space:  global
        .offset:         0
        .size:           8
        .value_kind:     global_buffer
      - .address_space:  global
        .offset:         8
        .size:           8
        .value_kind:     global_buffer
      - .address_space:  global
        .offset:         16
        .size:           8
        .value_kind:     global_buffer
      - .address_space:  global
        .offset:         24
        .size:           8
        .value_kind:     global_buffer
      - .address_space:  global
        .offset:         32
        .size:           8
        .value_kind:     global_buffer
      - .address_space:  global
        .offset:         40
        .size:           8
        .value_kind:     global_buffer
      - .offset:         48
        .size:           8
        .value_kind:     by_value
      - .offset:         56
        .size:           4
        .value_kind:     by_value
      - .offset:         60
        .size:           4
        .value_kind:     by_value
      - .offset:         64
        .size:           4
        .value_kind:     by_value
      - .offset:         68
        .size:           4
        .value_kind:     by_value
      - .offset:         72
        .size:           4
        .value_kind:     by_value
      - .offset:         76
        .size:           4
        .value_kind:     by_value
      - .offset:         80
        .size:           4
        .value_kind:     by_value
      - .offset:         84
        .size:           1
        .value_kind:     by_value
    .group_segment_fixed_size: 16
    .kernarg_segment_align: 8
    .kernarg_segment_size: 88
    .language:       OpenCL C
    .language_version:
      - 2
      - 0
    .max_flat_workgroup_size: 1024
    .name:           _ZN5aiter24add_rmsnorm_quant_kernelIttLi256ELi24ELb0ELb0ELb0ELi1EEEvPT0_PT_PfS4_S4_S4_diiiiiiib
    .private_segment_fixed_size: 0
    .sgpr_count:     24
    .sgpr_spill_count: 0
    .symbol:         _ZN5aiter24add_rmsnorm_quant_kernelIttLi256ELi24ELb0ELb0ELb0ELi1EEEvPT0_PT_PfS4_S4_S4_diiiiiiib.kd
    .uniform_work_group_size: 1
    .uses_dynamic_stack: false
    .vgpr_count:     60
    .vgpr_spill_count: 0
    .wavefront_size: 64
  - .agpr_count:     0
    .args:
      - .address_space:  global
        .offset:         0
        .size:           8
        .value_kind:     global_buffer
      - .address_space:  global
        .offset:         8
        .size:           8
        .value_kind:     global_buffer
      - .address_space:  global
        .offset:         16
        .size:           8
        .value_kind:     global_buffer
      - .address_space:  global
        .offset:         24
        .size:           8
        .value_kind:     global_buffer
      - .address_space:  global
        .offset:         32
        .size:           8
        .value_kind:     global_buffer
      - .address_space:  global
        .offset:         40
        .size:           8
        .value_kind:     global_buffer
      - .offset:         48
        .size:           8
        .value_kind:     by_value
      - .offset:         56
        .size:           4
        .value_kind:     by_value
      - .offset:         60
        .size:           4
        .value_kind:     by_value
      - .offset:         64
        .size:           4
        .value_kind:     by_value
      - .offset:         68
        .size:           4
        .value_kind:     by_value
      - .offset:         72
        .size:           4
        .value_kind:     by_value
      - .offset:         76
        .size:           4
        .value_kind:     by_value
      - .offset:         80
        .size:           4
        .value_kind:     by_value
      - .offset:         84
        .size:           1
        .value_kind:     by_value
    .group_segment_fixed_size: 16
    .kernarg_segment_align: 8
    .kernarg_segment_size: 88
    .language:       OpenCL C
    .language_version:
      - 2
      - 0
    .max_flat_workgroup_size: 1024
    .name:           _ZN5aiter24add_rmsnorm_quant_kernelIDF16_DF16_Li256ELi32ELb0ELb0ELb1ELi1EEEvPT0_PT_PfS4_S4_S4_diiiiiiib
    .private_segment_fixed_size: 0
    .sgpr_count:     24
    .sgpr_spill_count: 0
    .symbol:         _ZN5aiter24add_rmsnorm_quant_kernelIDF16_DF16_Li256ELi32ELb0ELb0ELb1ELi1EEEvPT0_PT_PfS4_S4_S4_diiiiiiib.kd
    .uniform_work_group_size: 1
    .uses_dynamic_stack: false
    .vgpr_count:     60
    .vgpr_spill_count: 0
    .wavefront_size: 64
  - .agpr_count:     0
    .args:
      - .address_space:  global
        .offset:         0
        .size:           8
        .value_kind:     global_buffer
      - .address_space:  global
        .offset:         8
        .size:           8
        .value_kind:     global_buffer
      - .address_space:  global
        .offset:         16
        .size:           8
        .value_kind:     global_buffer
      - .address_space:  global
        .offset:         24
        .size:           8
        .value_kind:     global_buffer
      - .address_space:  global
        .offset:         32
        .size:           8
        .value_kind:     global_buffer
      - .address_space:  global
        .offset:         40
        .size:           8
        .value_kind:     global_buffer
      - .offset:         48
        .size:           8
        .value_kind:     by_value
      - .offset:         56
        .size:           4
        .value_kind:     by_value
      - .offset:         60
        .size:           4
        .value_kind:     by_value
      - .offset:         64
        .size:           4
        .value_kind:     by_value
      - .offset:         68
        .size:           4
        .value_kind:     by_value
      - .offset:         72
        .size:           4
        .value_kind:     by_value
      - .offset:         76
        .size:           4
        .value_kind:     by_value
      - .offset:         80
        .size:           4
        .value_kind:     by_value
      - .offset:         84
        .size:           1
        .value_kind:     by_value
    .group_segment_fixed_size: 16
    .kernarg_segment_align: 8
    .kernarg_segment_size: 88
    .language:       OpenCL C
    .language_version:
      - 2
      - 0
    .max_flat_workgroup_size: 1024
    .name:           _ZN5aiter24add_rmsnorm_quant_kernelIttLi256ELi32ELb0ELb0ELb1ELi1EEEvPT0_PT_PfS4_S4_S4_diiiiiiib
    .private_segment_fixed_size: 0
    .sgpr_count:     24
    .sgpr_spill_count: 0
    .symbol:         _ZN5aiter24add_rmsnorm_quant_kernelIttLi256ELi32ELb0ELb0ELb1ELi1EEEvPT0_PT_PfS4_S4_S4_diiiiiiib.kd
    .uniform_work_group_size: 1
    .uses_dynamic_stack: false
    .vgpr_count:     60
    .vgpr_spill_count: 0
    .wavefront_size: 64
  - .agpr_count:     0
    .args:
      - .address_space:  global
        .offset:         0
        .size:           8
        .value_kind:     global_buffer
      - .address_space:  global
        .offset:         8
        .size:           8
        .value_kind:     global_buffer
      - .address_space:  global
        .offset:         16
        .size:           8
        .value_kind:     global_buffer
      - .address_space:  global
        .offset:         24
        .size:           8
        .value_kind:     global_buffer
      - .address_space:  global
        .offset:         32
        .size:           8
        .value_kind:     global_buffer
      - .address_space:  global
        .offset:         40
        .size:           8
        .value_kind:     global_buffer
      - .offset:         48
        .size:           8
        .value_kind:     by_value
      - .offset:         56
        .size:           4
        .value_kind:     by_value
      - .offset:         60
        .size:           4
        .value_kind:     by_value
      - .offset:         64
        .size:           4
        .value_kind:     by_value
      - .offset:         68
        .size:           4
        .value_kind:     by_value
      - .offset:         72
        .size:           4
        .value_kind:     by_value
      - .offset:         76
        .size:           4
        .value_kind:     by_value
      - .offset:         80
        .size:           4
        .value_kind:     by_value
      - .offset:         84
        .size:           1
        .value_kind:     by_value
    .group_segment_fixed_size: 16
    .kernarg_segment_align: 8
    .kernarg_segment_size: 88
    .language:       OpenCL C
    .language_version:
      - 2
      - 0
    .max_flat_workgroup_size: 1024
    .name:           _ZN5aiter24add_rmsnorm_quant_kernelIDF16_DF16_Li256ELi32ELb0ELb0ELb0ELi1EEEvPT0_PT_PfS4_S4_S4_diiiiiiib
    .private_segment_fixed_size: 0
    .sgpr_count:     24
    .sgpr_spill_count: 0
    .symbol:         _ZN5aiter24add_rmsnorm_quant_kernelIDF16_DF16_Li256ELi32ELb0ELb0ELb0ELi1EEEvPT0_PT_PfS4_S4_S4_diiiiiiib.kd
    .uniform_work_group_size: 1
    .uses_dynamic_stack: false
    .vgpr_count:     60
    .vgpr_spill_count: 0
    .wavefront_size: 64
  - .agpr_count:     0
    .args:
      - .address_space:  global
        .offset:         0
        .size:           8
        .value_kind:     global_buffer
      - .address_space:  global
        .offset:         8
        .size:           8
        .value_kind:     global_buffer
      - .address_space:  global
        .offset:         16
        .size:           8
        .value_kind:     global_buffer
      - .address_space:  global
        .offset:         24
        .size:           8
        .value_kind:     global_buffer
      - .address_space:  global
        .offset:         32
        .size:           8
        .value_kind:     global_buffer
      - .address_space:  global
        .offset:         40
        .size:           8
        .value_kind:     global_buffer
      - .offset:         48
        .size:           8
        .value_kind:     by_value
      - .offset:         56
        .size:           4
        .value_kind:     by_value
      - .offset:         60
        .size:           4
        .value_kind:     by_value
      - .offset:         64
        .size:           4
        .value_kind:     by_value
      - .offset:         68
        .size:           4
        .value_kind:     by_value
      - .offset:         72
        .size:           4
        .value_kind:     by_value
      - .offset:         76
        .size:           4
        .value_kind:     by_value
      - .offset:         80
        .size:           4
        .value_kind:     by_value
      - .offset:         84
        .size:           1
        .value_kind:     by_value
    .group_segment_fixed_size: 16
    .kernarg_segment_align: 8
    .kernarg_segment_size: 88
    .language:       OpenCL C
    .language_version:
      - 2
      - 0
    .max_flat_workgroup_size: 1024
    .name:           _ZN5aiter24add_rmsnorm_quant_kernelIttLi256ELi32ELb0ELb0ELb0ELi1EEEvPT0_PT_PfS4_S4_S4_diiiiiiib
    .private_segment_fixed_size: 0
    .sgpr_count:     24
    .sgpr_spill_count: 0
    .symbol:         _ZN5aiter24add_rmsnorm_quant_kernelIttLi256ELi32ELb0ELb0ELb0ELi1EEEvPT0_PT_PfS4_S4_S4_diiiiiiib.kd
    .uniform_work_group_size: 1
    .uses_dynamic_stack: false
    .vgpr_count:     60
    .vgpr_spill_count: 0
    .wavefront_size: 64
amdhsa.target:   amdgcn-amd-amdhsa--gfx90a
amdhsa.version:
  - 1
  - 2
...

	.end_amdgpu_metadata
